;; amdgpu-corpus repo=pytorch/pytorch kind=compiled arch=gfx90a opt=O3
	.text
	.amdgcn_target "amdgcn-amd-amdhsa--gfx90a"
	.amdhsa_code_object_version 6
	.section	.text._ZN2at6native29vectorized_elementwise_kernelILi16EZZZNS0_12_GLOBAL__N_117hardshrink_kernelERNS_18TensorIteratorBaseERKN3c106ScalarEENKUlvE_clEvENKUlvE_clEvEUldE_St5arrayIPcLm2EEEEviT0_T1_,"axG",@progbits,_ZN2at6native29vectorized_elementwise_kernelILi16EZZZNS0_12_GLOBAL__N_117hardshrink_kernelERNS_18TensorIteratorBaseERKN3c106ScalarEENKUlvE_clEvENKUlvE_clEvEUldE_St5arrayIPcLm2EEEEviT0_T1_,comdat
	.globl	_ZN2at6native29vectorized_elementwise_kernelILi16EZZZNS0_12_GLOBAL__N_117hardshrink_kernelERNS_18TensorIteratorBaseERKN3c106ScalarEENKUlvE_clEvENKUlvE_clEvEUldE_St5arrayIPcLm2EEEEviT0_T1_ ; -- Begin function _ZN2at6native29vectorized_elementwise_kernelILi16EZZZNS0_12_GLOBAL__N_117hardshrink_kernelERNS_18TensorIteratorBaseERKN3c106ScalarEENKUlvE_clEvENKUlvE_clEvEUldE_St5arrayIPcLm2EEEEviT0_T1_
	.p2align	8
	.type	_ZN2at6native29vectorized_elementwise_kernelILi16EZZZNS0_12_GLOBAL__N_117hardshrink_kernelERNS_18TensorIteratorBaseERKN3c106ScalarEENKUlvE_clEvENKUlvE_clEvEUldE_St5arrayIPcLm2EEEEviT0_T1_,@function
_ZN2at6native29vectorized_elementwise_kernelILi16EZZZNS0_12_GLOBAL__N_117hardshrink_kernelERNS_18TensorIteratorBaseERKN3c106ScalarEENKUlvE_clEvENKUlvE_clEvEUldE_St5arrayIPcLm2EEEEviT0_T1_: ; @_ZN2at6native29vectorized_elementwise_kernelILi16EZZZNS0_12_GLOBAL__N_117hardshrink_kernelERNS_18TensorIteratorBaseERKN3c106ScalarEENKUlvE_clEvENKUlvE_clEvEUldE_St5arrayIPcLm2EEEEviT0_T1_
; %bb.0:
	s_load_dword s0, s[4:5], 0x0
	s_load_dwordx4 s[8:11], s[4:5], 0x8
	s_load_dwordx2 s[12:13], s[4:5], 0x18
	s_lshl_b32 s6, s6, 10
	s_waitcnt lgkmcnt(0)
	s_sub_i32 s14, s0, s6
	s_cmpk_gt_i32 s14, 0x3ff
	s_mov_b64 s[0:1], -1
	s_cbranch_scc0 .LBB0_2
; %bb.1:
	s_ashr_i32 s7, s6, 31
	s_lshl_b64 s[16:17], s[6:7], 3
	s_add_u32 s0, s12, s16
	s_addc_u32 s1, s13, s17
	v_lshlrev_b32_e32 v1, 5, v0
	global_load_dwordx4 v[2:5], v1, s[0:1]
	global_load_dwordx4 v[6:9], v1, s[0:1] offset:16
	s_waitcnt vmcnt(1)
	v_cmp_nge_f64_e64 s[18:19], v[2:3], -s[8:9]
	v_cmp_nge_f64_e32 vcc, s[8:9], v[2:3]
	v_cmp_nge_f64_e64 s[20:21], v[4:5], -s[8:9]
	v_cmp_nge_f64_e64 s[0:1], s[8:9], v[4:5]
	s_waitcnt vmcnt(0)
	v_cmp_nge_f64_e64 s[22:23], v[6:7], -s[8:9]
	v_cmp_nge_f64_e64 s[2:3], s[8:9], v[6:7]
	v_cmp_nge_f64_e64 s[24:25], v[8:9], -s[8:9]
	v_cmp_nge_f64_e64 s[4:5], s[8:9], v[8:9]
	s_or_b64 vcc, s[18:19], vcc
	s_or_b64 s[0:1], s[20:21], s[0:1]
	s_or_b64 s[2:3], s[22:23], s[2:3]
	;; [unrolled: 1-line block ×3, first 2 shown]
	v_cndmask_b32_e64 v5, 0, v5, s[0:1]
	v_cndmask_b32_e64 v4, 0, v4, s[0:1]
	s_add_u32 s0, s10, s16
	v_cndmask_b32_e32 v3, 0, v3, vcc
	v_cndmask_b32_e32 v2, 0, v2, vcc
	s_addc_u32 s1, s11, s17
	v_cndmask_b32_e64 v7, 0, v7, s[2:3]
	v_cndmask_b32_e64 v9, 0, v9, s[4:5]
	;; [unrolled: 1-line block ×4, first 2 shown]
	global_store_dwordx4 v1, v[2:5], s[0:1]
	global_store_dwordx4 v1, v[6:9], s[0:1] offset:16
	s_mov_b64 s[0:1], 0
.LBB0_2:
	s_andn2_b64 vcc, exec, s[0:1]
	s_cbranch_vccnz .LBB0_16
; %bb.3:
	v_pk_mov_b32 v[4:5], 0, 0
	v_cmp_gt_i32_e32 vcc, s14, v0
	v_or_b32_e32 v2, s6, v0
	v_pk_mov_b32 v[6:7], v[4:5], v[4:5] op_sel:[0,1]
	v_mov_b32_e32 v1, v0
	s_and_saveexec_b64 s[2:3], vcc
	s_cbranch_execz .LBB0_5
; %bb.4:
	v_mov_b32_e32 v3, 0
	v_lshlrev_b64 v[6:7], 3, v[2:3]
	v_mov_b32_e32 v1, s13
	v_add_co_u32_e64 v6, s[0:1], s12, v6
	v_addc_co_u32_e64 v7, s[0:1], v1, v7, s[0:1]
	global_load_dwordx2 v[6:7], v[6:7], off
	v_or_b32_e32 v1, 0x100, v0
.LBB0_5:
	s_or_b64 exec, exec, s[2:3]
	v_cmp_gt_i32_e64 s[0:1], s14, v1
	s_and_saveexec_b64 s[2:3], s[0:1]
	s_cbranch_execz .LBB0_7
; %bb.6:
	v_add_u32_e32 v4, s6, v1
	v_mov_b32_e32 v5, 0
	v_lshlrev_b64 v[4:5], 3, v[4:5]
	v_mov_b32_e32 v3, s13
	v_add_co_u32_e64 v4, s[0:1], s12, v4
	v_addc_co_u32_e64 v5, s[0:1], v3, v5, s[0:1]
	global_load_dwordx2 v[4:5], v[4:5], off
	v_add_u32_e32 v1, 0x100, v1
.LBB0_7:
	s_or_b64 exec, exec, s[2:3]
	v_pk_mov_b32 v[8:9], 0, 0
	v_cmp_gt_i32_e64 s[0:1], s14, v1
	v_pk_mov_b32 v[12:13], v[8:9], v[8:9] op_sel:[0,1]
	s_and_saveexec_b64 s[2:3], s[0:1]
	s_cbranch_execz .LBB0_9
; %bb.8:
	v_add_u32_e32 v10, s6, v1
	v_mov_b32_e32 v11, 0
	v_lshlrev_b64 v[10:11], 3, v[10:11]
	v_mov_b32_e32 v3, s13
	v_add_co_u32_e64 v10, s[0:1], s12, v10
	v_addc_co_u32_e64 v11, s[0:1], v3, v11, s[0:1]
	global_load_dwordx2 v[12:13], v[10:11], off
	v_add_u32_e32 v1, 0x100, v1
.LBB0_9:
	s_or_b64 exec, exec, s[2:3]
	v_cmp_gt_i32_e64 s[0:1], s14, v1
	s_and_saveexec_b64 s[2:3], s[0:1]
	s_cbranch_execz .LBB0_11
; %bb.10:
	v_add_u32_e32 v8, s6, v1
	v_mov_b32_e32 v9, 0
	v_lshlrev_b64 v[8:9], 3, v[8:9]
	v_mov_b32_e32 v1, s13
	v_add_co_u32_e64 v8, s[0:1], s12, v8
	v_addc_co_u32_e64 v9, s[0:1], v1, v9, s[0:1]
	global_load_dwordx2 v[8:9], v[8:9], off
.LBB0_11:
	s_or_b64 exec, exec, s[2:3]
	s_waitcnt vmcnt(0)
	v_cmp_nge_f64_e64 s[2:3], v[6:7], -s[8:9]
	v_cmp_nge_f64_e64 s[0:1], s[8:9], v[6:7]
	s_or_b64 s[0:1], s[2:3], s[0:1]
	v_cndmask_b32_e64 v15, 0, v7, s[0:1]
	v_cndmask_b32_e64 v14, 0, v6, s[0:1]
	v_cmp_nge_f64_e64 s[2:3], v[4:5], -s[8:9]
	v_cmp_nge_f64_e64 s[0:1], s[8:9], v[4:5]
	s_or_b64 s[0:1], s[2:3], s[0:1]
	v_cndmask_b32_e64 v11, 0, v5, s[0:1]
	v_cndmask_b32_e64 v10, 0, v4, s[0:1]
	;; [unrolled: 5-line block ×4, first 2 shown]
	s_and_saveexec_b64 s[0:1], vcc
	s_cbranch_execnz .LBB0_17
; %bb.12:
	s_or_b64 exec, exec, s[0:1]
	v_cmp_gt_i32_e32 vcc, s14, v0
	s_and_saveexec_b64 s[0:1], vcc
	s_cbranch_execnz .LBB0_18
.LBB0_13:
	s_or_b64 exec, exec, s[0:1]
	v_cmp_gt_i32_e32 vcc, s14, v0
	s_and_saveexec_b64 s[0:1], vcc
	s_cbranch_execnz .LBB0_19
.LBB0_14:
	s_or_b64 exec, exec, s[0:1]
	v_cmp_gt_i32_e32 vcc, s14, v0
	s_and_saveexec_b64 s[0:1], vcc
	s_cbranch_execz .LBB0_16
.LBB0_15:
	v_add_u32_e32 v0, s6, v0
	v_mov_b32_e32 v1, 0
	v_lshlrev_b64 v[0:1], 3, v[0:1]
	v_mov_b32_e32 v2, s11
	v_add_co_u32_e32 v0, vcc, s10, v0
	v_addc_co_u32_e32 v1, vcc, v2, v1, vcc
	global_store_dwordx2 v[0:1], v[4:5], off
.LBB0_16:
	s_endpgm
.LBB0_17:
	v_mov_b32_e32 v3, 0
	v_lshlrev_b64 v[2:3], 3, v[2:3]
	v_mov_b32_e32 v1, s11
	v_add_co_u32_e32 v2, vcc, s10, v2
	v_or_b32_e32 v0, 0x100, v0
	v_addc_co_u32_e32 v3, vcc, v1, v3, vcc
	global_store_dwordx2 v[2:3], v[14:15], off
	s_or_b64 exec, exec, s[0:1]
	v_cmp_gt_i32_e32 vcc, s14, v0
	s_and_saveexec_b64 s[0:1], vcc
	s_cbranch_execz .LBB0_13
.LBB0_18:
	v_add_u32_e32 v2, s6, v0
	v_mov_b32_e32 v3, 0
	v_lshlrev_b64 v[2:3], 3, v[2:3]
	v_mov_b32_e32 v1, s11
	v_add_co_u32_e32 v2, vcc, s10, v2
	v_addc_co_u32_e32 v3, vcc, v1, v3, vcc
	v_add_u32_e32 v0, 0x100, v0
	global_store_dwordx2 v[2:3], v[10:11], off
	s_or_b64 exec, exec, s[0:1]
	v_cmp_gt_i32_e32 vcc, s14, v0
	s_and_saveexec_b64 s[0:1], vcc
	s_cbranch_execz .LBB0_14
.LBB0_19:
	v_add_u32_e32 v2, s6, v0
	v_mov_b32_e32 v3, 0
	v_lshlrev_b64 v[2:3], 3, v[2:3]
	v_mov_b32_e32 v1, s11
	v_add_co_u32_e32 v2, vcc, s10, v2
	v_addc_co_u32_e32 v3, vcc, v1, v3, vcc
	v_add_u32_e32 v0, 0x100, v0
	global_store_dwordx2 v[2:3], v[6:7], off
	s_or_b64 exec, exec, s[0:1]
	v_cmp_gt_i32_e32 vcc, s14, v0
	s_and_saveexec_b64 s[0:1], vcc
	s_cbranch_execnz .LBB0_15
	s_branch .LBB0_16
	.section	.rodata,"a",@progbits
	.p2align	6, 0x0
	.amdhsa_kernel _ZN2at6native29vectorized_elementwise_kernelILi16EZZZNS0_12_GLOBAL__N_117hardshrink_kernelERNS_18TensorIteratorBaseERKN3c106ScalarEENKUlvE_clEvENKUlvE_clEvEUldE_St5arrayIPcLm2EEEEviT0_T1_
		.amdhsa_group_segment_fixed_size 0
		.amdhsa_private_segment_fixed_size 0
		.amdhsa_kernarg_size 32
		.amdhsa_user_sgpr_count 6
		.amdhsa_user_sgpr_private_segment_buffer 1
		.amdhsa_user_sgpr_dispatch_ptr 0
		.amdhsa_user_sgpr_queue_ptr 0
		.amdhsa_user_sgpr_kernarg_segment_ptr 1
		.amdhsa_user_sgpr_dispatch_id 0
		.amdhsa_user_sgpr_flat_scratch_init 0
		.amdhsa_user_sgpr_kernarg_preload_length 0
		.amdhsa_user_sgpr_kernarg_preload_offset 0
		.amdhsa_user_sgpr_private_segment_size 0
		.amdhsa_uses_dynamic_stack 0
		.amdhsa_system_sgpr_private_segment_wavefront_offset 0
		.amdhsa_system_sgpr_workgroup_id_x 1
		.amdhsa_system_sgpr_workgroup_id_y 0
		.amdhsa_system_sgpr_workgroup_id_z 0
		.amdhsa_system_sgpr_workgroup_info 0
		.amdhsa_system_vgpr_workitem_id 0
		.amdhsa_next_free_vgpr 16
		.amdhsa_next_free_sgpr 26
		.amdhsa_accum_offset 16
		.amdhsa_reserve_vcc 1
		.amdhsa_reserve_flat_scratch 0
		.amdhsa_float_round_mode_32 0
		.amdhsa_float_round_mode_16_64 0
		.amdhsa_float_denorm_mode_32 3
		.amdhsa_float_denorm_mode_16_64 3
		.amdhsa_dx10_clamp 1
		.amdhsa_ieee_mode 1
		.amdhsa_fp16_overflow 0
		.amdhsa_tg_split 0
		.amdhsa_exception_fp_ieee_invalid_op 0
		.amdhsa_exception_fp_denorm_src 0
		.amdhsa_exception_fp_ieee_div_zero 0
		.amdhsa_exception_fp_ieee_overflow 0
		.amdhsa_exception_fp_ieee_underflow 0
		.amdhsa_exception_fp_ieee_inexact 0
		.amdhsa_exception_int_div_zero 0
	.end_amdhsa_kernel
	.section	.text._ZN2at6native29vectorized_elementwise_kernelILi16EZZZNS0_12_GLOBAL__N_117hardshrink_kernelERNS_18TensorIteratorBaseERKN3c106ScalarEENKUlvE_clEvENKUlvE_clEvEUldE_St5arrayIPcLm2EEEEviT0_T1_,"axG",@progbits,_ZN2at6native29vectorized_elementwise_kernelILi16EZZZNS0_12_GLOBAL__N_117hardshrink_kernelERNS_18TensorIteratorBaseERKN3c106ScalarEENKUlvE_clEvENKUlvE_clEvEUldE_St5arrayIPcLm2EEEEviT0_T1_,comdat
.Lfunc_end0:
	.size	_ZN2at6native29vectorized_elementwise_kernelILi16EZZZNS0_12_GLOBAL__N_117hardshrink_kernelERNS_18TensorIteratorBaseERKN3c106ScalarEENKUlvE_clEvENKUlvE_clEvEUldE_St5arrayIPcLm2EEEEviT0_T1_, .Lfunc_end0-_ZN2at6native29vectorized_elementwise_kernelILi16EZZZNS0_12_GLOBAL__N_117hardshrink_kernelERNS_18TensorIteratorBaseERKN3c106ScalarEENKUlvE_clEvENKUlvE_clEvEUldE_St5arrayIPcLm2EEEEviT0_T1_
                                        ; -- End function
	.section	.AMDGPU.csdata,"",@progbits
; Kernel info:
; codeLenInByte = 996
; NumSgprs: 30
; NumVgprs: 16
; NumAgprs: 0
; TotalNumVgprs: 16
; ScratchSize: 0
; MemoryBound: 0
; FloatMode: 240
; IeeeMode: 1
; LDSByteSize: 0 bytes/workgroup (compile time only)
; SGPRBlocks: 3
; VGPRBlocks: 1
; NumSGPRsForWavesPerEU: 30
; NumVGPRsForWavesPerEU: 16
; AccumOffset: 16
; Occupancy: 8
; WaveLimiterHint : 0
; COMPUTE_PGM_RSRC2:SCRATCH_EN: 0
; COMPUTE_PGM_RSRC2:USER_SGPR: 6
; COMPUTE_PGM_RSRC2:TRAP_HANDLER: 0
; COMPUTE_PGM_RSRC2:TGID_X_EN: 1
; COMPUTE_PGM_RSRC2:TGID_Y_EN: 0
; COMPUTE_PGM_RSRC2:TGID_Z_EN: 0
; COMPUTE_PGM_RSRC2:TIDIG_COMP_CNT: 0
; COMPUTE_PGM_RSRC3_GFX90A:ACCUM_OFFSET: 3
; COMPUTE_PGM_RSRC3_GFX90A:TG_SPLIT: 0
	.section	.text._ZN2at6native29vectorized_elementwise_kernelILi8EZZZNS0_12_GLOBAL__N_117hardshrink_kernelERNS_18TensorIteratorBaseERKN3c106ScalarEENKUlvE_clEvENKUlvE_clEvEUldE_St5arrayIPcLm2EEEEviT0_T1_,"axG",@progbits,_ZN2at6native29vectorized_elementwise_kernelILi8EZZZNS0_12_GLOBAL__N_117hardshrink_kernelERNS_18TensorIteratorBaseERKN3c106ScalarEENKUlvE_clEvENKUlvE_clEvEUldE_St5arrayIPcLm2EEEEviT0_T1_,comdat
	.globl	_ZN2at6native29vectorized_elementwise_kernelILi8EZZZNS0_12_GLOBAL__N_117hardshrink_kernelERNS_18TensorIteratorBaseERKN3c106ScalarEENKUlvE_clEvENKUlvE_clEvEUldE_St5arrayIPcLm2EEEEviT0_T1_ ; -- Begin function _ZN2at6native29vectorized_elementwise_kernelILi8EZZZNS0_12_GLOBAL__N_117hardshrink_kernelERNS_18TensorIteratorBaseERKN3c106ScalarEENKUlvE_clEvENKUlvE_clEvEUldE_St5arrayIPcLm2EEEEviT0_T1_
	.p2align	8
	.type	_ZN2at6native29vectorized_elementwise_kernelILi8EZZZNS0_12_GLOBAL__N_117hardshrink_kernelERNS_18TensorIteratorBaseERKN3c106ScalarEENKUlvE_clEvENKUlvE_clEvEUldE_St5arrayIPcLm2EEEEviT0_T1_,@function
_ZN2at6native29vectorized_elementwise_kernelILi8EZZZNS0_12_GLOBAL__N_117hardshrink_kernelERNS_18TensorIteratorBaseERKN3c106ScalarEENKUlvE_clEvENKUlvE_clEvEUldE_St5arrayIPcLm2EEEEviT0_T1_: ; @_ZN2at6native29vectorized_elementwise_kernelILi8EZZZNS0_12_GLOBAL__N_117hardshrink_kernelERNS_18TensorIteratorBaseERKN3c106ScalarEENKUlvE_clEvENKUlvE_clEvEUldE_St5arrayIPcLm2EEEEviT0_T1_
; %bb.0:
	s_load_dword s0, s[4:5], 0x0
	s_load_dwordx4 s[8:11], s[4:5], 0x8
	s_load_dwordx2 s[12:13], s[4:5], 0x18
	s_lshl_b32 s6, s6, 10
	s_waitcnt lgkmcnt(0)
	s_sub_i32 s14, s0, s6
	s_cmpk_gt_i32 s14, 0x3ff
	s_mov_b64 s[0:1], -1
	s_cbranch_scc0 .LBB1_2
; %bb.1:
	s_ashr_i32 s7, s6, 31
	s_lshl_b64 s[16:17], s[6:7], 3
	s_add_u32 s0, s12, s16
	s_addc_u32 s1, s13, s17
	v_lshlrev_b32_e32 v1, 5, v0
	global_load_dwordx4 v[2:5], v1, s[0:1]
	global_load_dwordx4 v[6:9], v1, s[0:1] offset:16
	s_waitcnt vmcnt(1)
	v_cmp_nge_f64_e64 s[18:19], v[2:3], -s[8:9]
	v_cmp_nge_f64_e32 vcc, s[8:9], v[2:3]
	v_cmp_nge_f64_e64 s[20:21], v[4:5], -s[8:9]
	v_cmp_nge_f64_e64 s[0:1], s[8:9], v[4:5]
	s_waitcnt vmcnt(0)
	v_cmp_nge_f64_e64 s[22:23], v[6:7], -s[8:9]
	v_cmp_nge_f64_e64 s[2:3], s[8:9], v[6:7]
	v_cmp_nge_f64_e64 s[24:25], v[8:9], -s[8:9]
	v_cmp_nge_f64_e64 s[4:5], s[8:9], v[8:9]
	s_or_b64 vcc, s[18:19], vcc
	s_or_b64 s[0:1], s[20:21], s[0:1]
	s_or_b64 s[2:3], s[22:23], s[2:3]
	;; [unrolled: 1-line block ×3, first 2 shown]
	v_cndmask_b32_e64 v5, 0, v5, s[0:1]
	v_cndmask_b32_e64 v4, 0, v4, s[0:1]
	s_add_u32 s0, s10, s16
	v_cndmask_b32_e32 v3, 0, v3, vcc
	v_cndmask_b32_e32 v2, 0, v2, vcc
	s_addc_u32 s1, s11, s17
	v_cndmask_b32_e64 v7, 0, v7, s[2:3]
	v_cndmask_b32_e64 v9, 0, v9, s[4:5]
	;; [unrolled: 1-line block ×4, first 2 shown]
	global_store_dwordx4 v1, v[2:5], s[0:1]
	global_store_dwordx4 v1, v[6:9], s[0:1] offset:16
	s_mov_b64 s[0:1], 0
.LBB1_2:
	s_andn2_b64 vcc, exec, s[0:1]
	s_cbranch_vccnz .LBB1_16
; %bb.3:
	v_pk_mov_b32 v[4:5], 0, 0
	v_cmp_gt_i32_e32 vcc, s14, v0
	v_or_b32_e32 v2, s6, v0
	v_pk_mov_b32 v[6:7], v[4:5], v[4:5] op_sel:[0,1]
	v_mov_b32_e32 v1, v0
	s_and_saveexec_b64 s[2:3], vcc
	s_cbranch_execz .LBB1_5
; %bb.4:
	v_mov_b32_e32 v3, 0
	v_lshlrev_b64 v[6:7], 3, v[2:3]
	v_mov_b32_e32 v1, s13
	v_add_co_u32_e64 v6, s[0:1], s12, v6
	v_addc_co_u32_e64 v7, s[0:1], v1, v7, s[0:1]
	global_load_dwordx2 v[6:7], v[6:7], off
	v_or_b32_e32 v1, 0x100, v0
.LBB1_5:
	s_or_b64 exec, exec, s[2:3]
	v_cmp_gt_i32_e64 s[0:1], s14, v1
	s_and_saveexec_b64 s[2:3], s[0:1]
	s_cbranch_execz .LBB1_7
; %bb.6:
	v_add_u32_e32 v4, s6, v1
	v_mov_b32_e32 v5, 0
	v_lshlrev_b64 v[4:5], 3, v[4:5]
	v_mov_b32_e32 v3, s13
	v_add_co_u32_e64 v4, s[0:1], s12, v4
	v_addc_co_u32_e64 v5, s[0:1], v3, v5, s[0:1]
	global_load_dwordx2 v[4:5], v[4:5], off
	v_add_u32_e32 v1, 0x100, v1
.LBB1_7:
	s_or_b64 exec, exec, s[2:3]
	v_pk_mov_b32 v[8:9], 0, 0
	v_cmp_gt_i32_e64 s[0:1], s14, v1
	v_pk_mov_b32 v[12:13], v[8:9], v[8:9] op_sel:[0,1]
	s_and_saveexec_b64 s[2:3], s[0:1]
	s_cbranch_execz .LBB1_9
; %bb.8:
	v_add_u32_e32 v10, s6, v1
	v_mov_b32_e32 v11, 0
	v_lshlrev_b64 v[10:11], 3, v[10:11]
	v_mov_b32_e32 v3, s13
	v_add_co_u32_e64 v10, s[0:1], s12, v10
	v_addc_co_u32_e64 v11, s[0:1], v3, v11, s[0:1]
	global_load_dwordx2 v[12:13], v[10:11], off
	v_add_u32_e32 v1, 0x100, v1
.LBB1_9:
	s_or_b64 exec, exec, s[2:3]
	v_cmp_gt_i32_e64 s[0:1], s14, v1
	s_and_saveexec_b64 s[2:3], s[0:1]
	s_cbranch_execz .LBB1_11
; %bb.10:
	v_add_u32_e32 v8, s6, v1
	v_mov_b32_e32 v9, 0
	v_lshlrev_b64 v[8:9], 3, v[8:9]
	v_mov_b32_e32 v1, s13
	v_add_co_u32_e64 v8, s[0:1], s12, v8
	v_addc_co_u32_e64 v9, s[0:1], v1, v9, s[0:1]
	global_load_dwordx2 v[8:9], v[8:9], off
.LBB1_11:
	s_or_b64 exec, exec, s[2:3]
	s_waitcnt vmcnt(0)
	v_cmp_nge_f64_e64 s[2:3], v[6:7], -s[8:9]
	v_cmp_nge_f64_e64 s[0:1], s[8:9], v[6:7]
	s_or_b64 s[0:1], s[2:3], s[0:1]
	v_cndmask_b32_e64 v15, 0, v7, s[0:1]
	v_cndmask_b32_e64 v14, 0, v6, s[0:1]
	v_cmp_nge_f64_e64 s[2:3], v[4:5], -s[8:9]
	v_cmp_nge_f64_e64 s[0:1], s[8:9], v[4:5]
	s_or_b64 s[0:1], s[2:3], s[0:1]
	v_cndmask_b32_e64 v11, 0, v5, s[0:1]
	v_cndmask_b32_e64 v10, 0, v4, s[0:1]
	;; [unrolled: 5-line block ×4, first 2 shown]
	s_and_saveexec_b64 s[0:1], vcc
	s_cbranch_execnz .LBB1_17
; %bb.12:
	s_or_b64 exec, exec, s[0:1]
	v_cmp_gt_i32_e32 vcc, s14, v0
	s_and_saveexec_b64 s[0:1], vcc
	s_cbranch_execnz .LBB1_18
.LBB1_13:
	s_or_b64 exec, exec, s[0:1]
	v_cmp_gt_i32_e32 vcc, s14, v0
	s_and_saveexec_b64 s[0:1], vcc
	s_cbranch_execnz .LBB1_19
.LBB1_14:
	s_or_b64 exec, exec, s[0:1]
	v_cmp_gt_i32_e32 vcc, s14, v0
	s_and_saveexec_b64 s[0:1], vcc
	s_cbranch_execz .LBB1_16
.LBB1_15:
	v_add_u32_e32 v0, s6, v0
	v_mov_b32_e32 v1, 0
	v_lshlrev_b64 v[0:1], 3, v[0:1]
	v_mov_b32_e32 v2, s11
	v_add_co_u32_e32 v0, vcc, s10, v0
	v_addc_co_u32_e32 v1, vcc, v2, v1, vcc
	global_store_dwordx2 v[0:1], v[4:5], off
.LBB1_16:
	s_endpgm
.LBB1_17:
	v_mov_b32_e32 v3, 0
	v_lshlrev_b64 v[2:3], 3, v[2:3]
	v_mov_b32_e32 v1, s11
	v_add_co_u32_e32 v2, vcc, s10, v2
	v_or_b32_e32 v0, 0x100, v0
	v_addc_co_u32_e32 v3, vcc, v1, v3, vcc
	global_store_dwordx2 v[2:3], v[14:15], off
	s_or_b64 exec, exec, s[0:1]
	v_cmp_gt_i32_e32 vcc, s14, v0
	s_and_saveexec_b64 s[0:1], vcc
	s_cbranch_execz .LBB1_13
.LBB1_18:
	v_add_u32_e32 v2, s6, v0
	v_mov_b32_e32 v3, 0
	v_lshlrev_b64 v[2:3], 3, v[2:3]
	v_mov_b32_e32 v1, s11
	v_add_co_u32_e32 v2, vcc, s10, v2
	v_addc_co_u32_e32 v3, vcc, v1, v3, vcc
	v_add_u32_e32 v0, 0x100, v0
	global_store_dwordx2 v[2:3], v[10:11], off
	s_or_b64 exec, exec, s[0:1]
	v_cmp_gt_i32_e32 vcc, s14, v0
	s_and_saveexec_b64 s[0:1], vcc
	s_cbranch_execz .LBB1_14
.LBB1_19:
	v_add_u32_e32 v2, s6, v0
	v_mov_b32_e32 v3, 0
	v_lshlrev_b64 v[2:3], 3, v[2:3]
	v_mov_b32_e32 v1, s11
	v_add_co_u32_e32 v2, vcc, s10, v2
	v_addc_co_u32_e32 v3, vcc, v1, v3, vcc
	v_add_u32_e32 v0, 0x100, v0
	global_store_dwordx2 v[2:3], v[6:7], off
	s_or_b64 exec, exec, s[0:1]
	v_cmp_gt_i32_e32 vcc, s14, v0
	s_and_saveexec_b64 s[0:1], vcc
	s_cbranch_execnz .LBB1_15
	s_branch .LBB1_16
	.section	.rodata,"a",@progbits
	.p2align	6, 0x0
	.amdhsa_kernel _ZN2at6native29vectorized_elementwise_kernelILi8EZZZNS0_12_GLOBAL__N_117hardshrink_kernelERNS_18TensorIteratorBaseERKN3c106ScalarEENKUlvE_clEvENKUlvE_clEvEUldE_St5arrayIPcLm2EEEEviT0_T1_
		.amdhsa_group_segment_fixed_size 0
		.amdhsa_private_segment_fixed_size 0
		.amdhsa_kernarg_size 32
		.amdhsa_user_sgpr_count 6
		.amdhsa_user_sgpr_private_segment_buffer 1
		.amdhsa_user_sgpr_dispatch_ptr 0
		.amdhsa_user_sgpr_queue_ptr 0
		.amdhsa_user_sgpr_kernarg_segment_ptr 1
		.amdhsa_user_sgpr_dispatch_id 0
		.amdhsa_user_sgpr_flat_scratch_init 0
		.amdhsa_user_sgpr_kernarg_preload_length 0
		.amdhsa_user_sgpr_kernarg_preload_offset 0
		.amdhsa_user_sgpr_private_segment_size 0
		.amdhsa_uses_dynamic_stack 0
		.amdhsa_system_sgpr_private_segment_wavefront_offset 0
		.amdhsa_system_sgpr_workgroup_id_x 1
		.amdhsa_system_sgpr_workgroup_id_y 0
		.amdhsa_system_sgpr_workgroup_id_z 0
		.amdhsa_system_sgpr_workgroup_info 0
		.amdhsa_system_vgpr_workitem_id 0
		.amdhsa_next_free_vgpr 16
		.amdhsa_next_free_sgpr 26
		.amdhsa_accum_offset 16
		.amdhsa_reserve_vcc 1
		.amdhsa_reserve_flat_scratch 0
		.amdhsa_float_round_mode_32 0
		.amdhsa_float_round_mode_16_64 0
		.amdhsa_float_denorm_mode_32 3
		.amdhsa_float_denorm_mode_16_64 3
		.amdhsa_dx10_clamp 1
		.amdhsa_ieee_mode 1
		.amdhsa_fp16_overflow 0
		.amdhsa_tg_split 0
		.amdhsa_exception_fp_ieee_invalid_op 0
		.amdhsa_exception_fp_denorm_src 0
		.amdhsa_exception_fp_ieee_div_zero 0
		.amdhsa_exception_fp_ieee_overflow 0
		.amdhsa_exception_fp_ieee_underflow 0
		.amdhsa_exception_fp_ieee_inexact 0
		.amdhsa_exception_int_div_zero 0
	.end_amdhsa_kernel
	.section	.text._ZN2at6native29vectorized_elementwise_kernelILi8EZZZNS0_12_GLOBAL__N_117hardshrink_kernelERNS_18TensorIteratorBaseERKN3c106ScalarEENKUlvE_clEvENKUlvE_clEvEUldE_St5arrayIPcLm2EEEEviT0_T1_,"axG",@progbits,_ZN2at6native29vectorized_elementwise_kernelILi8EZZZNS0_12_GLOBAL__N_117hardshrink_kernelERNS_18TensorIteratorBaseERKN3c106ScalarEENKUlvE_clEvENKUlvE_clEvEUldE_St5arrayIPcLm2EEEEviT0_T1_,comdat
.Lfunc_end1:
	.size	_ZN2at6native29vectorized_elementwise_kernelILi8EZZZNS0_12_GLOBAL__N_117hardshrink_kernelERNS_18TensorIteratorBaseERKN3c106ScalarEENKUlvE_clEvENKUlvE_clEvEUldE_St5arrayIPcLm2EEEEviT0_T1_, .Lfunc_end1-_ZN2at6native29vectorized_elementwise_kernelILi8EZZZNS0_12_GLOBAL__N_117hardshrink_kernelERNS_18TensorIteratorBaseERKN3c106ScalarEENKUlvE_clEvENKUlvE_clEvEUldE_St5arrayIPcLm2EEEEviT0_T1_
                                        ; -- End function
	.section	.AMDGPU.csdata,"",@progbits
; Kernel info:
; codeLenInByte = 996
; NumSgprs: 30
; NumVgprs: 16
; NumAgprs: 0
; TotalNumVgprs: 16
; ScratchSize: 0
; MemoryBound: 0
; FloatMode: 240
; IeeeMode: 1
; LDSByteSize: 0 bytes/workgroup (compile time only)
; SGPRBlocks: 3
; VGPRBlocks: 1
; NumSGPRsForWavesPerEU: 30
; NumVGPRsForWavesPerEU: 16
; AccumOffset: 16
; Occupancy: 8
; WaveLimiterHint : 0
; COMPUTE_PGM_RSRC2:SCRATCH_EN: 0
; COMPUTE_PGM_RSRC2:USER_SGPR: 6
; COMPUTE_PGM_RSRC2:TRAP_HANDLER: 0
; COMPUTE_PGM_RSRC2:TGID_X_EN: 1
; COMPUTE_PGM_RSRC2:TGID_Y_EN: 0
; COMPUTE_PGM_RSRC2:TGID_Z_EN: 0
; COMPUTE_PGM_RSRC2:TIDIG_COMP_CNT: 0
; COMPUTE_PGM_RSRC3_GFX90A:ACCUM_OFFSET: 3
; COMPUTE_PGM_RSRC3_GFX90A:TG_SPLIT: 0
	.section	.text._ZN2at6native29vectorized_elementwise_kernelILi4EZZZNS0_12_GLOBAL__N_117hardshrink_kernelERNS_18TensorIteratorBaseERKN3c106ScalarEENKUlvE_clEvENKUlvE_clEvEUldE_St5arrayIPcLm2EEEEviT0_T1_,"axG",@progbits,_ZN2at6native29vectorized_elementwise_kernelILi4EZZZNS0_12_GLOBAL__N_117hardshrink_kernelERNS_18TensorIteratorBaseERKN3c106ScalarEENKUlvE_clEvENKUlvE_clEvEUldE_St5arrayIPcLm2EEEEviT0_T1_,comdat
	.globl	_ZN2at6native29vectorized_elementwise_kernelILi4EZZZNS0_12_GLOBAL__N_117hardshrink_kernelERNS_18TensorIteratorBaseERKN3c106ScalarEENKUlvE_clEvENKUlvE_clEvEUldE_St5arrayIPcLm2EEEEviT0_T1_ ; -- Begin function _ZN2at6native29vectorized_elementwise_kernelILi4EZZZNS0_12_GLOBAL__N_117hardshrink_kernelERNS_18TensorIteratorBaseERKN3c106ScalarEENKUlvE_clEvENKUlvE_clEvEUldE_St5arrayIPcLm2EEEEviT0_T1_
	.p2align	8
	.type	_ZN2at6native29vectorized_elementwise_kernelILi4EZZZNS0_12_GLOBAL__N_117hardshrink_kernelERNS_18TensorIteratorBaseERKN3c106ScalarEENKUlvE_clEvENKUlvE_clEvEUldE_St5arrayIPcLm2EEEEviT0_T1_,@function
_ZN2at6native29vectorized_elementwise_kernelILi4EZZZNS0_12_GLOBAL__N_117hardshrink_kernelERNS_18TensorIteratorBaseERKN3c106ScalarEENKUlvE_clEvENKUlvE_clEvEUldE_St5arrayIPcLm2EEEEviT0_T1_: ; @_ZN2at6native29vectorized_elementwise_kernelILi4EZZZNS0_12_GLOBAL__N_117hardshrink_kernelERNS_18TensorIteratorBaseERKN3c106ScalarEENKUlvE_clEvENKUlvE_clEvEUldE_St5arrayIPcLm2EEEEviT0_T1_
; %bb.0:
	s_load_dword s0, s[4:5], 0x0
	s_load_dwordx4 s[8:11], s[4:5], 0x8
	s_load_dwordx2 s[12:13], s[4:5], 0x18
	s_lshl_b32 s6, s6, 10
	s_waitcnt lgkmcnt(0)
	s_sub_i32 s14, s0, s6
	s_cmpk_gt_i32 s14, 0x3ff
	s_mov_b64 s[0:1], -1
	s_cbranch_scc0 .LBB2_2
; %bb.1:
	s_ashr_i32 s7, s6, 31
	s_lshl_b64 s[16:17], s[6:7], 3
	s_add_u32 s0, s12, s16
	s_addc_u32 s1, s13, s17
	v_lshlrev_b32_e32 v1, 5, v0
	global_load_dwordx4 v[2:5], v1, s[0:1]
	global_load_dwordx4 v[6:9], v1, s[0:1] offset:16
	s_waitcnt vmcnt(1)
	v_cmp_nge_f64_e64 s[18:19], v[2:3], -s[8:9]
	v_cmp_nge_f64_e32 vcc, s[8:9], v[2:3]
	v_cmp_nge_f64_e64 s[20:21], v[4:5], -s[8:9]
	v_cmp_nge_f64_e64 s[0:1], s[8:9], v[4:5]
	s_waitcnt vmcnt(0)
	v_cmp_nge_f64_e64 s[22:23], v[6:7], -s[8:9]
	v_cmp_nge_f64_e64 s[2:3], s[8:9], v[6:7]
	v_cmp_nge_f64_e64 s[24:25], v[8:9], -s[8:9]
	v_cmp_nge_f64_e64 s[4:5], s[8:9], v[8:9]
	s_or_b64 vcc, s[18:19], vcc
	s_or_b64 s[0:1], s[20:21], s[0:1]
	s_or_b64 s[2:3], s[22:23], s[2:3]
	;; [unrolled: 1-line block ×3, first 2 shown]
	v_cndmask_b32_e64 v5, 0, v5, s[0:1]
	v_cndmask_b32_e64 v4, 0, v4, s[0:1]
	s_add_u32 s0, s10, s16
	v_cndmask_b32_e32 v3, 0, v3, vcc
	v_cndmask_b32_e32 v2, 0, v2, vcc
	s_addc_u32 s1, s11, s17
	v_cndmask_b32_e64 v7, 0, v7, s[2:3]
	v_cndmask_b32_e64 v9, 0, v9, s[4:5]
	;; [unrolled: 1-line block ×4, first 2 shown]
	global_store_dwordx4 v1, v[2:5], s[0:1]
	global_store_dwordx4 v1, v[6:9], s[0:1] offset:16
	s_mov_b64 s[0:1], 0
.LBB2_2:
	s_andn2_b64 vcc, exec, s[0:1]
	s_cbranch_vccnz .LBB2_16
; %bb.3:
	v_pk_mov_b32 v[4:5], 0, 0
	v_cmp_gt_i32_e32 vcc, s14, v0
	v_or_b32_e32 v2, s6, v0
	v_pk_mov_b32 v[6:7], v[4:5], v[4:5] op_sel:[0,1]
	v_mov_b32_e32 v1, v0
	s_and_saveexec_b64 s[2:3], vcc
	s_cbranch_execz .LBB2_5
; %bb.4:
	v_mov_b32_e32 v3, 0
	v_lshlrev_b64 v[6:7], 3, v[2:3]
	v_mov_b32_e32 v1, s13
	v_add_co_u32_e64 v6, s[0:1], s12, v6
	v_addc_co_u32_e64 v7, s[0:1], v1, v7, s[0:1]
	global_load_dwordx2 v[6:7], v[6:7], off
	v_or_b32_e32 v1, 0x100, v0
.LBB2_5:
	s_or_b64 exec, exec, s[2:3]
	v_cmp_gt_i32_e64 s[0:1], s14, v1
	s_and_saveexec_b64 s[2:3], s[0:1]
	s_cbranch_execz .LBB2_7
; %bb.6:
	v_add_u32_e32 v4, s6, v1
	v_mov_b32_e32 v5, 0
	v_lshlrev_b64 v[4:5], 3, v[4:5]
	v_mov_b32_e32 v3, s13
	v_add_co_u32_e64 v4, s[0:1], s12, v4
	v_addc_co_u32_e64 v5, s[0:1], v3, v5, s[0:1]
	global_load_dwordx2 v[4:5], v[4:5], off
	v_add_u32_e32 v1, 0x100, v1
.LBB2_7:
	s_or_b64 exec, exec, s[2:3]
	v_pk_mov_b32 v[8:9], 0, 0
	v_cmp_gt_i32_e64 s[0:1], s14, v1
	v_pk_mov_b32 v[12:13], v[8:9], v[8:9] op_sel:[0,1]
	s_and_saveexec_b64 s[2:3], s[0:1]
	s_cbranch_execz .LBB2_9
; %bb.8:
	v_add_u32_e32 v10, s6, v1
	v_mov_b32_e32 v11, 0
	v_lshlrev_b64 v[10:11], 3, v[10:11]
	v_mov_b32_e32 v3, s13
	v_add_co_u32_e64 v10, s[0:1], s12, v10
	v_addc_co_u32_e64 v11, s[0:1], v3, v11, s[0:1]
	global_load_dwordx2 v[12:13], v[10:11], off
	v_add_u32_e32 v1, 0x100, v1
.LBB2_9:
	s_or_b64 exec, exec, s[2:3]
	v_cmp_gt_i32_e64 s[0:1], s14, v1
	s_and_saveexec_b64 s[2:3], s[0:1]
	s_cbranch_execz .LBB2_11
; %bb.10:
	v_add_u32_e32 v8, s6, v1
	v_mov_b32_e32 v9, 0
	v_lshlrev_b64 v[8:9], 3, v[8:9]
	v_mov_b32_e32 v1, s13
	v_add_co_u32_e64 v8, s[0:1], s12, v8
	v_addc_co_u32_e64 v9, s[0:1], v1, v9, s[0:1]
	global_load_dwordx2 v[8:9], v[8:9], off
.LBB2_11:
	s_or_b64 exec, exec, s[2:3]
	s_waitcnt vmcnt(0)
	v_cmp_nge_f64_e64 s[2:3], v[6:7], -s[8:9]
	v_cmp_nge_f64_e64 s[0:1], s[8:9], v[6:7]
	s_or_b64 s[0:1], s[2:3], s[0:1]
	v_cndmask_b32_e64 v15, 0, v7, s[0:1]
	v_cndmask_b32_e64 v14, 0, v6, s[0:1]
	v_cmp_nge_f64_e64 s[2:3], v[4:5], -s[8:9]
	v_cmp_nge_f64_e64 s[0:1], s[8:9], v[4:5]
	s_or_b64 s[0:1], s[2:3], s[0:1]
	v_cndmask_b32_e64 v11, 0, v5, s[0:1]
	v_cndmask_b32_e64 v10, 0, v4, s[0:1]
	;; [unrolled: 5-line block ×4, first 2 shown]
	s_and_saveexec_b64 s[0:1], vcc
	s_cbranch_execnz .LBB2_17
; %bb.12:
	s_or_b64 exec, exec, s[0:1]
	v_cmp_gt_i32_e32 vcc, s14, v0
	s_and_saveexec_b64 s[0:1], vcc
	s_cbranch_execnz .LBB2_18
.LBB2_13:
	s_or_b64 exec, exec, s[0:1]
	v_cmp_gt_i32_e32 vcc, s14, v0
	s_and_saveexec_b64 s[0:1], vcc
	s_cbranch_execnz .LBB2_19
.LBB2_14:
	s_or_b64 exec, exec, s[0:1]
	v_cmp_gt_i32_e32 vcc, s14, v0
	s_and_saveexec_b64 s[0:1], vcc
	s_cbranch_execz .LBB2_16
.LBB2_15:
	v_add_u32_e32 v0, s6, v0
	v_mov_b32_e32 v1, 0
	v_lshlrev_b64 v[0:1], 3, v[0:1]
	v_mov_b32_e32 v2, s11
	v_add_co_u32_e32 v0, vcc, s10, v0
	v_addc_co_u32_e32 v1, vcc, v2, v1, vcc
	global_store_dwordx2 v[0:1], v[4:5], off
.LBB2_16:
	s_endpgm
.LBB2_17:
	v_mov_b32_e32 v3, 0
	v_lshlrev_b64 v[2:3], 3, v[2:3]
	v_mov_b32_e32 v1, s11
	v_add_co_u32_e32 v2, vcc, s10, v2
	v_or_b32_e32 v0, 0x100, v0
	v_addc_co_u32_e32 v3, vcc, v1, v3, vcc
	global_store_dwordx2 v[2:3], v[14:15], off
	s_or_b64 exec, exec, s[0:1]
	v_cmp_gt_i32_e32 vcc, s14, v0
	s_and_saveexec_b64 s[0:1], vcc
	s_cbranch_execz .LBB2_13
.LBB2_18:
	v_add_u32_e32 v2, s6, v0
	v_mov_b32_e32 v3, 0
	v_lshlrev_b64 v[2:3], 3, v[2:3]
	v_mov_b32_e32 v1, s11
	v_add_co_u32_e32 v2, vcc, s10, v2
	v_addc_co_u32_e32 v3, vcc, v1, v3, vcc
	v_add_u32_e32 v0, 0x100, v0
	global_store_dwordx2 v[2:3], v[10:11], off
	s_or_b64 exec, exec, s[0:1]
	v_cmp_gt_i32_e32 vcc, s14, v0
	s_and_saveexec_b64 s[0:1], vcc
	s_cbranch_execz .LBB2_14
.LBB2_19:
	v_add_u32_e32 v2, s6, v0
	v_mov_b32_e32 v3, 0
	v_lshlrev_b64 v[2:3], 3, v[2:3]
	v_mov_b32_e32 v1, s11
	v_add_co_u32_e32 v2, vcc, s10, v2
	v_addc_co_u32_e32 v3, vcc, v1, v3, vcc
	v_add_u32_e32 v0, 0x100, v0
	global_store_dwordx2 v[2:3], v[6:7], off
	s_or_b64 exec, exec, s[0:1]
	v_cmp_gt_i32_e32 vcc, s14, v0
	s_and_saveexec_b64 s[0:1], vcc
	s_cbranch_execnz .LBB2_15
	s_branch .LBB2_16
	.section	.rodata,"a",@progbits
	.p2align	6, 0x0
	.amdhsa_kernel _ZN2at6native29vectorized_elementwise_kernelILi4EZZZNS0_12_GLOBAL__N_117hardshrink_kernelERNS_18TensorIteratorBaseERKN3c106ScalarEENKUlvE_clEvENKUlvE_clEvEUldE_St5arrayIPcLm2EEEEviT0_T1_
		.amdhsa_group_segment_fixed_size 0
		.amdhsa_private_segment_fixed_size 0
		.amdhsa_kernarg_size 32
		.amdhsa_user_sgpr_count 6
		.amdhsa_user_sgpr_private_segment_buffer 1
		.amdhsa_user_sgpr_dispatch_ptr 0
		.amdhsa_user_sgpr_queue_ptr 0
		.amdhsa_user_sgpr_kernarg_segment_ptr 1
		.amdhsa_user_sgpr_dispatch_id 0
		.amdhsa_user_sgpr_flat_scratch_init 0
		.amdhsa_user_sgpr_kernarg_preload_length 0
		.amdhsa_user_sgpr_kernarg_preload_offset 0
		.amdhsa_user_sgpr_private_segment_size 0
		.amdhsa_uses_dynamic_stack 0
		.amdhsa_system_sgpr_private_segment_wavefront_offset 0
		.amdhsa_system_sgpr_workgroup_id_x 1
		.amdhsa_system_sgpr_workgroup_id_y 0
		.amdhsa_system_sgpr_workgroup_id_z 0
		.amdhsa_system_sgpr_workgroup_info 0
		.amdhsa_system_vgpr_workitem_id 0
		.amdhsa_next_free_vgpr 16
		.amdhsa_next_free_sgpr 26
		.amdhsa_accum_offset 16
		.amdhsa_reserve_vcc 1
		.amdhsa_reserve_flat_scratch 0
		.amdhsa_float_round_mode_32 0
		.amdhsa_float_round_mode_16_64 0
		.amdhsa_float_denorm_mode_32 3
		.amdhsa_float_denorm_mode_16_64 3
		.amdhsa_dx10_clamp 1
		.amdhsa_ieee_mode 1
		.amdhsa_fp16_overflow 0
		.amdhsa_tg_split 0
		.amdhsa_exception_fp_ieee_invalid_op 0
		.amdhsa_exception_fp_denorm_src 0
		.amdhsa_exception_fp_ieee_div_zero 0
		.amdhsa_exception_fp_ieee_overflow 0
		.amdhsa_exception_fp_ieee_underflow 0
		.amdhsa_exception_fp_ieee_inexact 0
		.amdhsa_exception_int_div_zero 0
	.end_amdhsa_kernel
	.section	.text._ZN2at6native29vectorized_elementwise_kernelILi4EZZZNS0_12_GLOBAL__N_117hardshrink_kernelERNS_18TensorIteratorBaseERKN3c106ScalarEENKUlvE_clEvENKUlvE_clEvEUldE_St5arrayIPcLm2EEEEviT0_T1_,"axG",@progbits,_ZN2at6native29vectorized_elementwise_kernelILi4EZZZNS0_12_GLOBAL__N_117hardshrink_kernelERNS_18TensorIteratorBaseERKN3c106ScalarEENKUlvE_clEvENKUlvE_clEvEUldE_St5arrayIPcLm2EEEEviT0_T1_,comdat
.Lfunc_end2:
	.size	_ZN2at6native29vectorized_elementwise_kernelILi4EZZZNS0_12_GLOBAL__N_117hardshrink_kernelERNS_18TensorIteratorBaseERKN3c106ScalarEENKUlvE_clEvENKUlvE_clEvEUldE_St5arrayIPcLm2EEEEviT0_T1_, .Lfunc_end2-_ZN2at6native29vectorized_elementwise_kernelILi4EZZZNS0_12_GLOBAL__N_117hardshrink_kernelERNS_18TensorIteratorBaseERKN3c106ScalarEENKUlvE_clEvENKUlvE_clEvEUldE_St5arrayIPcLm2EEEEviT0_T1_
                                        ; -- End function
	.section	.AMDGPU.csdata,"",@progbits
; Kernel info:
; codeLenInByte = 996
; NumSgprs: 30
; NumVgprs: 16
; NumAgprs: 0
; TotalNumVgprs: 16
; ScratchSize: 0
; MemoryBound: 0
; FloatMode: 240
; IeeeMode: 1
; LDSByteSize: 0 bytes/workgroup (compile time only)
; SGPRBlocks: 3
; VGPRBlocks: 1
; NumSGPRsForWavesPerEU: 30
; NumVGPRsForWavesPerEU: 16
; AccumOffset: 16
; Occupancy: 8
; WaveLimiterHint : 0
; COMPUTE_PGM_RSRC2:SCRATCH_EN: 0
; COMPUTE_PGM_RSRC2:USER_SGPR: 6
; COMPUTE_PGM_RSRC2:TRAP_HANDLER: 0
; COMPUTE_PGM_RSRC2:TGID_X_EN: 1
; COMPUTE_PGM_RSRC2:TGID_Y_EN: 0
; COMPUTE_PGM_RSRC2:TGID_Z_EN: 0
; COMPUTE_PGM_RSRC2:TIDIG_COMP_CNT: 0
; COMPUTE_PGM_RSRC3_GFX90A:ACCUM_OFFSET: 3
; COMPUTE_PGM_RSRC3_GFX90A:TG_SPLIT: 0
	.section	.text._ZN2at6native29vectorized_elementwise_kernelILi2EZZZNS0_12_GLOBAL__N_117hardshrink_kernelERNS_18TensorIteratorBaseERKN3c106ScalarEENKUlvE_clEvENKUlvE_clEvEUldE_St5arrayIPcLm2EEEEviT0_T1_,"axG",@progbits,_ZN2at6native29vectorized_elementwise_kernelILi2EZZZNS0_12_GLOBAL__N_117hardshrink_kernelERNS_18TensorIteratorBaseERKN3c106ScalarEENKUlvE_clEvENKUlvE_clEvEUldE_St5arrayIPcLm2EEEEviT0_T1_,comdat
	.globl	_ZN2at6native29vectorized_elementwise_kernelILi2EZZZNS0_12_GLOBAL__N_117hardshrink_kernelERNS_18TensorIteratorBaseERKN3c106ScalarEENKUlvE_clEvENKUlvE_clEvEUldE_St5arrayIPcLm2EEEEviT0_T1_ ; -- Begin function _ZN2at6native29vectorized_elementwise_kernelILi2EZZZNS0_12_GLOBAL__N_117hardshrink_kernelERNS_18TensorIteratorBaseERKN3c106ScalarEENKUlvE_clEvENKUlvE_clEvEUldE_St5arrayIPcLm2EEEEviT0_T1_
	.p2align	8
	.type	_ZN2at6native29vectorized_elementwise_kernelILi2EZZZNS0_12_GLOBAL__N_117hardshrink_kernelERNS_18TensorIteratorBaseERKN3c106ScalarEENKUlvE_clEvENKUlvE_clEvEUldE_St5arrayIPcLm2EEEEviT0_T1_,@function
_ZN2at6native29vectorized_elementwise_kernelILi2EZZZNS0_12_GLOBAL__N_117hardshrink_kernelERNS_18TensorIteratorBaseERKN3c106ScalarEENKUlvE_clEvENKUlvE_clEvEUldE_St5arrayIPcLm2EEEEviT0_T1_: ; @_ZN2at6native29vectorized_elementwise_kernelILi2EZZZNS0_12_GLOBAL__N_117hardshrink_kernelERNS_18TensorIteratorBaseERKN3c106ScalarEENKUlvE_clEvENKUlvE_clEvEUldE_St5arrayIPcLm2EEEEviT0_T1_
; %bb.0:
	s_load_dword s0, s[4:5], 0x0
	s_load_dwordx4 s[8:11], s[4:5], 0x8
	s_load_dwordx2 s[12:13], s[4:5], 0x18
	s_lshl_b32 s2, s6, 10
	s_waitcnt lgkmcnt(0)
	s_sub_i32 s6, s0, s2
	s_cmpk_gt_i32 s6, 0x3ff
	s_mov_b64 s[0:1], -1
	s_cbranch_scc0 .LBB3_2
; %bb.1:
	s_ashr_i32 s3, s2, 31
	s_lshl_b64 s[4:5], s[2:3], 3
	s_add_u32 s0, s12, s4
	s_addc_u32 s1, s13, s5
	v_lshlrev_b32_e32 v1, 4, v0
	v_mov_b32_e32 v6, s1
	v_add_co_u32_e32 v7, vcc, s0, v1
	global_load_dwordx4 v[2:5], v1, s[0:1]
	v_addc_co_u32_e32 v8, vcc, 0, v6, vcc
	s_movk_i32 s0, 0x1000
	v_add_co_u32_e32 v6, vcc, s0, v7
	v_addc_co_u32_e32 v7, vcc, 0, v8, vcc
	global_load_dwordx4 v[6:9], v[6:7], off
	s_waitcnt vmcnt(1)
	v_cmp_nge_f64_e64 s[14:15], v[2:3], -s[8:9]
	v_cmp_nge_f64_e32 vcc, s[8:9], v[2:3]
	v_cmp_nge_f64_e64 s[16:17], v[4:5], -s[8:9]
	v_cmp_nge_f64_e64 s[0:1], s[8:9], v[4:5]
	s_or_b64 vcc, s[14:15], vcc
	s_or_b64 s[0:1], s[16:17], s[0:1]
	v_cndmask_b32_e32 v3, 0, v3, vcc
	v_cndmask_b32_e64 v5, 0, v5, s[0:1]
	v_cndmask_b32_e32 v2, 0, v2, vcc
	v_cndmask_b32_e64 v4, 0, v4, s[0:1]
	s_waitcnt vmcnt(0)
	v_cmp_nge_f64_e64 s[14:15], v[6:7], -s[8:9]
	v_cmp_nge_f64_e32 vcc, s[8:9], v[6:7]
	v_cmp_nge_f64_e64 s[16:17], v[8:9], -s[8:9]
	v_cmp_nge_f64_e64 s[0:1], s[8:9], v[8:9]
	s_or_b64 vcc, s[14:15], vcc
	s_or_b64 s[0:1], s[16:17], s[0:1]
	v_cndmask_b32_e64 v9, 0, v9, s[0:1]
	v_cndmask_b32_e64 v8, 0, v8, s[0:1]
	s_add_u32 s0, s10, s4
	s_addc_u32 s1, s11, s5
	v_cndmask_b32_e32 v7, 0, v7, vcc
	v_cndmask_b32_e32 v6, 0, v6, vcc
	v_mov_b32_e32 v10, s1
	global_store_dwordx4 v1, v[2:5], s[0:1]
	v_add_co_u32_e32 v1, vcc, s0, v1
	v_addc_co_u32_e32 v3, vcc, 0, v10, vcc
	v_add_co_u32_e32 v2, vcc, 0x1000, v1
	v_addc_co_u32_e32 v3, vcc, 0, v3, vcc
	global_store_dwordx4 v[2:3], v[6:9], off
	s_mov_b64 s[0:1], 0
.LBB3_2:
	s_andn2_b64 vcc, exec, s[0:1]
	s_cbranch_vccnz .LBB3_16
; %bb.3:
	v_pk_mov_b32 v[4:5], 0, 0
	v_cmp_gt_i32_e32 vcc, s6, v0
	v_or_b32_e32 v2, s2, v0
	v_pk_mov_b32 v[6:7], v[4:5], v[4:5] op_sel:[0,1]
	v_mov_b32_e32 v1, v0
	s_and_saveexec_b64 s[4:5], vcc
	s_cbranch_execz .LBB3_5
; %bb.4:
	v_mov_b32_e32 v3, 0
	v_lshlrev_b64 v[6:7], 3, v[2:3]
	v_mov_b32_e32 v1, s13
	v_add_co_u32_e64 v6, s[0:1], s12, v6
	v_addc_co_u32_e64 v7, s[0:1], v1, v7, s[0:1]
	global_load_dwordx2 v[6:7], v[6:7], off
	v_or_b32_e32 v1, 0x100, v0
.LBB3_5:
	s_or_b64 exec, exec, s[4:5]
	v_cmp_gt_i32_e64 s[0:1], s6, v1
	s_and_saveexec_b64 s[4:5], s[0:1]
	s_cbranch_execz .LBB3_7
; %bb.6:
	v_add_u32_e32 v4, s2, v1
	v_mov_b32_e32 v5, 0
	v_lshlrev_b64 v[4:5], 3, v[4:5]
	v_mov_b32_e32 v3, s13
	v_add_co_u32_e64 v4, s[0:1], s12, v4
	v_addc_co_u32_e64 v5, s[0:1], v3, v5, s[0:1]
	global_load_dwordx2 v[4:5], v[4:5], off
	v_add_u32_e32 v1, 0x100, v1
.LBB3_7:
	s_or_b64 exec, exec, s[4:5]
	v_pk_mov_b32 v[8:9], 0, 0
	v_cmp_gt_i32_e64 s[0:1], s6, v1
	v_pk_mov_b32 v[12:13], v[8:9], v[8:9] op_sel:[0,1]
	s_and_saveexec_b64 s[4:5], s[0:1]
	s_cbranch_execz .LBB3_9
; %bb.8:
	v_add_u32_e32 v10, s2, v1
	v_mov_b32_e32 v11, 0
	v_lshlrev_b64 v[10:11], 3, v[10:11]
	v_mov_b32_e32 v3, s13
	v_add_co_u32_e64 v10, s[0:1], s12, v10
	v_addc_co_u32_e64 v11, s[0:1], v3, v11, s[0:1]
	global_load_dwordx2 v[12:13], v[10:11], off
	v_add_u32_e32 v1, 0x100, v1
.LBB3_9:
	s_or_b64 exec, exec, s[4:5]
	v_cmp_gt_i32_e64 s[0:1], s6, v1
	s_and_saveexec_b64 s[4:5], s[0:1]
	s_cbranch_execz .LBB3_11
; %bb.10:
	v_add_u32_e32 v8, s2, v1
	v_mov_b32_e32 v9, 0
	v_lshlrev_b64 v[8:9], 3, v[8:9]
	v_mov_b32_e32 v1, s13
	v_add_co_u32_e64 v8, s[0:1], s12, v8
	v_addc_co_u32_e64 v9, s[0:1], v1, v9, s[0:1]
	global_load_dwordx2 v[8:9], v[8:9], off
.LBB3_11:
	s_or_b64 exec, exec, s[4:5]
	s_waitcnt vmcnt(0)
	v_cmp_nge_f64_e64 s[4:5], v[6:7], -s[8:9]
	v_cmp_nge_f64_e64 s[0:1], s[8:9], v[6:7]
	s_or_b64 s[0:1], s[4:5], s[0:1]
	v_cndmask_b32_e64 v15, 0, v7, s[0:1]
	v_cndmask_b32_e64 v14, 0, v6, s[0:1]
	v_cmp_nge_f64_e64 s[4:5], v[4:5], -s[8:9]
	v_cmp_nge_f64_e64 s[0:1], s[8:9], v[4:5]
	s_or_b64 s[0:1], s[4:5], s[0:1]
	v_cndmask_b32_e64 v11, 0, v5, s[0:1]
	v_cndmask_b32_e64 v10, 0, v4, s[0:1]
	;; [unrolled: 5-line block ×4, first 2 shown]
	s_and_saveexec_b64 s[0:1], vcc
	s_cbranch_execnz .LBB3_17
; %bb.12:
	s_or_b64 exec, exec, s[0:1]
	v_cmp_gt_i32_e32 vcc, s6, v0
	s_and_saveexec_b64 s[0:1], vcc
	s_cbranch_execnz .LBB3_18
.LBB3_13:
	s_or_b64 exec, exec, s[0:1]
	v_cmp_gt_i32_e32 vcc, s6, v0
	s_and_saveexec_b64 s[0:1], vcc
	s_cbranch_execnz .LBB3_19
.LBB3_14:
	s_or_b64 exec, exec, s[0:1]
	v_cmp_gt_i32_e32 vcc, s6, v0
	s_and_saveexec_b64 s[0:1], vcc
	s_cbranch_execz .LBB3_16
.LBB3_15:
	v_add_u32_e32 v0, s2, v0
	v_mov_b32_e32 v1, 0
	v_lshlrev_b64 v[0:1], 3, v[0:1]
	v_mov_b32_e32 v2, s11
	v_add_co_u32_e32 v0, vcc, s10, v0
	v_addc_co_u32_e32 v1, vcc, v2, v1, vcc
	global_store_dwordx2 v[0:1], v[4:5], off
.LBB3_16:
	s_endpgm
.LBB3_17:
	v_mov_b32_e32 v3, 0
	v_lshlrev_b64 v[2:3], 3, v[2:3]
	v_mov_b32_e32 v1, s11
	v_add_co_u32_e32 v2, vcc, s10, v2
	v_or_b32_e32 v0, 0x100, v0
	v_addc_co_u32_e32 v3, vcc, v1, v3, vcc
	global_store_dwordx2 v[2:3], v[14:15], off
	s_or_b64 exec, exec, s[0:1]
	v_cmp_gt_i32_e32 vcc, s6, v0
	s_and_saveexec_b64 s[0:1], vcc
	s_cbranch_execz .LBB3_13
.LBB3_18:
	v_add_u32_e32 v2, s2, v0
	v_mov_b32_e32 v3, 0
	v_lshlrev_b64 v[2:3], 3, v[2:3]
	v_mov_b32_e32 v1, s11
	v_add_co_u32_e32 v2, vcc, s10, v2
	v_addc_co_u32_e32 v3, vcc, v1, v3, vcc
	v_add_u32_e32 v0, 0x100, v0
	global_store_dwordx2 v[2:3], v[10:11], off
	s_or_b64 exec, exec, s[0:1]
	v_cmp_gt_i32_e32 vcc, s6, v0
	s_and_saveexec_b64 s[0:1], vcc
	s_cbranch_execz .LBB3_14
.LBB3_19:
	v_add_u32_e32 v2, s2, v0
	v_mov_b32_e32 v3, 0
	v_lshlrev_b64 v[2:3], 3, v[2:3]
	v_mov_b32_e32 v1, s11
	v_add_co_u32_e32 v2, vcc, s10, v2
	v_addc_co_u32_e32 v3, vcc, v1, v3, vcc
	v_add_u32_e32 v0, 0x100, v0
	global_store_dwordx2 v[2:3], v[6:7], off
	s_or_b64 exec, exec, s[0:1]
	v_cmp_gt_i32_e32 vcc, s6, v0
	s_and_saveexec_b64 s[0:1], vcc
	s_cbranch_execnz .LBB3_15
	s_branch .LBB3_16
	.section	.rodata,"a",@progbits
	.p2align	6, 0x0
	.amdhsa_kernel _ZN2at6native29vectorized_elementwise_kernelILi2EZZZNS0_12_GLOBAL__N_117hardshrink_kernelERNS_18TensorIteratorBaseERKN3c106ScalarEENKUlvE_clEvENKUlvE_clEvEUldE_St5arrayIPcLm2EEEEviT0_T1_
		.amdhsa_group_segment_fixed_size 0
		.amdhsa_private_segment_fixed_size 0
		.amdhsa_kernarg_size 32
		.amdhsa_user_sgpr_count 6
		.amdhsa_user_sgpr_private_segment_buffer 1
		.amdhsa_user_sgpr_dispatch_ptr 0
		.amdhsa_user_sgpr_queue_ptr 0
		.amdhsa_user_sgpr_kernarg_segment_ptr 1
		.amdhsa_user_sgpr_dispatch_id 0
		.amdhsa_user_sgpr_flat_scratch_init 0
		.amdhsa_user_sgpr_kernarg_preload_length 0
		.amdhsa_user_sgpr_kernarg_preload_offset 0
		.amdhsa_user_sgpr_private_segment_size 0
		.amdhsa_uses_dynamic_stack 0
		.amdhsa_system_sgpr_private_segment_wavefront_offset 0
		.amdhsa_system_sgpr_workgroup_id_x 1
		.amdhsa_system_sgpr_workgroup_id_y 0
		.amdhsa_system_sgpr_workgroup_id_z 0
		.amdhsa_system_sgpr_workgroup_info 0
		.amdhsa_system_vgpr_workitem_id 0
		.amdhsa_next_free_vgpr 16
		.amdhsa_next_free_sgpr 18
		.amdhsa_accum_offset 16
		.amdhsa_reserve_vcc 1
		.amdhsa_reserve_flat_scratch 0
		.amdhsa_float_round_mode_32 0
		.amdhsa_float_round_mode_16_64 0
		.amdhsa_float_denorm_mode_32 3
		.amdhsa_float_denorm_mode_16_64 3
		.amdhsa_dx10_clamp 1
		.amdhsa_ieee_mode 1
		.amdhsa_fp16_overflow 0
		.amdhsa_tg_split 0
		.amdhsa_exception_fp_ieee_invalid_op 0
		.amdhsa_exception_fp_denorm_src 0
		.amdhsa_exception_fp_ieee_div_zero 0
		.amdhsa_exception_fp_ieee_overflow 0
		.amdhsa_exception_fp_ieee_underflow 0
		.amdhsa_exception_fp_ieee_inexact 0
		.amdhsa_exception_int_div_zero 0
	.end_amdhsa_kernel
	.section	.text._ZN2at6native29vectorized_elementwise_kernelILi2EZZZNS0_12_GLOBAL__N_117hardshrink_kernelERNS_18TensorIteratorBaseERKN3c106ScalarEENKUlvE_clEvENKUlvE_clEvEUldE_St5arrayIPcLm2EEEEviT0_T1_,"axG",@progbits,_ZN2at6native29vectorized_elementwise_kernelILi2EZZZNS0_12_GLOBAL__N_117hardshrink_kernelERNS_18TensorIteratorBaseERKN3c106ScalarEENKUlvE_clEvENKUlvE_clEvEUldE_St5arrayIPcLm2EEEEviT0_T1_,comdat
.Lfunc_end3:
	.size	_ZN2at6native29vectorized_elementwise_kernelILi2EZZZNS0_12_GLOBAL__N_117hardshrink_kernelERNS_18TensorIteratorBaseERKN3c106ScalarEENKUlvE_clEvENKUlvE_clEvEUldE_St5arrayIPcLm2EEEEviT0_T1_, .Lfunc_end3-_ZN2at6native29vectorized_elementwise_kernelILi2EZZZNS0_12_GLOBAL__N_117hardshrink_kernelERNS_18TensorIteratorBaseERKN3c106ScalarEENKUlvE_clEvENKUlvE_clEvEUldE_St5arrayIPcLm2EEEEviT0_T1_
                                        ; -- End function
	.section	.AMDGPU.csdata,"",@progbits
; Kernel info:
; codeLenInByte = 1032
; NumSgprs: 22
; NumVgprs: 16
; NumAgprs: 0
; TotalNumVgprs: 16
; ScratchSize: 0
; MemoryBound: 0
; FloatMode: 240
; IeeeMode: 1
; LDSByteSize: 0 bytes/workgroup (compile time only)
; SGPRBlocks: 2
; VGPRBlocks: 1
; NumSGPRsForWavesPerEU: 22
; NumVGPRsForWavesPerEU: 16
; AccumOffset: 16
; Occupancy: 8
; WaveLimiterHint : 1
; COMPUTE_PGM_RSRC2:SCRATCH_EN: 0
; COMPUTE_PGM_RSRC2:USER_SGPR: 6
; COMPUTE_PGM_RSRC2:TRAP_HANDLER: 0
; COMPUTE_PGM_RSRC2:TGID_X_EN: 1
; COMPUTE_PGM_RSRC2:TGID_Y_EN: 0
; COMPUTE_PGM_RSRC2:TGID_Z_EN: 0
; COMPUTE_PGM_RSRC2:TIDIG_COMP_CNT: 0
; COMPUTE_PGM_RSRC3_GFX90A:ACCUM_OFFSET: 3
; COMPUTE_PGM_RSRC3_GFX90A:TG_SPLIT: 0
	.section	.text._ZN2at6native27unrolled_elementwise_kernelIZZZNS0_12_GLOBAL__N_117hardshrink_kernelERNS_18TensorIteratorBaseERKN3c106ScalarEENKUlvE_clEvENKUlvE_clEvEUldE_St5arrayIPcLm2EELi4E23TrivialOffsetCalculatorILi1EjESG_NS0_6memory15LoadWithoutCastENSH_16StoreWithoutCastEEEviT_T0_T2_T3_T4_T5_,"axG",@progbits,_ZN2at6native27unrolled_elementwise_kernelIZZZNS0_12_GLOBAL__N_117hardshrink_kernelERNS_18TensorIteratorBaseERKN3c106ScalarEENKUlvE_clEvENKUlvE_clEvEUldE_St5arrayIPcLm2EELi4E23TrivialOffsetCalculatorILi1EjESG_NS0_6memory15LoadWithoutCastENSH_16StoreWithoutCastEEEviT_T0_T2_T3_T4_T5_,comdat
	.globl	_ZN2at6native27unrolled_elementwise_kernelIZZZNS0_12_GLOBAL__N_117hardshrink_kernelERNS_18TensorIteratorBaseERKN3c106ScalarEENKUlvE_clEvENKUlvE_clEvEUldE_St5arrayIPcLm2EELi4E23TrivialOffsetCalculatorILi1EjESG_NS0_6memory15LoadWithoutCastENSH_16StoreWithoutCastEEEviT_T0_T2_T3_T4_T5_ ; -- Begin function _ZN2at6native27unrolled_elementwise_kernelIZZZNS0_12_GLOBAL__N_117hardshrink_kernelERNS_18TensorIteratorBaseERKN3c106ScalarEENKUlvE_clEvENKUlvE_clEvEUldE_St5arrayIPcLm2EELi4E23TrivialOffsetCalculatorILi1EjESG_NS0_6memory15LoadWithoutCastENSH_16StoreWithoutCastEEEviT_T0_T2_T3_T4_T5_
	.p2align	8
	.type	_ZN2at6native27unrolled_elementwise_kernelIZZZNS0_12_GLOBAL__N_117hardshrink_kernelERNS_18TensorIteratorBaseERKN3c106ScalarEENKUlvE_clEvENKUlvE_clEvEUldE_St5arrayIPcLm2EELi4E23TrivialOffsetCalculatorILi1EjESG_NS0_6memory15LoadWithoutCastENSH_16StoreWithoutCastEEEviT_T0_T2_T3_T4_T5_,@function
_ZN2at6native27unrolled_elementwise_kernelIZZZNS0_12_GLOBAL__N_117hardshrink_kernelERNS_18TensorIteratorBaseERKN3c106ScalarEENKUlvE_clEvENKUlvE_clEvEUldE_St5arrayIPcLm2EELi4E23TrivialOffsetCalculatorILi1EjESG_NS0_6memory15LoadWithoutCastENSH_16StoreWithoutCastEEEviT_T0_T2_T3_T4_T5_: ; @_ZN2at6native27unrolled_elementwise_kernelIZZZNS0_12_GLOBAL__N_117hardshrink_kernelERNS_18TensorIteratorBaseERKN3c106ScalarEENKUlvE_clEvENKUlvE_clEvEUldE_St5arrayIPcLm2EELi4E23TrivialOffsetCalculatorILi1EjESG_NS0_6memory15LoadWithoutCastENSH_16StoreWithoutCastEEEviT_T0_T2_T3_T4_T5_
; %bb.0:
	s_load_dword s0, s[4:5], 0x0
	s_load_dwordx2 s[2:3], s[4:5], 0x18
	s_lshl_b32 s10, s6, 10
	v_pk_mov_b32 v[4:5], 0, 0
	v_or_b32_e32 v2, s10, v0
	s_waitcnt lgkmcnt(0)
	s_sub_i32 s11, s0, s10
	v_cmp_gt_i32_e32 vcc, s11, v0
	v_pk_mov_b32 v[6:7], v[4:5], v[4:5] op_sel:[0,1]
	v_mov_b32_e32 v1, v0
	s_and_saveexec_b64 s[6:7], vcc
	s_cbranch_execz .LBB4_2
; %bb.1:
	v_mov_b32_e32 v3, 0
	v_lshlrev_b64 v[6:7], 3, v[2:3]
	v_mov_b32_e32 v1, s3
	v_add_co_u32_e64 v6, s[0:1], s2, v6
	v_addc_co_u32_e64 v7, s[0:1], v1, v7, s[0:1]
	global_load_dwordx2 v[6:7], v[6:7], off
	v_or_b32_e32 v1, 0x100, v0
.LBB4_2:
	s_or_b64 exec, exec, s[6:7]
	s_load_dwordx4 s[4:7], s[4:5], 0x8
	v_cmp_gt_i32_e64 s[0:1], s11, v1
	s_and_saveexec_b64 s[8:9], s[0:1]
	s_cbranch_execz .LBB4_4
; %bb.3:
	v_add_u32_e32 v4, s10, v1
	v_mov_b32_e32 v5, 0
	v_lshlrev_b64 v[4:5], 3, v[4:5]
	v_mov_b32_e32 v3, s3
	v_add_co_u32_e64 v4, s[0:1], s2, v4
	v_addc_co_u32_e64 v5, s[0:1], v3, v5, s[0:1]
	global_load_dwordx2 v[4:5], v[4:5], off
	v_add_u32_e32 v1, 0x100, v1
.LBB4_4:
	s_or_b64 exec, exec, s[8:9]
	v_pk_mov_b32 v[8:9], 0, 0
	v_cmp_gt_i32_e64 s[0:1], s11, v1
	v_pk_mov_b32 v[12:13], v[8:9], v[8:9] op_sel:[0,1]
	s_and_saveexec_b64 s[8:9], s[0:1]
	s_cbranch_execz .LBB4_6
; %bb.5:
	v_add_u32_e32 v10, s10, v1
	v_mov_b32_e32 v11, 0
	v_lshlrev_b64 v[10:11], 3, v[10:11]
	v_mov_b32_e32 v3, s3
	v_add_co_u32_e64 v10, s[0:1], s2, v10
	v_addc_co_u32_e64 v11, s[0:1], v3, v11, s[0:1]
	global_load_dwordx2 v[12:13], v[10:11], off
	v_add_u32_e32 v1, 0x100, v1
.LBB4_6:
	s_or_b64 exec, exec, s[8:9]
	v_cmp_gt_i32_e64 s[0:1], s11, v1
	s_and_saveexec_b64 s[8:9], s[0:1]
	s_cbranch_execz .LBB4_8
; %bb.7:
	v_add_u32_e32 v8, s10, v1
	v_mov_b32_e32 v9, 0
	v_lshlrev_b64 v[8:9], 3, v[8:9]
	v_mov_b32_e32 v1, s3
	v_add_co_u32_e64 v8, s[0:1], s2, v8
	v_addc_co_u32_e64 v9, s[0:1], v1, v9, s[0:1]
	global_load_dwordx2 v[8:9], v[8:9], off
.LBB4_8:
	s_or_b64 exec, exec, s[8:9]
	s_waitcnt vmcnt(0) lgkmcnt(0)
	v_cmp_nge_f64_e64 s[2:3], v[6:7], -s[4:5]
	v_cmp_nge_f64_e64 s[0:1], s[4:5], v[6:7]
	s_or_b64 s[0:1], s[2:3], s[0:1]
	v_cndmask_b32_e64 v15, 0, v7, s[0:1]
	v_cndmask_b32_e64 v14, 0, v6, s[0:1]
	v_cmp_nge_f64_e64 s[2:3], v[4:5], -s[4:5]
	v_cmp_nge_f64_e64 s[0:1], s[4:5], v[4:5]
	s_or_b64 s[0:1], s[2:3], s[0:1]
	v_cndmask_b32_e64 v11, 0, v5, s[0:1]
	v_cndmask_b32_e64 v10, 0, v4, s[0:1]
	;; [unrolled: 5-line block ×4, first 2 shown]
	s_and_saveexec_b64 s[0:1], vcc
	s_cbranch_execnz .LBB4_13
; %bb.9:
	s_or_b64 exec, exec, s[0:1]
	v_cmp_gt_i32_e32 vcc, s11, v0
	s_and_saveexec_b64 s[0:1], vcc
	s_cbranch_execnz .LBB4_14
.LBB4_10:
	s_or_b64 exec, exec, s[0:1]
	v_cmp_gt_i32_e32 vcc, s11, v0
	s_and_saveexec_b64 s[0:1], vcc
	s_cbranch_execnz .LBB4_15
.LBB4_11:
	s_or_b64 exec, exec, s[0:1]
	v_cmp_gt_i32_e32 vcc, s11, v0
	s_and_saveexec_b64 s[0:1], vcc
	s_cbranch_execnz .LBB4_16
.LBB4_12:
	s_endpgm
.LBB4_13:
	v_mov_b32_e32 v3, 0
	v_lshlrev_b64 v[2:3], 3, v[2:3]
	v_mov_b32_e32 v1, s7
	v_add_co_u32_e32 v2, vcc, s6, v2
	v_or_b32_e32 v0, 0x100, v0
	v_addc_co_u32_e32 v3, vcc, v1, v3, vcc
	global_store_dwordx2 v[2:3], v[14:15], off
	s_or_b64 exec, exec, s[0:1]
	v_cmp_gt_i32_e32 vcc, s11, v0
	s_and_saveexec_b64 s[0:1], vcc
	s_cbranch_execz .LBB4_10
.LBB4_14:
	v_add_u32_e32 v2, 0x100, v0
	v_add_u32_e32 v0, s10, v0
	v_mov_b32_e32 v1, 0
	v_lshlrev_b64 v[0:1], 3, v[0:1]
	v_mov_b32_e32 v3, s7
	v_add_co_u32_e32 v0, vcc, s6, v0
	v_addc_co_u32_e32 v1, vcc, v3, v1, vcc
	global_store_dwordx2 v[0:1], v[10:11], off
	v_mov_b32_e32 v0, v2
	s_or_b64 exec, exec, s[0:1]
	v_cmp_gt_i32_e32 vcc, s11, v0
	s_and_saveexec_b64 s[0:1], vcc
	s_cbranch_execz .LBB4_11
.LBB4_15:
	v_add_u32_e32 v2, 0x100, v0
	v_add_u32_e32 v0, s10, v0
	v_mov_b32_e32 v1, 0
	v_lshlrev_b64 v[0:1], 3, v[0:1]
	v_mov_b32_e32 v3, s7
	v_add_co_u32_e32 v0, vcc, s6, v0
	v_addc_co_u32_e32 v1, vcc, v3, v1, vcc
	global_store_dwordx2 v[0:1], v[6:7], off
	v_mov_b32_e32 v0, v2
	s_or_b64 exec, exec, s[0:1]
	v_cmp_gt_i32_e32 vcc, s11, v0
	s_and_saveexec_b64 s[0:1], vcc
	s_cbranch_execz .LBB4_12
.LBB4_16:
	v_add_u32_e32 v0, s10, v0
	v_mov_b32_e32 v1, 0
	v_lshlrev_b64 v[0:1], 3, v[0:1]
	v_mov_b32_e32 v2, s7
	v_add_co_u32_e32 v0, vcc, s6, v0
	v_addc_co_u32_e32 v1, vcc, v2, v1, vcc
	global_store_dwordx2 v[0:1], v[4:5], off
	s_endpgm
	.section	.rodata,"a",@progbits
	.p2align	6, 0x0
	.amdhsa_kernel _ZN2at6native27unrolled_elementwise_kernelIZZZNS0_12_GLOBAL__N_117hardshrink_kernelERNS_18TensorIteratorBaseERKN3c106ScalarEENKUlvE_clEvENKUlvE_clEvEUldE_St5arrayIPcLm2EELi4E23TrivialOffsetCalculatorILi1EjESG_NS0_6memory15LoadWithoutCastENSH_16StoreWithoutCastEEEviT_T0_T2_T3_T4_T5_
		.amdhsa_group_segment_fixed_size 0
		.amdhsa_private_segment_fixed_size 0
		.amdhsa_kernarg_size 36
		.amdhsa_user_sgpr_count 6
		.amdhsa_user_sgpr_private_segment_buffer 1
		.amdhsa_user_sgpr_dispatch_ptr 0
		.amdhsa_user_sgpr_queue_ptr 0
		.amdhsa_user_sgpr_kernarg_segment_ptr 1
		.amdhsa_user_sgpr_dispatch_id 0
		.amdhsa_user_sgpr_flat_scratch_init 0
		.amdhsa_user_sgpr_kernarg_preload_length 0
		.amdhsa_user_sgpr_kernarg_preload_offset 0
		.amdhsa_user_sgpr_private_segment_size 0
		.amdhsa_uses_dynamic_stack 0
		.amdhsa_system_sgpr_private_segment_wavefront_offset 0
		.amdhsa_system_sgpr_workgroup_id_x 1
		.amdhsa_system_sgpr_workgroup_id_y 0
		.amdhsa_system_sgpr_workgroup_id_z 0
		.amdhsa_system_sgpr_workgroup_info 0
		.amdhsa_system_vgpr_workitem_id 0
		.amdhsa_next_free_vgpr 16
		.amdhsa_next_free_sgpr 12
		.amdhsa_accum_offset 16
		.amdhsa_reserve_vcc 1
		.amdhsa_reserve_flat_scratch 0
		.amdhsa_float_round_mode_32 0
		.amdhsa_float_round_mode_16_64 0
		.amdhsa_float_denorm_mode_32 3
		.amdhsa_float_denorm_mode_16_64 3
		.amdhsa_dx10_clamp 1
		.amdhsa_ieee_mode 1
		.amdhsa_fp16_overflow 0
		.amdhsa_tg_split 0
		.amdhsa_exception_fp_ieee_invalid_op 0
		.amdhsa_exception_fp_denorm_src 0
		.amdhsa_exception_fp_ieee_div_zero 0
		.amdhsa_exception_fp_ieee_overflow 0
		.amdhsa_exception_fp_ieee_underflow 0
		.amdhsa_exception_fp_ieee_inexact 0
		.amdhsa_exception_int_div_zero 0
	.end_amdhsa_kernel
	.section	.text._ZN2at6native27unrolled_elementwise_kernelIZZZNS0_12_GLOBAL__N_117hardshrink_kernelERNS_18TensorIteratorBaseERKN3c106ScalarEENKUlvE_clEvENKUlvE_clEvEUldE_St5arrayIPcLm2EELi4E23TrivialOffsetCalculatorILi1EjESG_NS0_6memory15LoadWithoutCastENSH_16StoreWithoutCastEEEviT_T0_T2_T3_T4_T5_,"axG",@progbits,_ZN2at6native27unrolled_elementwise_kernelIZZZNS0_12_GLOBAL__N_117hardshrink_kernelERNS_18TensorIteratorBaseERKN3c106ScalarEENKUlvE_clEvENKUlvE_clEvEUldE_St5arrayIPcLm2EELi4E23TrivialOffsetCalculatorILi1EjESG_NS0_6memory15LoadWithoutCastENSH_16StoreWithoutCastEEEviT_T0_T2_T3_T4_T5_,comdat
.Lfunc_end4:
	.size	_ZN2at6native27unrolled_elementwise_kernelIZZZNS0_12_GLOBAL__N_117hardshrink_kernelERNS_18TensorIteratorBaseERKN3c106ScalarEENKUlvE_clEvENKUlvE_clEvEUldE_St5arrayIPcLm2EELi4E23TrivialOffsetCalculatorILi1EjESG_NS0_6memory15LoadWithoutCastENSH_16StoreWithoutCastEEEviT_T0_T2_T3_T4_T5_, .Lfunc_end4-_ZN2at6native27unrolled_elementwise_kernelIZZZNS0_12_GLOBAL__N_117hardshrink_kernelERNS_18TensorIteratorBaseERKN3c106ScalarEENKUlvE_clEvENKUlvE_clEvEUldE_St5arrayIPcLm2EELi4E23TrivialOffsetCalculatorILi1EjESG_NS0_6memory15LoadWithoutCastENSH_16StoreWithoutCastEEEviT_T0_T2_T3_T4_T5_
                                        ; -- End function
	.section	.AMDGPU.csdata,"",@progbits
; Kernel info:
; codeLenInByte = 780
; NumSgprs: 16
; NumVgprs: 16
; NumAgprs: 0
; TotalNumVgprs: 16
; ScratchSize: 0
; MemoryBound: 0
; FloatMode: 240
; IeeeMode: 1
; LDSByteSize: 0 bytes/workgroup (compile time only)
; SGPRBlocks: 1
; VGPRBlocks: 1
; NumSGPRsForWavesPerEU: 16
; NumVGPRsForWavesPerEU: 16
; AccumOffset: 16
; Occupancy: 8
; WaveLimiterHint : 0
; COMPUTE_PGM_RSRC2:SCRATCH_EN: 0
; COMPUTE_PGM_RSRC2:USER_SGPR: 6
; COMPUTE_PGM_RSRC2:TRAP_HANDLER: 0
; COMPUTE_PGM_RSRC2:TGID_X_EN: 1
; COMPUTE_PGM_RSRC2:TGID_Y_EN: 0
; COMPUTE_PGM_RSRC2:TGID_Z_EN: 0
; COMPUTE_PGM_RSRC2:TIDIG_COMP_CNT: 0
; COMPUTE_PGM_RSRC3_GFX90A:ACCUM_OFFSET: 3
; COMPUTE_PGM_RSRC3_GFX90A:TG_SPLIT: 0
	.section	.text._ZN2at6native32elementwise_kernel_manual_unrollILi128ELi4EZNS0_22gpu_kernel_impl_nocastIZZZNS0_12_GLOBAL__N_117hardshrink_kernelERNS_18TensorIteratorBaseERKN3c106ScalarEENKUlvE_clEvENKUlvE_clEvEUldE_EEvS5_RKT_EUlibE_EEviT1_,"axG",@progbits,_ZN2at6native32elementwise_kernel_manual_unrollILi128ELi4EZNS0_22gpu_kernel_impl_nocastIZZZNS0_12_GLOBAL__N_117hardshrink_kernelERNS_18TensorIteratorBaseERKN3c106ScalarEENKUlvE_clEvENKUlvE_clEvEUldE_EEvS5_RKT_EUlibE_EEviT1_,comdat
	.globl	_ZN2at6native32elementwise_kernel_manual_unrollILi128ELi4EZNS0_22gpu_kernel_impl_nocastIZZZNS0_12_GLOBAL__N_117hardshrink_kernelERNS_18TensorIteratorBaseERKN3c106ScalarEENKUlvE_clEvENKUlvE_clEvEUldE_EEvS5_RKT_EUlibE_EEviT1_ ; -- Begin function _ZN2at6native32elementwise_kernel_manual_unrollILi128ELi4EZNS0_22gpu_kernel_impl_nocastIZZZNS0_12_GLOBAL__N_117hardshrink_kernelERNS_18TensorIteratorBaseERKN3c106ScalarEENKUlvE_clEvENKUlvE_clEvEUldE_EEvS5_RKT_EUlibE_EEviT1_
	.p2align	8
	.type	_ZN2at6native32elementwise_kernel_manual_unrollILi128ELi4EZNS0_22gpu_kernel_impl_nocastIZZZNS0_12_GLOBAL__N_117hardshrink_kernelERNS_18TensorIteratorBaseERKN3c106ScalarEENKUlvE_clEvENKUlvE_clEvEUldE_EEvS5_RKT_EUlibE_EEviT1_,@function
_ZN2at6native32elementwise_kernel_manual_unrollILi128ELi4EZNS0_22gpu_kernel_impl_nocastIZZZNS0_12_GLOBAL__N_117hardshrink_kernelERNS_18TensorIteratorBaseERKN3c106ScalarEENKUlvE_clEvENKUlvE_clEvEUldE_EEvS5_RKT_EUlibE_EEviT1_: ; @_ZN2at6native32elementwise_kernel_manual_unrollILi128ELi4EZNS0_22gpu_kernel_impl_nocastIZZZNS0_12_GLOBAL__N_117hardshrink_kernelERNS_18TensorIteratorBaseERKN3c106ScalarEENKUlvE_clEvENKUlvE_clEvEUldE_EEvS5_RKT_EUlibE_EEviT1_
; %bb.0:
	s_load_dword s59, s[4:5], 0x0
	s_load_dword s33, s[4:5], 0x8
	s_or_b32 s4, s4, 8
	v_lshl_or_b32 v8, s6, 9, v0
	v_or_b32_e32 v15, 0x180, v8
	s_waitcnt lgkmcnt(0)
	v_cmp_le_i32_e32 vcc, s59, v15
	s_add_i32 s58, s33, -1
	s_cmp_gt_u32 s58, 1
	s_cselect_b64 s[6:7], -1, 0
	s_and_saveexec_b64 s[0:1], vcc
	s_xor_b64 s[34:35], exec, s[0:1]
	s_cbranch_execz .LBB5_8
; %bb.1:
	s_load_dwordx4 s[24:27], s[4:5], 0x4
	s_load_dwordx2 s[42:43], s[4:5], 0x14
	s_load_dwordx2 s[40:41], s[4:5], 0x158
	s_load_dwordx4 s[28:31], s[4:5], 0xc4
	s_load_dwordx4 s[0:3], s[4:5], 0x148
	s_cmp_lg_u32 s33, 0
	s_cselect_b64 s[48:49], -1, 0
	s_add_u32 s46, s4, 0xc4
	s_addc_u32 s47, s5, 0
	s_min_u32 s60, s58, 15
	s_cmp_gt_u32 s33, 1
	s_cselect_b64 s[44:45], -1, 0
	v_cmp_gt_i32_e32 vcc, s59, v8
	s_and_saveexec_b64 s[50:51], vcc
	s_cbranch_execz .LBB5_16
; %bb.2:
	s_andn2_b64 vcc, exec, s[6:7]
	s_cbranch_vccnz .LBB5_24
; %bb.3:
	s_mov_b32 s52, 0
	s_andn2_b64 vcc, exec, s[48:49]
	v_mov_b32_e32 v2, 0
	v_mov_b32_e32 v0, 0
	s_cbranch_vccnz .LBB5_80
; %bb.4:
	s_add_i32 s61, s60, 1
	s_cmp_eq_u32 s58, 2
	s_cbranch_scc1 .LBB5_75
; %bb.5:
	s_and_b32 s52, s61, 28
	s_mov_b32 s53, 0
	v_mov_b32_e32 v0, 0
	s_mov_b64 s[54:55], s[4:5]
	s_mov_b64 s[56:57], s[46:47]
	v_mov_b32_e32 v3, v8
	v_mov_b32_e32 v2, 0
.LBB5_6:                                ; =>This Inner Loop Header: Depth=1
	s_load_dwordx8 s[16:23], s[54:55], 0x4
	s_load_dwordx4 s[36:39], s[54:55], 0x24
	s_load_dwordx8 s[8:15], s[56:57], 0x0
	s_add_u32 s54, s54, 48
	s_addc_u32 s55, s55, 0
	s_waitcnt lgkmcnt(0)
	v_mul_hi_u32 v1, s17, v3
	v_add_u32_e32 v1, v3, v1
	v_lshrrev_b32_e32 v1, s18, v1
	v_mul_lo_u32 v4, v1, s16
	v_mul_hi_u32 v5, s20, v1
	v_sub_u32_e32 v3, v3, v4
	v_add_u32_e32 v4, v1, v5
	v_lshrrev_b32_e32 v4, s21, v4
	v_mul_lo_u32 v6, v4, s19
	v_mul_hi_u32 v7, s23, v4
	v_sub_u32_e32 v1, v1, v6
	v_add_u32_e32 v6, v4, v7
	v_mul_lo_u32 v5, v3, s9
	v_mul_lo_u32 v3, v3, s8
	v_mul_lo_u32 v7, v1, s11
	v_mul_lo_u32 v1, v1, s10
	v_lshrrev_b32_e32 v6, s36, v6
	v_add3_u32 v0, v3, v0, v1
	v_mul_hi_u32 v3, s38, v6
	v_add_u32_e32 v3, v6, v3
	v_lshrrev_b32_e32 v3, s39, v3
	s_add_i32 s53, s53, 4
	v_add3_u32 v1, v5, v2, v7
	v_mul_lo_u32 v2, v6, s22
	v_mul_lo_u32 v5, v3, s37
	s_add_u32 s56, s56, 32
	v_sub_u32_e32 v2, v4, v2
	v_sub_u32_e32 v5, v6, v5
	s_addc_u32 s57, s57, 0
	v_mul_lo_u32 v4, v2, s12
	v_mul_lo_u32 v2, v2, s13
	;; [unrolled: 1-line block ×4, first 2 shown]
	s_cmp_lg_u32 s52, s53
	v_add3_u32 v2, v2, v1, v5
	v_add3_u32 v0, v4, v0, v6
	s_cbranch_scc1 .LBB5_6
; %bb.7:
	v_mov_b32_e32 v1, v2
	s_branch .LBB5_76
.LBB5_8:
	s_andn2_saveexec_b64 s[0:1], s[34:35]
	s_cbranch_execz .LBB5_103
.LBB5_9:
	v_cndmask_b32_e64 v0, 0, 1, s[6:7]
	v_cmp_ne_u32_e64 s[0:1], 1, v0
	s_andn2_b64 vcc, exec, s[6:7]
	s_cbranch_vccnz .LBB5_23
; %bb.10:
	s_mov_b32 s2, 0
	s_cmp_lg_u32 s33, 0
	v_mov_b32_e32 v2, 0
	v_mov_b32_e32 v0, 0
	s_cbranch_scc0 .LBB5_15
; %bb.11:
	s_min_u32 s30, s58, 15
	s_add_i32 s30, s30, 1
	s_cmp_eq_u32 s58, 2
	s_cbranch_scc1 .LBB5_26
; %bb.12:
	s_add_u32 s6, s4, 0xc4
	s_addc_u32 s7, s5, 0
	s_and_b32 s2, s30, 28
	s_mov_b32 s3, 0
	v_mov_b32_e32 v0, 0
	s_mov_b64 s[28:29], s[4:5]
	v_mov_b32_e32 v3, v8
	v_mov_b32_e32 v2, 0
.LBB5_13:                               ; =>This Inner Loop Header: Depth=1
	s_load_dwordx8 s[16:23], s[28:29], 0x4
	s_load_dwordx4 s[24:27], s[28:29], 0x24
	s_load_dwordx8 s[8:15], s[6:7], 0x0
	s_add_u32 s28, s28, 48
	s_addc_u32 s29, s29, 0
	s_waitcnt lgkmcnt(0)
	v_mul_hi_u32 v1, s17, v3
	v_add_u32_e32 v1, v3, v1
	v_lshrrev_b32_e32 v1, s18, v1
	v_mul_lo_u32 v4, v1, s16
	v_mul_hi_u32 v5, s20, v1
	v_sub_u32_e32 v3, v3, v4
	v_add_u32_e32 v4, v1, v5
	v_lshrrev_b32_e32 v4, s21, v4
	v_mul_lo_u32 v6, v4, s19
	v_mul_hi_u32 v7, s23, v4
	v_sub_u32_e32 v1, v1, v6
	v_add_u32_e32 v6, v4, v7
	v_mul_lo_u32 v5, v3, s9
	v_mul_lo_u32 v3, v3, s8
	;; [unrolled: 1-line block ×4, first 2 shown]
	v_lshrrev_b32_e32 v6, s24, v6
	v_add3_u32 v0, v3, v0, v1
	v_mul_hi_u32 v3, s26, v6
	v_add_u32_e32 v3, v6, v3
	v_lshrrev_b32_e32 v3, s27, v3
	s_add_i32 s3, s3, 4
	v_add3_u32 v1, v5, v2, v7
	v_mul_lo_u32 v2, v6, s22
	v_mul_lo_u32 v5, v3, s25
	s_add_u32 s6, s6, 32
	v_sub_u32_e32 v2, v4, v2
	v_sub_u32_e32 v5, v6, v5
	s_addc_u32 s7, s7, 0
	v_mul_lo_u32 v4, v2, s12
	v_mul_lo_u32 v2, v2, s13
	;; [unrolled: 1-line block ×4, first 2 shown]
	s_cmp_lg_u32 s2, s3
	v_add3_u32 v2, v2, v1, v5
	v_add3_u32 v0, v4, v0, v6
	s_cbranch_scc1 .LBB5_13
; %bb.14:
	v_mov_b32_e32 v1, v2
	s_and_b32 s8, s30, 3
	s_cmp_eq_u32 s8, 0
	s_cbranch_scc0 .LBB5_27
.LBB5_15:
	s_cbranch_execz .LBB5_30
	s_branch .LBB5_32
.LBB5_16:
	s_or_b64 exec, exec, s[50:51]
	v_cmp_gt_i32_e32 vcc, s59, v8
	s_and_saveexec_b64 s[50:51], vcc
	s_cbranch_execz .LBB5_84
.LBB5_17:
	s_andn2_b64 vcc, exec, s[6:7]
	s_cbranch_vccnz .LBB5_25
; %bb.18:
	s_mov_b32 s52, 0
	s_andn2_b64 vcc, exec, s[48:49]
	v_mov_b32_e32 v2, 0
	v_mov_b32_e32 v0, 0
	s_cbranch_vccnz .LBB5_97
; %bb.19:
	s_add_i32 s61, s60, 1
	s_cmp_eq_u32 s58, 2
	s_cbranch_scc1 .LBB5_92
; %bb.20:
	s_and_b32 s52, s61, 28
	s_mov_b32 s53, 0
	v_mov_b32_e32 v0, 0
	s_mov_b64 s[54:55], s[4:5]
	s_mov_b64 s[56:57], s[46:47]
	v_mov_b32_e32 v3, v8
	v_mov_b32_e32 v2, 0
.LBB5_21:                               ; =>This Inner Loop Header: Depth=1
	s_load_dwordx8 s[16:23], s[54:55], 0x4
	s_load_dwordx4 s[36:39], s[54:55], 0x24
	s_load_dwordx8 s[8:15], s[56:57], 0x0
	s_add_u32 s54, s54, 48
	s_addc_u32 s55, s55, 0
	s_waitcnt lgkmcnt(0)
	v_mul_hi_u32 v1, s17, v3
	v_add_u32_e32 v1, v3, v1
	v_lshrrev_b32_e32 v1, s18, v1
	v_mul_lo_u32 v4, v1, s16
	v_mul_hi_u32 v5, s20, v1
	v_sub_u32_e32 v3, v3, v4
	v_add_u32_e32 v4, v1, v5
	v_lshrrev_b32_e32 v4, s21, v4
	v_mul_lo_u32 v6, v4, s19
	v_mul_hi_u32 v7, s23, v4
	v_sub_u32_e32 v1, v1, v6
	v_add_u32_e32 v6, v4, v7
	v_mul_lo_u32 v5, v3, s9
	v_mul_lo_u32 v3, v3, s8
	;; [unrolled: 1-line block ×4, first 2 shown]
	v_lshrrev_b32_e32 v6, s36, v6
	v_add3_u32 v0, v3, v0, v1
	v_mul_hi_u32 v3, s38, v6
	v_add_u32_e32 v3, v6, v3
	v_lshrrev_b32_e32 v3, s39, v3
	s_add_i32 s53, s53, 4
	v_add3_u32 v1, v5, v2, v7
	v_mul_lo_u32 v2, v6, s22
	v_mul_lo_u32 v5, v3, s37
	s_add_u32 s56, s56, 32
	v_sub_u32_e32 v2, v4, v2
	v_sub_u32_e32 v5, v6, v5
	s_addc_u32 s57, s57, 0
	v_mul_lo_u32 v4, v2, s12
	v_mul_lo_u32 v2, v2, s13
	;; [unrolled: 1-line block ×4, first 2 shown]
	s_cmp_eq_u32 s52, s53
	v_add3_u32 v2, v2, v1, v5
	v_add3_u32 v0, v4, v0, v6
	s_cbranch_scc0 .LBB5_21
; %bb.22:
	v_mov_b32_e32 v1, v2
	s_branch .LBB5_93
.LBB5_23:
                                        ; implicit-def: $vgpr2
                                        ; implicit-def: $vgpr0
	s_branch .LBB5_30
.LBB5_24:
                                        ; implicit-def: $vgpr2
                                        ; implicit-def: $vgpr0
	s_branch .LBB5_81
.LBB5_25:
                                        ; implicit-def: $vgpr2
                                        ; implicit-def: $vgpr0
	s_branch .LBB5_98
.LBB5_26:
	s_mov_b32 s3, s2
	v_pk_mov_b32 v[0:1], s[2:3], s[2:3] op_sel:[0,1]
                                        ; implicit-def: $vgpr2
	v_mov_b32_e32 v3, v8
	s_and_b32 s8, s30, 3
	s_cmp_eq_u32 s8, 0
	s_cbranch_scc1 .LBB5_15
.LBB5_27:
	s_lshl_b32 s3, s2, 3
	s_add_u32 s3, s3, s4
	s_addc_u32 s7, 0, s5
	s_add_u32 s6, s3, 0xc4
	s_addc_u32 s7, s7, 0
	s_mul_i32 s2, s2, 12
	s_add_u32 s2, s4, s2
	s_addc_u32 s3, 0, s5
.LBB5_28:                               ; =>This Inner Loop Header: Depth=1
	s_load_dwordx2 s[10:11], s[2:3], 0x4
	s_load_dword s9, s[2:3], 0xc
	s_load_dwordx2 s[12:13], s[6:7], 0x0
	v_mov_b32_e32 v2, v1
	s_add_u32 s2, s2, 12
	s_waitcnt lgkmcnt(0)
	v_mul_hi_u32 v1, s11, v3
	v_add_u32_e32 v1, v3, v1
	v_lshrrev_b32_e32 v1, s9, v1
	s_addc_u32 s3, s3, 0
	v_mul_lo_u32 v4, v1, s10
	s_add_u32 s6, s6, 8
	v_sub_u32_e32 v6, v3, v4
	v_mov_b32_e32 v3, v1
	s_addc_u32 s7, s7, 0
	s_add_i32 s8, s8, -1
	v_mad_u64_u32 v[4:5], s[10:11], v6, s13, v[2:3]
	v_mad_u64_u32 v[0:1], s[10:11], v6, s12, v[0:1]
	s_cmp_lg_u32 s8, 0
	v_mov_b32_e32 v1, v4
	s_cbranch_scc1 .LBB5_28
; %bb.29:
	v_mov_b32_e32 v2, v1
	s_cbranch_execnz .LBB5_32
.LBB5_30:
	s_load_dwordx4 s[8:11], s[4:5], 0x4
	s_load_dwordx2 s[2:3], s[4:5], 0xc4
	s_cmp_lt_u32 s33, 2
	s_waitcnt lgkmcnt(0)
	v_mul_hi_u32 v0, s9, v8
	v_add_u32_e32 v0, v8, v0
	v_lshrrev_b32_e32 v1, s10, v0
	v_mul_lo_u32 v0, v1, s8
	v_sub_u32_e32 v0, v8, v0
	v_mul_lo_u32 v2, v0, s3
	v_mul_lo_u32 v0, v0, s2
	s_cbranch_scc1 .LBB5_32
; %bb.31:
	s_load_dwordx4 s[8:11], s[4:5], 0x10
	s_load_dwordx2 s[2:3], s[4:5], 0xcc
	s_waitcnt lgkmcnt(0)
	v_mul_hi_u32 v3, s9, v1
	v_add_u32_e32 v3, v1, v3
	v_lshrrev_b32_e32 v3, s10, v3
	v_mul_lo_u32 v3, v3, s8
	v_sub_u32_e32 v3, v1, v3
	v_mad_u64_u32 v[0:1], s[6:7], v3, s2, v[0:1]
	v_mad_u64_u32 v[2:3], s[2:3], v3, s3, v[2:3]
.LBB5_32:
	s_and_b64 vcc, exec, s[0:1]
	v_add_u32_e32 v1, 0x80, v8
	s_cbranch_vccnz .LBB5_39
; %bb.33:
	s_mov_b32 s2, 0
	s_cmp_lg_u32 s33, 0
	v_mov_b32_e32 v6, 0
	v_mov_b32_e32 v4, 0
	s_cbranch_scc0 .LBB5_38
; %bb.34:
	s_min_u32 s30, s58, 15
	s_add_i32 s30, s30, 1
	s_cmp_eq_u32 s58, 2
	s_cbranch_scc1 .LBB5_40
; %bb.35:
	s_add_u32 s6, s4, 0xc4
	s_addc_u32 s7, s5, 0
	s_and_b32 s2, s30, 28
	s_mov_b32 s3, 0
	v_mov_b32_e32 v4, 0
	s_mov_b64 s[28:29], s[4:5]
	v_mov_b32_e32 v3, v1
	v_mov_b32_e32 v6, 0
.LBB5_36:                               ; =>This Inner Loop Header: Depth=1
	s_load_dwordx8 s[16:23], s[28:29], 0x4
	s_load_dwordx4 s[24:27], s[28:29], 0x24
	s_load_dwordx8 s[8:15], s[6:7], 0x0
	s_add_u32 s28, s28, 48
	s_addc_u32 s29, s29, 0
	s_waitcnt lgkmcnt(0)
	v_mul_hi_u32 v5, s17, v3
	v_add_u32_e32 v5, v3, v5
	v_lshrrev_b32_e32 v5, s18, v5
	v_mul_lo_u32 v7, v5, s16
	v_mul_hi_u32 v9, s20, v5
	v_sub_u32_e32 v3, v3, v7
	v_add_u32_e32 v7, v5, v9
	v_lshrrev_b32_e32 v7, s21, v7
	v_mul_lo_u32 v10, v7, s19
	v_mul_hi_u32 v11, s23, v7
	v_sub_u32_e32 v5, v5, v10
	v_add_u32_e32 v10, v7, v11
	v_mul_lo_u32 v9, v3, s9
	v_mul_lo_u32 v3, v3, s8
	;; [unrolled: 1-line block ×4, first 2 shown]
	v_lshrrev_b32_e32 v10, s24, v10
	v_add3_u32 v4, v3, v4, v5
	v_add3_u32 v5, v9, v6, v11
	v_mul_lo_u32 v3, v10, s22
	v_mul_hi_u32 v6, s26, v10
	v_sub_u32_e32 v3, v7, v3
	v_add_u32_e32 v6, v10, v6
	v_mul_lo_u32 v7, v3, s12
	v_mul_lo_u32 v9, v3, s13
	v_lshrrev_b32_e32 v3, s27, v6
	s_add_i32 s3, s3, 4
	v_mul_lo_u32 v6, v3, s25
	s_add_u32 s6, s6, 32
	v_sub_u32_e32 v6, v10, v6
	s_addc_u32 s7, s7, 0
	v_mul_lo_u32 v10, v6, s14
	v_mul_lo_u32 v6, v6, s15
	s_cmp_lg_u32 s2, s3
	v_add3_u32 v6, v9, v5, v6
	v_add3_u32 v4, v7, v4, v10
	s_cbranch_scc1 .LBB5_36
; %bb.37:
	v_mov_b32_e32 v5, v6
	s_and_b32 s8, s30, 3
	s_cmp_eq_u32 s8, 0
	s_cbranch_scc0 .LBB5_41
.LBB5_38:
	s_cbranch_execz .LBB5_44
	s_branch .LBB5_46
.LBB5_39:
                                        ; implicit-def: $vgpr6
                                        ; implicit-def: $vgpr4
	s_branch .LBB5_44
.LBB5_40:
	s_mov_b32 s3, s2
	v_pk_mov_b32 v[4:5], s[2:3], s[2:3] op_sel:[0,1]
                                        ; implicit-def: $vgpr6
	v_mov_b32_e32 v3, v1
	s_and_b32 s8, s30, 3
	s_cmp_eq_u32 s8, 0
	s_cbranch_scc1 .LBB5_38
.LBB5_41:
	s_lshl_b32 s3, s2, 3
	s_add_u32 s3, s3, s4
	s_addc_u32 s7, 0, s5
	s_add_u32 s6, s3, 0xc4
	s_addc_u32 s7, s7, 0
	s_mul_i32 s2, s2, 12
	s_add_u32 s2, s4, s2
	s_addc_u32 s3, 0, s5
.LBB5_42:                               ; =>This Inner Loop Header: Depth=1
	s_load_dwordx2 s[10:11], s[2:3], 0x4
	s_load_dword s9, s[2:3], 0xc
	s_load_dwordx2 s[12:13], s[6:7], 0x0
	v_mov_b32_e32 v6, v5
	s_add_u32 s2, s2, 12
	s_waitcnt lgkmcnt(0)
	v_mul_hi_u32 v5, s11, v3
	v_add_u32_e32 v5, v3, v5
	v_lshrrev_b32_e32 v5, s9, v5
	s_addc_u32 s3, s3, 0
	v_mul_lo_u32 v7, v5, s10
	s_add_u32 s6, s6, 8
	v_sub_u32_e32 v9, v3, v7
	s_addc_u32 s7, s7, 0
	s_add_i32 s8, s8, -1
	v_mov_b32_e32 v3, v5
	v_mad_u64_u32 v[6:7], s[10:11], v9, s13, v[6:7]
	v_mad_u64_u32 v[4:5], s[10:11], v9, s12, v[4:5]
	s_cmp_lg_u32 s8, 0
	v_mov_b32_e32 v5, v6
	s_cbranch_scc1 .LBB5_42
; %bb.43:
	v_mov_b32_e32 v6, v5
	s_cbranch_execnz .LBB5_46
.LBB5_44:
	s_load_dwordx4 s[8:11], s[4:5], 0x4
	s_load_dwordx2 s[2:3], s[4:5], 0xc4
	s_cmp_lt_u32 s33, 2
	s_waitcnt lgkmcnt(0)
	v_mul_hi_u32 v3, s9, v1
	v_add_u32_e32 v3, v1, v3
	v_lshrrev_b32_e32 v3, s10, v3
	v_mul_lo_u32 v4, v3, s8
	v_sub_u32_e32 v1, v1, v4
	v_mul_lo_u32 v6, v1, s3
	v_mul_lo_u32 v4, v1, s2
	s_cbranch_scc1 .LBB5_46
; %bb.45:
	s_load_dwordx4 s[8:11], s[4:5], 0x10
	s_load_dwordx2 s[2:3], s[4:5], 0xcc
	s_waitcnt lgkmcnt(0)
	v_mul_hi_u32 v1, s9, v3
	v_add_u32_e32 v1, v3, v1
	v_lshrrev_b32_e32 v1, s10, v1
	v_mul_lo_u32 v1, v1, s8
	v_sub_u32_e32 v1, v3, v1
	v_mad_u64_u32 v[4:5], s[6:7], v1, s2, v[4:5]
	v_mad_u64_u32 v[6:7], s[2:3], v1, s3, v[6:7]
.LBB5_46:
	s_and_b64 vcc, exec, s[0:1]
	v_add_u32_e32 v1, 0x100, v8
	s_cbranch_vccnz .LBB5_53
; %bb.47:
	s_mov_b32 s2, 0
	s_cmp_lg_u32 s33, 0
	v_mov_b32_e32 v10, 0
	v_mov_b32_e32 v8, 0
	s_cbranch_scc0 .LBB5_52
; %bb.48:
	s_min_u32 s30, s58, 15
	s_add_i32 s30, s30, 1
	s_cmp_eq_u32 s58, 2
	s_cbranch_scc1 .LBB5_54
; %bb.49:
	s_add_u32 s6, s4, 0xc4
	s_addc_u32 s7, s5, 0
	s_and_b32 s2, s30, 28
	s_mov_b32 s3, 0
	v_mov_b32_e32 v8, 0
	s_mov_b64 s[28:29], s[4:5]
	v_mov_b32_e32 v3, v1
	v_mov_b32_e32 v10, 0
.LBB5_50:                               ; =>This Inner Loop Header: Depth=1
	s_load_dwordx8 s[16:23], s[28:29], 0x4
	s_load_dwordx4 s[24:27], s[28:29], 0x24
	s_load_dwordx8 s[8:15], s[6:7], 0x0
	s_add_u32 s28, s28, 48
	s_addc_u32 s29, s29, 0
	s_waitcnt lgkmcnt(0)
	v_mul_hi_u32 v5, s17, v3
	v_add_u32_e32 v5, v3, v5
	v_lshrrev_b32_e32 v5, s18, v5
	v_mul_lo_u32 v7, v5, s16
	v_mul_hi_u32 v9, s20, v5
	v_sub_u32_e32 v3, v3, v7
	v_add_u32_e32 v7, v5, v9
	v_lshrrev_b32_e32 v7, s21, v7
	v_mul_lo_u32 v11, v7, s19
	v_mul_hi_u32 v12, s23, v7
	v_sub_u32_e32 v5, v5, v11
	v_add_u32_e32 v11, v7, v12
	v_mul_lo_u32 v9, v3, s9
	v_mul_lo_u32 v3, v3, s8
	;; [unrolled: 1-line block ×4, first 2 shown]
	v_lshrrev_b32_e32 v11, s24, v11
	v_add3_u32 v5, v3, v8, v5
	v_add3_u32 v8, v9, v10, v12
	v_mul_lo_u32 v3, v11, s22
	v_mul_hi_u32 v9, s26, v11
	v_sub_u32_e32 v3, v7, v3
	v_add_u32_e32 v7, v11, v9
	v_mul_lo_u32 v9, v3, s12
	v_mul_lo_u32 v10, v3, s13
	v_lshrrev_b32_e32 v3, s27, v7
	s_add_i32 s3, s3, 4
	v_mul_lo_u32 v7, v3, s25
	s_add_u32 s6, s6, 32
	v_sub_u32_e32 v7, v11, v7
	s_addc_u32 s7, s7, 0
	v_mul_lo_u32 v11, v7, s14
	v_mul_lo_u32 v7, v7, s15
	s_cmp_lg_u32 s2, s3
	v_add3_u32 v10, v10, v8, v7
	v_add3_u32 v8, v9, v5, v11
	s_cbranch_scc1 .LBB5_50
; %bb.51:
	v_mov_b32_e32 v9, v10
	s_and_b32 s8, s30, 3
	s_cmp_eq_u32 s8, 0
	s_cbranch_scc0 .LBB5_55
.LBB5_52:
	s_cbranch_execz .LBB5_58
	s_branch .LBB5_60
.LBB5_53:
                                        ; implicit-def: $vgpr10
                                        ; implicit-def: $vgpr8
	s_branch .LBB5_58
.LBB5_54:
	s_mov_b32 s3, s2
	v_pk_mov_b32 v[8:9], s[2:3], s[2:3] op_sel:[0,1]
                                        ; implicit-def: $vgpr10
	v_mov_b32_e32 v3, v1
	s_and_b32 s8, s30, 3
	s_cmp_eq_u32 s8, 0
	s_cbranch_scc1 .LBB5_52
.LBB5_55:
	s_lshl_b32 s3, s2, 3
	s_add_u32 s3, s3, s4
	s_addc_u32 s7, 0, s5
	s_add_u32 s6, s3, 0xc4
	s_addc_u32 s7, s7, 0
	s_mul_i32 s2, s2, 12
	s_add_u32 s2, s4, s2
	s_addc_u32 s3, 0, s5
.LBB5_56:                               ; =>This Inner Loop Header: Depth=1
	s_load_dwordx2 s[10:11], s[2:3], 0x4
	s_load_dword s9, s[2:3], 0xc
	s_load_dwordx2 s[12:13], s[6:7], 0x0
	s_add_u32 s2, s2, 12
	s_addc_u32 s3, s3, 0
	s_waitcnt lgkmcnt(0)
	v_mul_hi_u32 v5, s11, v3
	v_add_u32_e32 v5, v3, v5
	v_lshrrev_b32_e32 v5, s9, v5
	v_mul_lo_u32 v7, v5, s10
	v_mov_b32_e32 v10, v9
	s_add_u32 s6, s6, 8
	v_sub_u32_e32 v7, v3, v7
	s_addc_u32 s7, s7, 0
	s_add_i32 s8, s8, -1
	v_mad_u64_u32 v[10:11], s[10:11], v7, s13, v[10:11]
	v_mad_u64_u32 v[8:9], s[10:11], v7, s12, v[8:9]
	s_cmp_lg_u32 s8, 0
	v_mov_b32_e32 v3, v5
	v_mov_b32_e32 v9, v10
	s_cbranch_scc1 .LBB5_56
; %bb.57:
	v_mov_b32_e32 v10, v9
	s_cbranch_execnz .LBB5_60
.LBB5_58:
	s_load_dwordx4 s[8:11], s[4:5], 0x4
	s_load_dwordx2 s[2:3], s[4:5], 0xc4
	s_cmp_lt_u32 s33, 2
	s_waitcnt lgkmcnt(0)
	v_mul_hi_u32 v3, s9, v1
	v_add_u32_e32 v3, v1, v3
	v_lshrrev_b32_e32 v3, s10, v3
	v_mul_lo_u32 v5, v3, s8
	v_sub_u32_e32 v1, v1, v5
	v_mul_lo_u32 v10, v1, s3
	v_mul_lo_u32 v8, v1, s2
	s_cbranch_scc1 .LBB5_60
; %bb.59:
	s_load_dwordx4 s[8:11], s[4:5], 0x10
	s_load_dwordx2 s[2:3], s[4:5], 0xcc
	s_waitcnt lgkmcnt(0)
	v_mul_hi_u32 v1, s9, v3
	v_add_u32_e32 v1, v3, v1
	v_lshrrev_b32_e32 v1, s10, v1
	v_mul_lo_u32 v1, v1, s8
	v_sub_u32_e32 v1, v3, v1
	v_mad_u64_u32 v[8:9], s[6:7], v1, s2, v[8:9]
	v_mad_u64_u32 v[10:11], s[2:3], v1, s3, v[10:11]
.LBB5_60:
	s_and_b64 vcc, exec, s[0:1]
	s_cbranch_vccnz .LBB5_67
; %bb.61:
	s_mov_b32 s6, 0
	s_cmp_lg_u32 s33, 0
	v_mov_b32_e32 v14, 0
	v_mov_b32_e32 v12, 0
	s_cbranch_scc0 .LBB5_66
; %bb.62:
	s_min_u32 s28, s58, 15
	s_add_i32 s28, s28, 1
	s_cmp_eq_u32 s58, 2
	s_cbranch_scc1 .LBB5_68
; %bb.63:
	s_add_u32 s24, s4, 0xc4
	s_addc_u32 s25, s5, 0
	s_and_b32 s6, s28, 28
	s_mov_b32 s7, 0
	v_mov_b32_e32 v12, 0
	s_mov_b64 s[26:27], s[4:5]
	v_mov_b32_e32 v1, v15
	v_mov_b32_e32 v14, 0
.LBB5_64:                               ; =>This Inner Loop Header: Depth=1
	s_load_dwordx8 s[16:23], s[26:27], 0x4
	s_load_dwordx4 s[0:3], s[26:27], 0x24
	s_load_dwordx8 s[8:15], s[24:25], 0x0
	s_add_u32 s26, s26, 48
	s_addc_u32 s27, s27, 0
	s_waitcnt lgkmcnt(0)
	v_mul_hi_u32 v3, s17, v1
	v_add_u32_e32 v3, v1, v3
	v_lshrrev_b32_e32 v3, s18, v3
	v_mul_lo_u32 v5, v3, s16
	v_mul_hi_u32 v7, s20, v3
	v_sub_u32_e32 v1, v1, v5
	v_add_u32_e32 v5, v3, v7
	v_lshrrev_b32_e32 v5, s21, v5
	v_mul_lo_u32 v9, v5, s19
	v_mul_hi_u32 v11, s23, v5
	v_sub_u32_e32 v3, v3, v9
	v_add_u32_e32 v9, v5, v11
	v_mul_lo_u32 v7, v1, s9
	v_mul_lo_u32 v1, v1, s8
	;; [unrolled: 1-line block ×4, first 2 shown]
	v_lshrrev_b32_e32 v9, s0, v9
	v_add3_u32 v3, v1, v12, v3
	v_add3_u32 v7, v7, v14, v11
	v_mul_lo_u32 v1, v9, s22
	v_mul_hi_u32 v11, s2, v9
	v_sub_u32_e32 v1, v5, v1
	v_add_u32_e32 v5, v9, v11
	v_mul_lo_u32 v11, v1, s12
	v_mul_lo_u32 v12, v1, s13
	v_lshrrev_b32_e32 v1, s3, v5
	s_add_i32 s7, s7, 4
	v_mul_lo_u32 v5, v1, s1
	s_add_u32 s24, s24, 32
	v_sub_u32_e32 v5, v9, v5
	s_addc_u32 s25, s25, 0
	v_mul_lo_u32 v9, v5, s14
	v_mul_lo_u32 v5, v5, s15
	s_cmp_lg_u32 s6, s7
	v_add3_u32 v14, v12, v7, v5
	v_add3_u32 v12, v11, v3, v9
	s_cbranch_scc1 .LBB5_64
; %bb.65:
	v_mov_b32_e32 v13, v14
	s_and_b32 s7, s28, 3
	s_cmp_eq_u32 s7, 0
	s_cbranch_scc0 .LBB5_69
.LBB5_66:
	s_cbranch_execz .LBB5_72
	s_branch .LBB5_74
.LBB5_67:
                                        ; implicit-def: $vgpr14
                                        ; implicit-def: $vgpr12
	s_branch .LBB5_72
.LBB5_68:
	s_mov_b32 s7, s6
	v_pk_mov_b32 v[12:13], s[6:7], s[6:7] op_sel:[0,1]
                                        ; implicit-def: $vgpr14
	v_mov_b32_e32 v1, v15
	s_and_b32 s7, s28, 3
	s_cmp_eq_u32 s7, 0
	s_cbranch_scc1 .LBB5_66
.LBB5_69:
	s_lshl_b32 s0, s6, 3
	s_add_u32 s0, s0, s4
	s_addc_u32 s1, 0, s5
	s_add_u32 s0, s0, 0xc4
	s_addc_u32 s1, s1, 0
	s_mul_i32 s2, s6, 12
	s_add_u32 s2, s4, s2
	s_addc_u32 s3, 0, s5
.LBB5_70:                               ; =>This Inner Loop Header: Depth=1
	s_load_dwordx2 s[8:9], s[2:3], 0x4
	s_load_dword s6, s[2:3], 0xc
	s_load_dwordx2 s[10:11], s[0:1], 0x0
	s_add_u32 s2, s2, 12
	s_addc_u32 s3, s3, 0
	s_waitcnt lgkmcnt(0)
	v_mul_hi_u32 v3, s9, v1
	v_add_u32_e32 v3, v1, v3
	v_lshrrev_b32_e32 v3, s6, v3
	v_mul_lo_u32 v5, v3, s8
	v_mov_b32_e32 v14, v13
	s_add_u32 s0, s0, 8
	v_sub_u32_e32 v5, v1, v5
	s_addc_u32 s1, s1, 0
	s_add_i32 s7, s7, -1
	v_mad_u64_u32 v[16:17], s[8:9], v5, s11, v[14:15]
	v_mad_u64_u32 v[12:13], s[8:9], v5, s10, v[12:13]
	s_cmp_lg_u32 s7, 0
	v_mov_b32_e32 v1, v3
	v_mov_b32_e32 v13, v16
	s_cbranch_scc1 .LBB5_70
; %bb.71:
	v_mov_b32_e32 v14, v13
	s_cbranch_execnz .LBB5_74
.LBB5_72:
	s_load_dwordx4 s[0:3], s[4:5], 0x4
	s_load_dwordx2 s[6:7], s[4:5], 0xc4
	s_cmp_lt_u32 s33, 2
	s_waitcnt lgkmcnt(0)
	v_mul_hi_u32 v1, s1, v15
	v_add_u32_e32 v1, v15, v1
	v_lshrrev_b32_e32 v1, s2, v1
	v_mul_lo_u32 v3, v1, s0
	v_sub_u32_e32 v3, v15, v3
	v_mul_lo_u32 v14, v3, s7
	v_mul_lo_u32 v12, v3, s6
	s_cbranch_scc1 .LBB5_74
; %bb.73:
	s_load_dwordx4 s[0:3], s[4:5], 0x10
	s_load_dwordx2 s[6:7], s[4:5], 0xcc
	s_waitcnt lgkmcnt(0)
	v_mul_hi_u32 v3, s1, v1
	v_add_u32_e32 v3, v1, v3
	v_lshrrev_b32_e32 v3, s2, v3
	v_mul_lo_u32 v3, v3, s0
	v_sub_u32_e32 v1, v1, v3
	v_mad_u64_u32 v[12:13], s[0:1], v1, s6, v[12:13]
	v_mad_u64_u32 v[14:15], s[0:1], v1, s7, v[14:15]
.LBB5_74:
	s_load_dwordx4 s[8:11], s[4:5], 0x148
	s_load_dwordx2 s[6:7], s[4:5], 0x158
	s_waitcnt lgkmcnt(0)
	global_load_dwordx2 v[16:17], v2, s[10:11]
	global_load_dwordx2 v[18:19], v6, s[10:11]
	;; [unrolled: 1-line block ×4, first 2 shown]
	s_waitcnt vmcnt(3)
	v_cmp_nge_f64_e64 s[10:11], v[16:17], -s[6:7]
	v_cmp_nge_f64_e32 vcc, s[6:7], v[16:17]
	s_waitcnt vmcnt(2)
	v_cmp_nge_f64_e64 s[12:13], v[18:19], -s[6:7]
	v_cmp_nge_f64_e64 s[0:1], s[6:7], v[18:19]
	s_waitcnt vmcnt(1)
	v_cmp_nge_f64_e64 s[14:15], v[20:21], -s[6:7]
	v_cmp_nge_f64_e64 s[2:3], s[6:7], v[20:21]
	;; [unrolled: 3-line block ×3, first 2 shown]
	s_or_b64 vcc, s[10:11], vcc
	v_cndmask_b32_e32 v3, 0, v17, vcc
	s_or_b64 s[0:1], s[12:13], s[0:1]
	s_or_b64 s[2:3], s[14:15], s[2:3]
	;; [unrolled: 1-line block ×3, first 2 shown]
	v_cndmask_b32_e32 v2, 0, v16, vcc
	v_cndmask_b32_e64 v7, 0, v19, s[0:1]
	v_cndmask_b32_e64 v11, 0, v21, s[2:3]
	;; [unrolled: 1-line block ×6, first 2 shown]
	global_store_dwordx2 v0, v[2:3], s[8:9]
	global_store_dwordx2 v4, v[6:7], s[8:9]
	;; [unrolled: 1-line block ×4, first 2 shown]
	s_endpgm
.LBB5_75:
	s_mov_b32 s53, s52
	v_pk_mov_b32 v[0:1], s[52:53], s[52:53] op_sel:[0,1]
                                        ; implicit-def: $vgpr2
	v_mov_b32_e32 v3, v8
.LBB5_76:
	s_and_b32 s12, s61, 3
	s_cmp_eq_u32 s12, 0
	s_cbranch_scc1 .LBB5_80
; %bb.77:
	s_lshl_b32 s8, s52, 3
	s_add_u32 s8, s8, s4
	s_addc_u32 s9, s5, 0
	s_add_u32 s8, s8, 0xc4
	s_addc_u32 s9, s9, 0
	s_mul_i32 s10, s52, 12
	s_add_u32 s10, s4, s10
	s_addc_u32 s11, s5, 0
.LBB5_78:                               ; =>This Inner Loop Header: Depth=1
	s_load_dwordx2 s[14:15], s[10:11], 0x4
	s_load_dword s13, s[10:11], 0xc
	s_load_dwordx2 s[16:17], s[8:9], 0x0
	v_mov_b32_e32 v2, v1
	s_add_u32 s10, s10, 12
	s_waitcnt lgkmcnt(0)
	v_mul_hi_u32 v1, s15, v3
	v_add_u32_e32 v1, v3, v1
	v_lshrrev_b32_e32 v1, s13, v1
	s_addc_u32 s11, s11, 0
	v_mul_lo_u32 v4, v1, s14
	s_add_u32 s8, s8, 8
	v_sub_u32_e32 v6, v3, v4
	v_mov_b32_e32 v3, v1
	s_addc_u32 s9, s9, 0
	s_add_i32 s12, s12, -1
	v_mad_u64_u32 v[4:5], s[14:15], v6, s17, v[2:3]
	v_mad_u64_u32 v[0:1], s[14:15], v6, s16, v[0:1]
	s_cmp_lg_u32 s12, 0
	v_mov_b32_e32 v1, v4
	s_cbranch_scc1 .LBB5_78
; %bb.79:
	v_mov_b32_e32 v2, v1
.LBB5_80:
	s_cbranch_execnz .LBB5_83
.LBB5_81:
	s_waitcnt lgkmcnt(0)
	v_mul_hi_u32 v0, s25, v8
	v_add_u32_e32 v0, v8, v0
	v_lshrrev_b32_e32 v1, s26, v0
	v_mul_lo_u32 v0, v1, s24
	v_sub_u32_e32 v0, v8, v0
	v_mul_lo_u32 v2, v0, s29
	s_andn2_b64 vcc, exec, s[44:45]
	v_mul_lo_u32 v0, v0, s28
	s_cbranch_vccnz .LBB5_83
; %bb.82:
	v_mul_hi_u32 v3, s42, v1
	v_add_u32_e32 v3, v1, v3
	v_lshrrev_b32_e32 v3, s43, v3
	v_mul_lo_u32 v3, v3, s27
	v_sub_u32_e32 v3, v1, v3
	v_mad_u64_u32 v[0:1], s[8:9], v3, s30, v[0:1]
	v_mad_u64_u32 v[2:3], s[8:9], v3, s31, v[2:3]
.LBB5_83:
	s_waitcnt lgkmcnt(0)
	global_load_dwordx2 v[2:3], v2, s[2:3]
	v_add_u32_e32 v8, 0x80, v8
	s_waitcnt vmcnt(0)
	v_cmp_nge_f64_e64 s[8:9], v[2:3], -s[40:41]
	v_cmp_nge_f64_e32 vcc, s[40:41], v[2:3]
	s_or_b64 vcc, s[8:9], vcc
	v_cndmask_b32_e32 v3, 0, v3, vcc
	v_cndmask_b32_e32 v2, 0, v2, vcc
	global_store_dwordx2 v0, v[2:3], s[0:1]
	s_or_b64 exec, exec, s[50:51]
	v_cmp_gt_i32_e32 vcc, s59, v8
	s_and_saveexec_b64 s[50:51], vcc
	s_cbranch_execnz .LBB5_17
.LBB5_84:
	s_or_b64 exec, exec, s[50:51]
	v_cmp_gt_i32_e32 vcc, s59, v8
	s_and_saveexec_b64 s[50:51], vcc
	s_cbranch_execz .LBB5_101
.LBB5_85:
	s_andn2_b64 vcc, exec, s[6:7]
	s_cbranch_vccnz .LBB5_91
; %bb.86:
	s_mov_b32 s52, 0
	s_andn2_b64 vcc, exec, s[48:49]
	v_mov_b32_e32 v2, 0
	v_mov_b32_e32 v0, 0
	s_cbranch_vccnz .LBB5_109
; %bb.87:
	s_add_i32 s61, s60, 1
	s_cmp_eq_u32 s58, 2
	s_cbranch_scc1 .LBB5_104
; %bb.88:
	s_and_b32 s52, s61, 28
	s_mov_b32 s53, 0
	v_mov_b32_e32 v0, 0
	s_mov_b64 s[54:55], s[4:5]
	s_mov_b64 s[56:57], s[46:47]
	v_mov_b32_e32 v3, v8
	v_mov_b32_e32 v2, 0
.LBB5_89:                               ; =>This Inner Loop Header: Depth=1
	s_load_dwordx8 s[16:23], s[54:55], 0x4
	s_load_dwordx4 s[36:39], s[54:55], 0x24
	s_load_dwordx8 s[8:15], s[56:57], 0x0
	s_add_u32 s54, s54, 48
	s_addc_u32 s55, s55, 0
	s_waitcnt lgkmcnt(0)
	v_mul_hi_u32 v1, s17, v3
	v_add_u32_e32 v1, v3, v1
	v_lshrrev_b32_e32 v1, s18, v1
	v_mul_lo_u32 v4, v1, s16
	v_mul_hi_u32 v5, s20, v1
	v_sub_u32_e32 v3, v3, v4
	v_add_u32_e32 v4, v1, v5
	v_lshrrev_b32_e32 v4, s21, v4
	v_mul_lo_u32 v6, v4, s19
	v_mul_hi_u32 v7, s23, v4
	v_sub_u32_e32 v1, v1, v6
	v_add_u32_e32 v6, v4, v7
	v_mul_lo_u32 v5, v3, s9
	v_mul_lo_u32 v3, v3, s8
	;; [unrolled: 1-line block ×4, first 2 shown]
	v_lshrrev_b32_e32 v6, s36, v6
	v_add3_u32 v0, v3, v0, v1
	v_mul_hi_u32 v3, s38, v6
	v_add_u32_e32 v3, v6, v3
	v_lshrrev_b32_e32 v3, s39, v3
	s_add_i32 s53, s53, 4
	v_add3_u32 v1, v5, v2, v7
	v_mul_lo_u32 v2, v6, s22
	v_mul_lo_u32 v5, v3, s37
	s_add_u32 s56, s56, 32
	v_sub_u32_e32 v2, v4, v2
	v_sub_u32_e32 v5, v6, v5
	s_addc_u32 s57, s57, 0
	v_mul_lo_u32 v4, v2, s12
	v_mul_lo_u32 v2, v2, s13
	;; [unrolled: 1-line block ×4, first 2 shown]
	s_cmp_eq_u32 s52, s53
	v_add3_u32 v2, v2, v1, v5
	v_add3_u32 v0, v4, v0, v6
	s_cbranch_scc0 .LBB5_89
; %bb.90:
	v_mov_b32_e32 v1, v2
	s_branch .LBB5_105
.LBB5_91:
                                        ; implicit-def: $vgpr2
                                        ; implicit-def: $vgpr0
	s_branch .LBB5_110
.LBB5_92:
	s_mov_b32 s53, s52
	v_pk_mov_b32 v[0:1], s[52:53], s[52:53] op_sel:[0,1]
                                        ; implicit-def: $vgpr2
	v_mov_b32_e32 v3, v8
.LBB5_93:
	s_and_b32 s12, s61, 3
	s_cmp_eq_u32 s12, 0
	s_cbranch_scc1 .LBB5_97
; %bb.94:
	s_lshl_b32 s8, s52, 3
	s_add_u32 s8, s8, s4
	s_addc_u32 s9, s5, 0
	s_add_u32 s8, s8, 0xc4
	s_addc_u32 s9, s9, 0
	s_mul_i32 s10, s52, 12
	s_add_u32 s10, s4, s10
	s_addc_u32 s11, s5, 0
.LBB5_95:                               ; =>This Inner Loop Header: Depth=1
	s_load_dwordx2 s[14:15], s[10:11], 0x4
	s_load_dword s13, s[10:11], 0xc
	s_load_dwordx2 s[16:17], s[8:9], 0x0
	v_mov_b32_e32 v2, v1
	s_add_u32 s10, s10, 12
	s_waitcnt lgkmcnt(0)
	v_mul_hi_u32 v1, s15, v3
	v_add_u32_e32 v1, v3, v1
	v_lshrrev_b32_e32 v1, s13, v1
	s_addc_u32 s11, s11, 0
	v_mul_lo_u32 v4, v1, s14
	s_add_u32 s8, s8, 8
	v_sub_u32_e32 v6, v3, v4
	v_mov_b32_e32 v3, v1
	s_addc_u32 s9, s9, 0
	s_add_i32 s12, s12, -1
	v_mad_u64_u32 v[4:5], s[14:15], v6, s17, v[2:3]
	v_mad_u64_u32 v[0:1], s[14:15], v6, s16, v[0:1]
	s_cmp_lg_u32 s12, 0
	v_mov_b32_e32 v1, v4
	s_cbranch_scc1 .LBB5_95
; %bb.96:
	v_mov_b32_e32 v2, v1
.LBB5_97:
	s_cbranch_execnz .LBB5_100
.LBB5_98:
	s_waitcnt lgkmcnt(0)
	v_mul_hi_u32 v0, s25, v8
	v_add_u32_e32 v0, v8, v0
	v_lshrrev_b32_e32 v1, s26, v0
	v_mul_lo_u32 v0, v1, s24
	v_sub_u32_e32 v0, v8, v0
	v_mul_lo_u32 v2, v0, s29
	s_andn2_b64 vcc, exec, s[44:45]
	v_mul_lo_u32 v0, v0, s28
	s_cbranch_vccnz .LBB5_100
; %bb.99:
	v_mul_hi_u32 v3, s42, v1
	v_add_u32_e32 v3, v1, v3
	v_lshrrev_b32_e32 v3, s43, v3
	v_mul_lo_u32 v3, v3, s27
	v_sub_u32_e32 v3, v1, v3
	v_mad_u64_u32 v[0:1], s[8:9], v3, s30, v[0:1]
	v_mad_u64_u32 v[2:3], s[8:9], v3, s31, v[2:3]
.LBB5_100:
	s_waitcnt lgkmcnt(0)
	global_load_dwordx2 v[2:3], v2, s[2:3]
	v_add_u32_e32 v8, 0x80, v8
	s_waitcnt vmcnt(0)
	v_cmp_nge_f64_e64 s[8:9], v[2:3], -s[40:41]
	v_cmp_nge_f64_e32 vcc, s[40:41], v[2:3]
	s_or_b64 vcc, s[8:9], vcc
	v_cndmask_b32_e32 v3, 0, v3, vcc
	v_cndmask_b32_e32 v2, 0, v2, vcc
	global_store_dwordx2 v0, v[2:3], s[0:1]
	s_or_b64 exec, exec, s[50:51]
	v_cmp_gt_i32_e32 vcc, s59, v8
	s_and_saveexec_b64 s[50:51], vcc
	s_cbranch_execnz .LBB5_85
.LBB5_101:
	s_or_b64 exec, exec, s[50:51]
	v_cmp_gt_i32_e32 vcc, s59, v8
	s_and_saveexec_b64 s[50:51], vcc
	s_cbranch_execnz .LBB5_113
.LBB5_102:
	s_or_b64 exec, exec, s[50:51]
                                        ; implicit-def: $vgpr15
                                        ; implicit-def: $vgpr8
	s_waitcnt lgkmcnt(0)
	s_andn2_saveexec_b64 s[0:1], s[34:35]
	s_cbranch_execnz .LBB5_9
.LBB5_103:
	s_endpgm
.LBB5_104:
	s_mov_b32 s53, s52
	v_pk_mov_b32 v[0:1], s[52:53], s[52:53] op_sel:[0,1]
                                        ; implicit-def: $vgpr2
	v_mov_b32_e32 v3, v8
.LBB5_105:
	s_and_b32 s12, s61, 3
	s_cmp_eq_u32 s12, 0
	s_cbranch_scc1 .LBB5_109
; %bb.106:
	s_lshl_b32 s8, s52, 3
	s_add_u32 s8, s8, s4
	s_addc_u32 s9, s5, 0
	s_add_u32 s8, s8, 0xc4
	s_addc_u32 s9, s9, 0
	s_mul_i32 s10, s52, 12
	s_add_u32 s10, s4, s10
	s_addc_u32 s11, s5, 0
.LBB5_107:                              ; =>This Inner Loop Header: Depth=1
	s_load_dwordx2 s[14:15], s[10:11], 0x4
	s_load_dword s13, s[10:11], 0xc
	s_load_dwordx2 s[16:17], s[8:9], 0x0
	v_mov_b32_e32 v2, v1
	s_add_u32 s10, s10, 12
	s_waitcnt lgkmcnt(0)
	v_mul_hi_u32 v1, s15, v3
	v_add_u32_e32 v1, v3, v1
	v_lshrrev_b32_e32 v1, s13, v1
	s_addc_u32 s11, s11, 0
	v_mul_lo_u32 v4, v1, s14
	s_add_u32 s8, s8, 8
	v_sub_u32_e32 v6, v3, v4
	v_mov_b32_e32 v3, v1
	s_addc_u32 s9, s9, 0
	s_add_i32 s12, s12, -1
	v_mad_u64_u32 v[4:5], s[14:15], v6, s17, v[2:3]
	v_mad_u64_u32 v[0:1], s[14:15], v6, s16, v[0:1]
	s_cmp_lg_u32 s12, 0
	v_mov_b32_e32 v1, v4
	s_cbranch_scc1 .LBB5_107
; %bb.108:
	v_mov_b32_e32 v2, v1
.LBB5_109:
	s_cbranch_execnz .LBB5_112
.LBB5_110:
	s_waitcnt lgkmcnt(0)
	v_mul_hi_u32 v0, s25, v8
	v_add_u32_e32 v0, v8, v0
	v_lshrrev_b32_e32 v1, s26, v0
	v_mul_lo_u32 v0, v1, s24
	v_sub_u32_e32 v0, v8, v0
	v_mul_lo_u32 v2, v0, s29
	s_andn2_b64 vcc, exec, s[44:45]
	v_mul_lo_u32 v0, v0, s28
	s_cbranch_vccnz .LBB5_112
; %bb.111:
	v_mul_hi_u32 v3, s42, v1
	v_add_u32_e32 v3, v1, v3
	v_lshrrev_b32_e32 v3, s43, v3
	v_mul_lo_u32 v3, v3, s27
	v_sub_u32_e32 v3, v1, v3
	v_mad_u64_u32 v[0:1], s[8:9], v3, s30, v[0:1]
	v_mad_u64_u32 v[2:3], s[8:9], v3, s31, v[2:3]
.LBB5_112:
	s_waitcnt lgkmcnt(0)
	global_load_dwordx2 v[2:3], v2, s[2:3]
	v_add_u32_e32 v8, 0x80, v8
	s_waitcnt vmcnt(0)
	v_cmp_nge_f64_e64 s[8:9], v[2:3], -s[40:41]
	v_cmp_nge_f64_e32 vcc, s[40:41], v[2:3]
	s_or_b64 vcc, s[8:9], vcc
	v_cndmask_b32_e32 v3, 0, v3, vcc
	v_cndmask_b32_e32 v2, 0, v2, vcc
	global_store_dwordx2 v0, v[2:3], s[0:1]
	s_or_b64 exec, exec, s[50:51]
	v_cmp_gt_i32_e32 vcc, s59, v8
	s_and_saveexec_b64 s[50:51], vcc
	s_cbranch_execz .LBB5_102
.LBB5_113:
	s_andn2_b64 vcc, exec, s[6:7]
	s_cbranch_vccnz .LBB5_119
; %bb.114:
	s_mov_b32 s52, 0
	s_andn2_b64 vcc, exec, s[48:49]
	v_mov_b32_e32 v2, 0
	v_mov_b32_e32 v0, 0
	s_cbranch_vccnz .LBB5_125
; %bb.115:
	s_add_i32 s60, s60, 1
	s_cmp_eq_u32 s58, 2
	s_cbranch_scc1 .LBB5_120
; %bb.116:
	s_and_b32 s52, s60, 28
	s_mov_b32 s53, 0
	v_mov_b32_e32 v0, 0
	s_mov_b64 s[48:49], s[4:5]
	v_mov_b32_e32 v3, v8
	v_mov_b32_e32 v2, 0
.LBB5_117:                              ; =>This Inner Loop Header: Depth=1
	s_load_dwordx8 s[16:23], s[48:49], 0x4
	s_load_dwordx4 s[36:39], s[48:49], 0x24
	s_load_dwordx8 s[8:15], s[46:47], 0x0
	s_add_u32 s48, s48, 48
	s_addc_u32 s49, s49, 0
	s_waitcnt lgkmcnt(0)
	v_mul_hi_u32 v1, s17, v3
	v_add_u32_e32 v1, v3, v1
	v_lshrrev_b32_e32 v1, s18, v1
	v_mul_lo_u32 v4, v1, s16
	v_mul_hi_u32 v5, s20, v1
	v_sub_u32_e32 v3, v3, v4
	v_add_u32_e32 v4, v1, v5
	v_lshrrev_b32_e32 v4, s21, v4
	v_mul_lo_u32 v6, v4, s19
	v_mul_hi_u32 v7, s23, v4
	v_sub_u32_e32 v1, v1, v6
	v_add_u32_e32 v6, v4, v7
	v_mul_lo_u32 v5, v3, s9
	v_mul_lo_u32 v3, v3, s8
	;; [unrolled: 1-line block ×4, first 2 shown]
	v_lshrrev_b32_e32 v6, s36, v6
	v_add3_u32 v0, v3, v0, v1
	v_mul_hi_u32 v3, s38, v6
	v_add_u32_e32 v3, v6, v3
	v_lshrrev_b32_e32 v3, s39, v3
	s_add_i32 s53, s53, 4
	v_add3_u32 v1, v5, v2, v7
	v_mul_lo_u32 v2, v6, s22
	v_mul_lo_u32 v5, v3, s37
	s_add_u32 s46, s46, 32
	v_sub_u32_e32 v2, v4, v2
	v_sub_u32_e32 v5, v6, v5
	s_addc_u32 s47, s47, 0
	v_mul_lo_u32 v4, v2, s12
	v_mul_lo_u32 v2, v2, s13
	;; [unrolled: 1-line block ×4, first 2 shown]
	s_cmp_eq_u32 s52, s53
	v_add3_u32 v2, v2, v1, v5
	v_add3_u32 v0, v4, v0, v6
	s_cbranch_scc0 .LBB5_117
; %bb.118:
	v_mov_b32_e32 v1, v2
	s_branch .LBB5_121
.LBB5_119:
                                        ; implicit-def: $vgpr2
                                        ; implicit-def: $vgpr0
	s_branch .LBB5_126
.LBB5_120:
	s_mov_b32 s53, s52
	v_pk_mov_b32 v[0:1], s[52:53], s[52:53] op_sel:[0,1]
                                        ; implicit-def: $vgpr2
	v_mov_b32_e32 v3, v8
.LBB5_121:
	s_and_b32 s12, s60, 3
	s_cmp_eq_u32 s12, 0
	s_cbranch_scc1 .LBB5_125
; %bb.122:
	s_lshl_b32 s8, s52, 3
	s_add_u32 s8, s8, s4
	s_addc_u32 s9, s5, 0
	s_add_u32 s8, s8, 0xc4
	s_addc_u32 s9, s9, 0
	s_mul_i32 s10, s52, 12
	s_add_u32 s10, s4, s10
	s_addc_u32 s11, s5, 0
.LBB5_123:                              ; =>This Inner Loop Header: Depth=1
	s_load_dwordx2 s[14:15], s[10:11], 0x4
	s_load_dword s13, s[10:11], 0xc
	s_load_dwordx2 s[16:17], s[8:9], 0x0
	v_mov_b32_e32 v2, v1
	s_add_u32 s10, s10, 12
	s_waitcnt lgkmcnt(0)
	v_mul_hi_u32 v1, s15, v3
	v_add_u32_e32 v1, v3, v1
	v_lshrrev_b32_e32 v1, s13, v1
	s_addc_u32 s11, s11, 0
	v_mul_lo_u32 v4, v1, s14
	s_add_u32 s8, s8, 8
	v_sub_u32_e32 v6, v3, v4
	v_mov_b32_e32 v3, v1
	s_addc_u32 s9, s9, 0
	s_add_i32 s12, s12, -1
	v_mad_u64_u32 v[4:5], s[14:15], v6, s17, v[2:3]
	v_mad_u64_u32 v[0:1], s[14:15], v6, s16, v[0:1]
	s_cmp_lg_u32 s12, 0
	v_mov_b32_e32 v1, v4
	s_cbranch_scc1 .LBB5_123
; %bb.124:
	v_mov_b32_e32 v2, v1
.LBB5_125:
	s_cbranch_execnz .LBB5_128
.LBB5_126:
	s_waitcnt lgkmcnt(0)
	v_mul_hi_u32 v0, s25, v8
	v_add_u32_e32 v0, v8, v0
	v_lshrrev_b32_e32 v1, s26, v0
	v_mul_lo_u32 v0, v1, s24
	v_sub_u32_e32 v0, v8, v0
	v_mul_lo_u32 v2, v0, s29
	s_andn2_b64 vcc, exec, s[44:45]
	v_mul_lo_u32 v0, v0, s28
	s_cbranch_vccnz .LBB5_128
; %bb.127:
	v_mul_hi_u32 v3, s42, v1
	v_add_u32_e32 v3, v1, v3
	v_lshrrev_b32_e32 v3, s43, v3
	v_mul_lo_u32 v3, v3, s27
	v_sub_u32_e32 v3, v1, v3
	v_mad_u64_u32 v[0:1], s[8:9], v3, s30, v[0:1]
	v_mad_u64_u32 v[2:3], s[8:9], v3, s31, v[2:3]
.LBB5_128:
	s_waitcnt lgkmcnt(0)
	global_load_dwordx2 v[2:3], v2, s[2:3]
	s_waitcnt vmcnt(0)
	v_cmp_nge_f64_e64 s[2:3], v[2:3], -s[40:41]
	v_cmp_nge_f64_e32 vcc, s[40:41], v[2:3]
	s_or_b64 vcc, s[2:3], vcc
	v_cndmask_b32_e32 v3, 0, v3, vcc
	v_cndmask_b32_e32 v2, 0, v2, vcc
	global_store_dwordx2 v0, v[2:3], s[0:1]
	s_or_b64 exec, exec, s[50:51]
                                        ; implicit-def: $vgpr15
                                        ; implicit-def: $vgpr8
	s_andn2_saveexec_b64 s[0:1], s[34:35]
	s_cbranch_execz .LBB5_103
	s_branch .LBB5_9
	.section	.rodata,"a",@progbits
	.p2align	6, 0x0
	.amdhsa_kernel _ZN2at6native32elementwise_kernel_manual_unrollILi128ELi4EZNS0_22gpu_kernel_impl_nocastIZZZNS0_12_GLOBAL__N_117hardshrink_kernelERNS_18TensorIteratorBaseERKN3c106ScalarEENKUlvE_clEvENKUlvE_clEvEUldE_EEvS5_RKT_EUlibE_EEviT1_
		.amdhsa_group_segment_fixed_size 0
		.amdhsa_private_segment_fixed_size 0
		.amdhsa_kernarg_size 360
		.amdhsa_user_sgpr_count 6
		.amdhsa_user_sgpr_private_segment_buffer 1
		.amdhsa_user_sgpr_dispatch_ptr 0
		.amdhsa_user_sgpr_queue_ptr 0
		.amdhsa_user_sgpr_kernarg_segment_ptr 1
		.amdhsa_user_sgpr_dispatch_id 0
		.amdhsa_user_sgpr_flat_scratch_init 0
		.amdhsa_user_sgpr_kernarg_preload_length 0
		.amdhsa_user_sgpr_kernarg_preload_offset 0
		.amdhsa_user_sgpr_private_segment_size 0
		.amdhsa_uses_dynamic_stack 0
		.amdhsa_system_sgpr_private_segment_wavefront_offset 0
		.amdhsa_system_sgpr_workgroup_id_x 1
		.amdhsa_system_sgpr_workgroup_id_y 0
		.amdhsa_system_sgpr_workgroup_id_z 0
		.amdhsa_system_sgpr_workgroup_info 0
		.amdhsa_system_vgpr_workitem_id 0
		.amdhsa_next_free_vgpr 24
		.amdhsa_next_free_sgpr 62
		.amdhsa_accum_offset 24
		.amdhsa_reserve_vcc 1
		.amdhsa_reserve_flat_scratch 0
		.amdhsa_float_round_mode_32 0
		.amdhsa_float_round_mode_16_64 0
		.amdhsa_float_denorm_mode_32 3
		.amdhsa_float_denorm_mode_16_64 3
		.amdhsa_dx10_clamp 1
		.amdhsa_ieee_mode 1
		.amdhsa_fp16_overflow 0
		.amdhsa_tg_split 0
		.amdhsa_exception_fp_ieee_invalid_op 0
		.amdhsa_exception_fp_denorm_src 0
		.amdhsa_exception_fp_ieee_div_zero 0
		.amdhsa_exception_fp_ieee_overflow 0
		.amdhsa_exception_fp_ieee_underflow 0
		.amdhsa_exception_fp_ieee_inexact 0
		.amdhsa_exception_int_div_zero 0
	.end_amdhsa_kernel
	.section	.text._ZN2at6native32elementwise_kernel_manual_unrollILi128ELi4EZNS0_22gpu_kernel_impl_nocastIZZZNS0_12_GLOBAL__N_117hardshrink_kernelERNS_18TensorIteratorBaseERKN3c106ScalarEENKUlvE_clEvENKUlvE_clEvEUldE_EEvS5_RKT_EUlibE_EEviT1_,"axG",@progbits,_ZN2at6native32elementwise_kernel_manual_unrollILi128ELi4EZNS0_22gpu_kernel_impl_nocastIZZZNS0_12_GLOBAL__N_117hardshrink_kernelERNS_18TensorIteratorBaseERKN3c106ScalarEENKUlvE_clEvENKUlvE_clEvEUldE_EEvS5_RKT_EUlibE_EEviT1_,comdat
.Lfunc_end5:
	.size	_ZN2at6native32elementwise_kernel_manual_unrollILi128ELi4EZNS0_22gpu_kernel_impl_nocastIZZZNS0_12_GLOBAL__N_117hardshrink_kernelERNS_18TensorIteratorBaseERKN3c106ScalarEENKUlvE_clEvENKUlvE_clEvEUldE_EEvS5_RKT_EUlibE_EEviT1_, .Lfunc_end5-_ZN2at6native32elementwise_kernel_manual_unrollILi128ELi4EZNS0_22gpu_kernel_impl_nocastIZZZNS0_12_GLOBAL__N_117hardshrink_kernelERNS_18TensorIteratorBaseERKN3c106ScalarEENKUlvE_clEvENKUlvE_clEvEUldE_EEvS5_RKT_EUlibE_EEviT1_
                                        ; -- End function
	.section	.AMDGPU.csdata,"",@progbits
; Kernel info:
; codeLenInByte = 6052
; NumSgprs: 66
; NumVgprs: 24
; NumAgprs: 0
; TotalNumVgprs: 24
; ScratchSize: 0
; MemoryBound: 0
; FloatMode: 240
; IeeeMode: 1
; LDSByteSize: 0 bytes/workgroup (compile time only)
; SGPRBlocks: 8
; VGPRBlocks: 2
; NumSGPRsForWavesPerEU: 66
; NumVGPRsForWavesPerEU: 24
; AccumOffset: 24
; Occupancy: 8
; WaveLimiterHint : 1
; COMPUTE_PGM_RSRC2:SCRATCH_EN: 0
; COMPUTE_PGM_RSRC2:USER_SGPR: 6
; COMPUTE_PGM_RSRC2:TRAP_HANDLER: 0
; COMPUTE_PGM_RSRC2:TGID_X_EN: 1
; COMPUTE_PGM_RSRC2:TGID_Y_EN: 0
; COMPUTE_PGM_RSRC2:TGID_Z_EN: 0
; COMPUTE_PGM_RSRC2:TIDIG_COMP_CNT: 0
; COMPUTE_PGM_RSRC3_GFX90A:ACCUM_OFFSET: 5
; COMPUTE_PGM_RSRC3_GFX90A:TG_SPLIT: 0
	.section	.text._ZN2at6native32elementwise_kernel_manual_unrollILi128ELi4EZNS0_15gpu_kernel_implIZZZNS0_12_GLOBAL__N_117hardshrink_kernelERNS_18TensorIteratorBaseERKN3c106ScalarEENKUlvE_clEvENKUlvE_clEvEUldE_EEvS5_RKT_EUlibE_EEviT1_,"axG",@progbits,_ZN2at6native32elementwise_kernel_manual_unrollILi128ELi4EZNS0_15gpu_kernel_implIZZZNS0_12_GLOBAL__N_117hardshrink_kernelERNS_18TensorIteratorBaseERKN3c106ScalarEENKUlvE_clEvENKUlvE_clEvEUldE_EEvS5_RKT_EUlibE_EEviT1_,comdat
	.globl	_ZN2at6native32elementwise_kernel_manual_unrollILi128ELi4EZNS0_15gpu_kernel_implIZZZNS0_12_GLOBAL__N_117hardshrink_kernelERNS_18TensorIteratorBaseERKN3c106ScalarEENKUlvE_clEvENKUlvE_clEvEUldE_EEvS5_RKT_EUlibE_EEviT1_ ; -- Begin function _ZN2at6native32elementwise_kernel_manual_unrollILi128ELi4EZNS0_15gpu_kernel_implIZZZNS0_12_GLOBAL__N_117hardshrink_kernelERNS_18TensorIteratorBaseERKN3c106ScalarEENKUlvE_clEvENKUlvE_clEvEUldE_EEvS5_RKT_EUlibE_EEviT1_
	.p2align	8
	.type	_ZN2at6native32elementwise_kernel_manual_unrollILi128ELi4EZNS0_15gpu_kernel_implIZZZNS0_12_GLOBAL__N_117hardshrink_kernelERNS_18TensorIteratorBaseERKN3c106ScalarEENKUlvE_clEvENKUlvE_clEvEUldE_EEvS5_RKT_EUlibE_EEviT1_,@function
_ZN2at6native32elementwise_kernel_manual_unrollILi128ELi4EZNS0_15gpu_kernel_implIZZZNS0_12_GLOBAL__N_117hardshrink_kernelERNS_18TensorIteratorBaseERKN3c106ScalarEENKUlvE_clEvENKUlvE_clEvEUldE_EEvS5_RKT_EUlibE_EEviT1_: ; @_ZN2at6native32elementwise_kernel_manual_unrollILi128ELi4EZNS0_15gpu_kernel_implIZZZNS0_12_GLOBAL__N_117hardshrink_kernelERNS_18TensorIteratorBaseERKN3c106ScalarEENKUlvE_clEvENKUlvE_clEvEUldE_EEvS5_RKT_EUlibE_EEviT1_
; %bb.0:
	s_load_dword s33, s[4:5], 0x28
	s_load_dword s40, s[4:5], 0x0
	s_load_dwordx8 s[8:15], s[4:5], 0x8
	v_lshl_or_b32 v10, s6, 9, v0
	v_or_b32_e32 v0, 0x180, v10
	s_waitcnt lgkmcnt(0)
	v_lshrrev_b16_e64 v11, 8, s33
	v_cmp_le_i32_e32 vcc, s40, v0
	s_mov_b64 s[2:3], 0
	s_mov_b64 s[6:7], 0
	s_and_saveexec_b64 s[0:1], vcc
	s_xor_b64 s[4:5], exec, s[0:1]
	s_cbranch_execz .LBB6_1027
; %bb.1:
	v_cmp_gt_i32_e32 vcc, s40, v10
	s_mov_b64 s[20:21], -1
	s_mov_b64 s[22:23], 0
	s_mov_b64 s[16:17], 0
	s_and_saveexec_b64 s[18:19], vcc
	s_cbranch_execz .LBB6_252
; %bb.2:
	v_mul_lo_u32 v0, v10, s13
	v_ashrrev_i32_e32 v1, 31, v0
	v_mov_b32_e32 v2, s11
	v_add_co_u32_e32 v0, vcc, s10, v0
	v_addc_co_u32_e32 v1, vcc, v2, v1, vcc
	v_cmp_gt_i16_e32 vcc, 11, v11
	s_cbranch_vccnz .LBB6_9
; %bb.3:
	v_cmp_lt_i16_e32 vcc, 25, v11
	s_cbranch_vccz .LBB6_18
; %bb.4:
	v_cmp_lt_i16_e32 vcc, 28, v11
	s_cbranch_vccz .LBB6_22
	;; [unrolled: 3-line block ×4, first 2 shown]
; %bb.7:
	v_cmp_eq_u16_e32 vcc, 46, v11
	s_cbranch_vccz .LBB6_28
; %bb.8:
	global_load_dword v2, v[0:1], off
	s_mov_b64 s[0:1], -1
	s_waitcnt vmcnt(0)
	v_lshlrev_b32_e32 v2, 16, v2
	v_cvt_f64_f32_e32 v[2:3], v2
	s_branch .LBB6_30
.LBB6_9:
                                        ; implicit-def: $vgpr2_vgpr3
	s_mov_b64 s[0:1], 0
	s_cbranch_execnz .LBB6_203
.LBB6_10:
	s_andn2_b64 vcc, exec, s[0:1]
	s_cbranch_vccnz .LBB6_250
.LBB6_11:
	s_waitcnt vmcnt(0)
	v_cmp_nge_f64_e64 s[0:1], v[2:3], -s[14:15]
	v_cmp_nge_f64_e32 vcc, s[14:15], v[2:3]
	s_or_b64 vcc, s[0:1], vcc
	v_cndmask_b32_e32 v0, 0, v2, vcc
	v_mul_lo_u32 v2, v10, s12
	v_cndmask_b32_e32 v1, 0, v3, vcc
	v_ashrrev_i32_e32 v3, 31, v2
	v_mov_b32_e32 v5, s9
	v_add_co_u32_e32 v4, vcc, s8, v2
	v_mov_b32_e32 v2, 11
	v_addc_co_u32_e32 v5, vcc, v5, v3, vcc
	v_cmp_lt_i16_sdwa s[0:1], s33, v2 src0_sel:BYTE_0 src1_sel:DWORD
	s_and_b64 vcc, exec, s[0:1]
	s_cbranch_vccnz .LBB6_19
; %bb.12:
	v_mov_b32_e32 v2, 25
	v_cmp_gt_i16_sdwa s[0:1], s33, v2 src0_sel:BYTE_0 src1_sel:DWORD
	s_and_b64 vcc, exec, s[0:1]
	s_cbranch_vccz .LBB6_23
; %bb.13:
	v_mov_b32_e32 v2, 28
	v_cmp_gt_i16_sdwa s[0:1], s33, v2 src0_sel:BYTE_0 src1_sel:DWORD
	s_and_b64 vcc, exec, s[0:1]
	s_cbranch_vccz .LBB6_25
	;; [unrolled: 5-line block ×4, first 2 shown]
; %bb.16:
	v_mov_b32_e32 v2, 46
	v_cmp_eq_u16_sdwa s[6:7], s33, v2 src0_sel:BYTE_0 src1_sel:DWORD
	s_mov_b64 s[20:21], 0
	s_mov_b64 s[0:1], -1
	s_and_b64 vcc, exec, s[6:7]
	s_mov_b64 s[6:7], 0
	s_cbranch_vccz .LBB6_34
; %bb.17:
	v_cvt_f32_f64_e32 v2, v[0:1]
	v_bfe_u32 v3, v2, 16, 1
	s_movk_i32 s0, 0x7fff
	v_add3_u32 v3, v2, v3, s0
	v_lshrrev_b32_e32 v3, 16, v3
	v_mov_b32_e32 v6, 0x7fc0
	v_cmp_o_f32_e32 vcc, v2, v2
	v_cndmask_b32_e32 v2, v6, v3, vcc
	global_store_dword v[4:5], v2, off
	s_mov_b64 s[6:7], -1
	s_mov_b64 s[0:1], 0
	s_branch .LBB6_34
.LBB6_18:
	s_mov_b64 s[0:1], 0
                                        ; implicit-def: $vgpr2_vgpr3
	s_cbranch_execnz .LBB6_168
	s_branch .LBB6_202
.LBB6_19:
	s_mov_b64 s[0:1], 0
	s_mov_b64 s[6:7], 0
	s_cbranch_execnz .LBB6_103
.LBB6_20:
	s_andn2_b64 vcc, exec, s[6:7]
	s_cbranch_vccnz .LBB6_141
.LBB6_21:
	v_add_u32_e32 v10, 0x80, v10
	s_mov_b64 s[20:21], -1
	s_branch .LBB6_251
.LBB6_22:
	s_mov_b64 s[6:7], -1
	s_mov_b64 s[0:1], 0
                                        ; implicit-def: $vgpr2_vgpr3
	s_branch .LBB6_149
.LBB6_23:
	s_mov_b64 s[20:21], -1
	s_mov_b64 s[0:1], 0
	s_mov_b64 s[6:7], 0
	s_branch .LBB6_61
.LBB6_24:
	s_mov_b64 s[6:7], -1
	s_mov_b64 s[0:1], 0
                                        ; implicit-def: $vgpr2_vgpr3
	s_branch .LBB6_144
.LBB6_25:
	s_mov_b64 s[20:21], -1
	s_mov_b64 s[0:1], 0
	s_mov_b64 s[6:7], 0
	s_branch .LBB6_44
.LBB6_26:
	s_mov_b64 s[6:7], -1
	s_branch .LBB6_29
.LBB6_27:
	s_mov_b64 s[20:21], -1
	s_mov_b64 s[0:1], 0
	s_mov_b64 s[6:7], 0
	s_branch .LBB6_40
.LBB6_28:
	s_mov_b64 s[16:17], -1
.LBB6_29:
	s_mov_b64 s[0:1], 0
                                        ; implicit-def: $vgpr2_vgpr3
.LBB6_30:
	s_and_b64 vcc, exec, s[6:7]
	s_cbranch_vccz .LBB6_143
; %bb.31:
	v_cmp_eq_u16_e32 vcc, 44, v11
	s_cbranch_vccz .LBB6_142
; %bb.32:
	global_load_ubyte v4, v[0:1], off
	s_movk_i32 s6, 0xff
	v_bfrev_b32_e32 v5, 4
	v_mov_b32_e32 v6, 0x7ff80000
	v_bfrev_b32_e32 v7, 28
	s_mov_b64 s[0:1], -1
	s_mov_b64 s[16:17], 0
	s_waitcnt vmcnt(0)
	v_lshlrev_b32_e32 v2, 23, v4
	v_cvt_f64_f32_e32 v[2:3], v2
	v_cmp_ne_u32_e32 vcc, s6, v4
	v_cndmask_b32_e32 v2, v5, v2, vcc
	v_cndmask_b32_e32 v3, v6, v3, vcc
	v_cmp_ne_u32_e32 vcc, 0, v4
	v_cndmask_b32_e32 v3, v7, v3, vcc
	v_cndmask_b32_e32 v2, 0, v2, vcc
	s_branch .LBB6_143
.LBB6_33:
	s_mov_b64 s[20:21], -1
	s_mov_b64 s[0:1], 0
	s_mov_b64 s[6:7], 0
.LBB6_34:
	s_and_b64 vcc, exec, s[20:21]
	s_cbranch_vccz .LBB6_39
; %bb.35:
	v_mov_b32_e32 v2, 44
	v_cmp_eq_u16_sdwa s[20:21], s33, v2 src0_sel:BYTE_0 src1_sel:DWORD
	s_mov_b64 s[0:1], -1
	s_and_b64 vcc, exec, s[20:21]
	s_cbranch_vccz .LBB6_39
; %bb.36:
	v_cvt_f32_f64_e32 v2, v[0:1]
	v_bfe_u32 v3, v2, 23, 8
	s_movk_i32 s0, 0xff
	v_cmp_ne_u32_e32 vcc, s0, v3
	v_mov_b32_e32 v6, 0xff
	s_and_saveexec_b64 s[6:7], vcc
; %bb.37:
	s_mov_b32 s0, 0x3fffff
	v_lshrrev_b32_e32 v6, 23, v2
	v_and_b32_e32 v7, 0x400000, v2
	v_and_or_b32 v2, v2, s0, v3
	v_cmp_ne_u32_e32 vcc, 0, v7
	v_cmp_ne_u32_e64 s[0:1], 0, v2
	s_and_b64 s[0:1], vcc, s[0:1]
	v_cndmask_b32_e64 v2, 0, 1, s[0:1]
	v_add_u32_e32 v6, v6, v2
; %bb.38:
	s_or_b64 exec, exec, s[6:7]
	s_mov_b64 s[6:7], -1
	s_mov_b64 s[0:1], 0
	global_store_byte v[4:5], v6, off
.LBB6_39:
	s_mov_b64 s[20:21], 0
.LBB6_40:
	s_and_b64 vcc, exec, s[20:21]
	s_cbranch_vccz .LBB6_43
; %bb.41:
	v_mov_b32_e32 v2, 29
	v_cmp_eq_u16_sdwa s[20:21], s33, v2 src0_sel:BYTE_0 src1_sel:DWORD
	s_mov_b64 s[0:1], -1
	s_and_b64 vcc, exec, s[20:21]
	s_cbranch_vccz .LBB6_43
; %bb.42:
	v_trunc_f64_e32 v[2:3], v[0:1]
	s_movk_i32 s0, 0xffe0
	v_ldexp_f64 v[6:7], v[2:3], s0
	v_floor_f64_e32 v[6:7], v[6:7]
	v_fmac_f64_e32 v[2:3], 0xc1f00000, v[6:7]
	v_cvt_u32_f64_e32 v9, v[6:7]
	v_cvt_u32_f64_e32 v8, v[2:3]
	global_store_dwordx2 v[4:5], v[8:9], off
	s_mov_b64 s[6:7], -1
	s_mov_b64 s[0:1], 0
.LBB6_43:
	s_mov_b64 s[20:21], 0
.LBB6_44:
	s_and_b64 vcc, exec, s[20:21]
	s_cbranch_vccz .LBB6_60
; %bb.45:
	v_mov_b32_e32 v2, 27
	v_cmp_lt_i16_sdwa s[20:21], s33, v2 src0_sel:BYTE_0 src1_sel:DWORD
	s_mov_b64 s[6:7], -1
	s_and_b64 vcc, exec, s[20:21]
	s_cbranch_vccnz .LBB6_51
; %bb.46:
	v_cmp_gt_i16_sdwa s[20:21], s33, v2 src0_sel:BYTE_0 src1_sel:DWORD
	s_and_b64 vcc, exec, s[20:21]
	v_cvt_u32_f64_e32 v2, v[0:1]
	s_cbranch_vccz .LBB6_48
; %bb.47:
	s_mov_b64 s[6:7], 0
	global_store_dword v[4:5], v2, off
.LBB6_48:
	s_andn2_b64 vcc, exec, s[6:7]
	s_cbranch_vccnz .LBB6_50
; %bb.49:
	global_store_short v[4:5], v2, off
.LBB6_50:
	s_mov_b64 s[6:7], 0
.LBB6_51:
	s_andn2_b64 vcc, exec, s[6:7]
	s_cbranch_vccnz .LBB6_59
; %bb.52:
	v_cvt_f32_f64_e32 v2, v[0:1]
	v_and_b32_e32 v3, 0x7fffffff, v2
	s_mov_b32 s6, 0x43800000
	v_cmp_gt_u32_e32 vcc, s6, v3
	v_mov_b32_e32 v6, 0x80
	s_and_saveexec_b64 s[6:7], vcc
	s_cbranch_execz .LBB6_58
; %bb.53:
	s_mov_b32 s20, 0x3bffffff
	v_cmp_lt_u32_e32 vcc, s20, v3
	s_mov_b64 s[20:21], 0
                                        ; implicit-def: $vgpr3
	s_and_saveexec_b64 s[24:25], vcc
	s_xor_b64 s[24:25], exec, s[24:25]
	s_cbranch_execz .LBB6_279
; %bb.54:
	v_bfe_u32 v3, v2, 20, 1
	s_mov_b32 s26, 0x487ffff
	v_add3_u32 v3, v2, v3, s26
	s_mov_b64 s[20:21], exec
	v_lshrrev_b32_e32 v3, 20, v3
	s_or_saveexec_b64 s[24:25], s[24:25]
                                        ; implicit-def: $sgpr26
	s_xor_b64 exec, exec, s[24:25]
	s_cbranch_execnz .LBB6_280
.LBB6_55:
	s_or_b64 exec, exec, s[24:25]
	v_mov_b32_e32 v6, s26
	s_and_saveexec_b64 s[24:25], s[20:21]
.LBB6_56:
	v_lshrrev_b32_e32 v2, 24, v2
	s_movk_i32 s20, 0x80
	v_and_or_b32 v6, v2, s20, v3
.LBB6_57:
	s_or_b64 exec, exec, s[24:25]
.LBB6_58:
	s_or_b64 exec, exec, s[6:7]
	global_store_byte v[4:5], v6, off
.LBB6_59:
	s_mov_b64 s[6:7], -1
.LBB6_60:
	s_mov_b64 s[20:21], 0
.LBB6_61:
	s_and_b64 vcc, exec, s[20:21]
	s_cbranch_vccz .LBB6_102
; %bb.62:
	v_mov_b32_e32 v2, 22
	v_cmp_gt_i16_sdwa s[24:25], s33, v2 src0_sel:BYTE_0 src1_sel:DWORD
	s_mov_b64 s[20:21], -1
	s_and_b64 vcc, exec, s[24:25]
	s_cbranch_vccz .LBB6_94
; %bb.63:
	v_mov_b32_e32 v2, 24
	v_cmp_lt_i16_sdwa s[20:21], s33, v2 src0_sel:BYTE_0 src1_sel:DWORD
	s_mov_b64 s[6:7], -1
	s_and_b64 vcc, exec, s[20:21]
	s_cbranch_vccnz .LBB6_83
; %bb.64:
	v_cmp_gt_i16_sdwa s[20:21], s33, v2 src0_sel:BYTE_0 src1_sel:DWORD
	s_and_b64 vcc, exec, s[20:21]
	s_cbranch_vccz .LBB6_72
; %bb.65:
	v_cvt_f32_f64_e32 v2, v[0:1]
	v_and_b32_e32 v3, 0x7fffffff, v2
	s_mov_b32 s6, 0x47800000
	v_cmp_gt_u32_e32 vcc, s6, v3
	v_mov_b32_e32 v6, 0x80
	s_and_saveexec_b64 s[6:7], vcc
	s_cbranch_execz .LBB6_71
; %bb.66:
	s_mov_b32 s20, 0x37ffffff
	v_cmp_lt_u32_e32 vcc, s20, v3
	s_mov_b64 s[20:21], 0
                                        ; implicit-def: $vgpr3
	s_and_saveexec_b64 s[24:25], vcc
	s_xor_b64 s[24:25], exec, s[24:25]
	s_cbranch_execz .LBB6_283
; %bb.67:
	v_bfe_u32 v3, v2, 21, 1
	s_mov_b32 s26, 0x88fffff
	v_add3_u32 v3, v2, v3, s26
	s_mov_b64 s[20:21], exec
	v_lshrrev_b32_e32 v3, 21, v3
	s_or_saveexec_b64 s[24:25], s[24:25]
                                        ; implicit-def: $sgpr26
	s_xor_b64 exec, exec, s[24:25]
	s_cbranch_execnz .LBB6_284
.LBB6_68:
	s_or_b64 exec, exec, s[24:25]
	v_mov_b32_e32 v6, s26
	s_and_saveexec_b64 s[24:25], s[20:21]
.LBB6_69:
	v_lshrrev_b32_e32 v2, 24, v2
	s_movk_i32 s20, 0x80
	v_and_or_b32 v6, v2, s20, v3
.LBB6_70:
	s_or_b64 exec, exec, s[24:25]
.LBB6_71:
	s_or_b64 exec, exec, s[6:7]
	s_mov_b64 s[6:7], 0
	global_store_byte v[4:5], v6, off
.LBB6_72:
	s_and_b64 vcc, exec, s[6:7]
	s_cbranch_vccz .LBB6_82
; %bb.73:
	v_cvt_f32_f64_e32 v2, v[0:1]
	v_and_b32_e32 v6, 0x7fffffff, v2
	s_mov_b32 s6, 0x43f00000
	v_cmp_gt_u32_e32 vcc, s6, v6
                                        ; implicit-def: $vgpr3
	s_and_saveexec_b64 s[6:7], vcc
	s_xor_b64 s[6:7], exec, s[6:7]
	s_cbranch_execz .LBB6_79
; %bb.74:
	s_mov_b32 s20, 0x3c7fffff
	v_cmp_lt_u32_e32 vcc, s20, v6
                                        ; implicit-def: $vgpr3
	s_and_saveexec_b64 s[20:21], vcc
	s_xor_b64 s[20:21], exec, s[20:21]
; %bb.75:
	v_bfe_u32 v3, v2, 20, 1
	s_mov_b32 s24, 0x407ffff
	v_add3_u32 v3, v2, v3, s24
	v_lshrrev_b32_e32 v6, 20, v3
	v_and_b32_e32 v3, 0xff00000, v3
	s_mov_b32 s24, 0x7f00000
	v_mov_b32_e32 v7, 0x7e
	v_cmp_ne_u32_e32 vcc, s24, v3
	v_cndmask_b32_e32 v3, v7, v6, vcc
; %bb.76:
	s_andn2_saveexec_b64 s[20:21], s[20:21]
; %bb.77:
	s_mov_b32 s24, 0x46800000
	v_add_f32_e64 v3, |v2|, s24
; %bb.78:
	s_or_b64 exec, exec, s[20:21]
                                        ; implicit-def: $vgpr6
.LBB6_79:
	s_andn2_saveexec_b64 s[6:7], s[6:7]
; %bb.80:
	s_mov_b32 s20, 0x7f800000
	v_mov_b32_e32 v3, 0x7e
	v_mov_b32_e32 v7, 0x7f
	v_cmp_lt_u32_e32 vcc, s20, v6
	v_cndmask_b32_e32 v3, v3, v7, vcc
; %bb.81:
	s_or_b64 exec, exec, s[6:7]
	v_lshrrev_b32_e32 v2, 24, v2
	s_movk_i32 s6, 0x80
	v_and_or_b32 v2, v2, s6, v3
	global_store_byte v[4:5], v2, off
.LBB6_82:
	s_mov_b64 s[6:7], 0
.LBB6_83:
	s_andn2_b64 vcc, exec, s[6:7]
	s_cbranch_vccnz .LBB6_93
; %bb.84:
	v_cvt_f32_f64_e32 v2, v[0:1]
	v_and_b32_e32 v6, 0x7fffffff, v2
	s_mov_b32 s6, 0x47800000
	v_cmp_gt_u32_e32 vcc, s6, v6
                                        ; implicit-def: $vgpr3
	s_and_saveexec_b64 s[6:7], vcc
	s_xor_b64 s[6:7], exec, s[6:7]
	s_cbranch_execz .LBB6_90
; %bb.85:
	s_mov_b32 s20, 0x387fffff
	v_cmp_lt_u32_e32 vcc, s20, v6
                                        ; implicit-def: $vgpr3
	s_and_saveexec_b64 s[20:21], vcc
	s_xor_b64 s[20:21], exec, s[20:21]
; %bb.86:
	v_bfe_u32 v3, v2, 21, 1
	s_mov_b32 s24, 0x80fffff
	v_add3_u32 v3, v2, v3, s24
	v_lshrrev_b32_e32 v3, 21, v3
; %bb.87:
	s_andn2_saveexec_b64 s[20:21], s[20:21]
; %bb.88:
	s_mov_b32 s24, 0x43000000
	v_add_f32_e64 v3, |v2|, s24
; %bb.89:
	s_or_b64 exec, exec, s[20:21]
                                        ; implicit-def: $vgpr6
.LBB6_90:
	s_andn2_saveexec_b64 s[6:7], s[6:7]
; %bb.91:
	s_mov_b32 s20, 0x7f800000
	v_mov_b32_e32 v3, 0x7c
	v_mov_b32_e32 v7, 0x7f
	v_cmp_lt_u32_e32 vcc, s20, v6
	v_cndmask_b32_e32 v3, v3, v7, vcc
; %bb.92:
	s_or_b64 exec, exec, s[6:7]
	v_lshrrev_b32_e32 v2, 24, v2
	s_movk_i32 s6, 0x80
	v_and_or_b32 v2, v2, s6, v3
	global_store_byte v[4:5], v2, off
.LBB6_93:
	s_mov_b64 s[20:21], 0
	s_mov_b64 s[6:7], -1
.LBB6_94:
	s_andn2_b64 vcc, exec, s[20:21]
	s_cbranch_vccnz .LBB6_102
; %bb.95:
	v_mov_b32_e32 v2, 14
	v_cmp_gt_i16_sdwa s[24:25], s33, v2 src0_sel:BYTE_0 src1_sel:DWORD
	s_mov_b64 s[20:21], -1
	s_and_b64 vcc, exec, s[24:25]
	s_cbranch_vccz .LBB6_99
; %bb.96:
	v_mov_b32_e32 v2, 15
	v_cmp_eq_u16_sdwa s[20:21], s33, v2 src0_sel:BYTE_0 src1_sel:DWORD
	s_mov_b64 s[0:1], -1
	s_and_b64 vcc, exec, s[20:21]
	s_cbranch_vccz .LBB6_98
; %bb.97:
	v_cvt_f32_f64_e32 v2, v[0:1]
	v_bfe_u32 v3, v2, 16, 1
	s_movk_i32 s0, 0x7fff
	v_add3_u32 v3, v2, v3, s0
	v_lshrrev_b32_e32 v3, 16, v3
	v_mov_b32_e32 v6, 0x7fc0
	v_cmp_o_f32_e32 vcc, v2, v2
	v_cndmask_b32_e32 v2, v6, v3, vcc
	global_store_short v[4:5], v2, off
	s_mov_b64 s[6:7], -1
	s_mov_b64 s[0:1], 0
.LBB6_98:
	s_mov_b64 s[20:21], 0
.LBB6_99:
	s_and_b64 vcc, exec, s[20:21]
	s_cbranch_vccz .LBB6_102
; %bb.100:
	v_mov_b32_e32 v2, 11
	v_cmp_eq_u16_sdwa s[20:21], s33, v2 src0_sel:BYTE_0 src1_sel:DWORD
	s_mov_b64 s[0:1], -1
	s_and_b64 vcc, exec, s[20:21]
	s_cbranch_vccz .LBB6_102
; %bb.101:
	v_cmp_neq_f64_e32 vcc, 0, v[0:1]
	s_mov_b64 s[0:1], 0
	v_cndmask_b32_e64 v2, 0, 1, vcc
	s_mov_b64 s[6:7], -1
	global_store_byte v[4:5], v2, off
.LBB6_102:
	s_branch .LBB6_20
.LBB6_103:
	v_mov_b32_e32 v2, 5
	v_cmp_lt_i16_sdwa s[20:21], s33, v2 src0_sel:BYTE_0 src1_sel:DWORD
	s_mov_b64 s[6:7], -1
	s_and_b64 vcc, exec, s[20:21]
	s_cbranch_vccnz .LBB6_124
; %bb.104:
	v_mov_b32_e32 v2, 8
	v_cmp_lt_i16_sdwa s[20:21], s33, v2 src0_sel:BYTE_0 src1_sel:DWORD
	s_and_b64 vcc, exec, s[20:21]
	s_cbranch_vccnz .LBB6_114
; %bb.105:
	v_mov_b32_e32 v2, 9
	v_cmp_lt_i16_sdwa s[20:21], s33, v2 src0_sel:BYTE_0 src1_sel:DWORD
	s_and_b64 vcc, exec, s[20:21]
	s_cbranch_vccnz .LBB6_111
; %bb.106:
	v_cmp_gt_i16_sdwa s[20:21], s33, v2 src0_sel:BYTE_0 src1_sel:DWORD
	s_and_b64 vcc, exec, s[20:21]
	s_cbranch_vccz .LBB6_108
; %bb.107:
	v_mov_b32_e32 v2, 0
	v_mov_b32_e32 v3, v2
	global_store_dwordx4 v[4:5], v[0:3], off
	s_mov_b64 s[6:7], 0
.LBB6_108:
	s_andn2_b64 vcc, exec, s[6:7]
	s_cbranch_vccnz .LBB6_110
; %bb.109:
	v_cvt_f32_f64_e32 v2, v[0:1]
	v_mov_b32_e32 v3, 0
	global_store_dwordx2 v[4:5], v[2:3], off
.LBB6_110:
	s_mov_b64 s[6:7], 0
.LBB6_111:
	s_andn2_b64 vcc, exec, s[6:7]
	s_cbranch_vccnz .LBB6_113
; %bb.112:
	v_cvt_f32_f64_e32 v2, v[0:1]
	v_cvt_f16_f32_e32 v2, v2
	global_store_dword v[4:5], v2, off
.LBB6_113:
	s_mov_b64 s[6:7], 0
.LBB6_114:
	s_andn2_b64 vcc, exec, s[6:7]
	s_cbranch_vccnz .LBB6_123
; %bb.115:
	v_mov_b32_e32 v2, 6
	v_cmp_lt_i16_sdwa s[20:21], s33, v2 src0_sel:BYTE_0 src1_sel:DWORD
	s_mov_b64 s[6:7], -1
	s_and_b64 vcc, exec, s[20:21]
	s_cbranch_vccnz .LBB6_121
; %bb.116:
	v_cmp_gt_i16_sdwa s[20:21], s33, v2 src0_sel:BYTE_0 src1_sel:DWORD
	s_and_b64 vcc, exec, s[20:21]
	s_cbranch_vccz .LBB6_118
; %bb.117:
	global_store_dwordx2 v[4:5], v[0:1], off
	s_mov_b64 s[6:7], 0
.LBB6_118:
	s_andn2_b64 vcc, exec, s[6:7]
	s_cbranch_vccnz .LBB6_120
; %bb.119:
	v_cvt_f32_f64_e32 v2, v[0:1]
	global_store_dword v[4:5], v2, off
.LBB6_120:
	s_mov_b64 s[6:7], 0
.LBB6_121:
	s_andn2_b64 vcc, exec, s[6:7]
	s_cbranch_vccnz .LBB6_123
; %bb.122:
	v_cvt_f32_f64_e32 v2, v[0:1]
	v_cvt_f16_f32_e32 v2, v2
	global_store_short v[4:5], v2, off
.LBB6_123:
	s_mov_b64 s[6:7], 0
.LBB6_124:
	s_andn2_b64 vcc, exec, s[6:7]
	s_cbranch_vccnz .LBB6_140
; %bb.125:
	v_mov_b32_e32 v2, 2
	v_cmp_lt_i16_sdwa s[20:21], s33, v2 src0_sel:BYTE_0 src1_sel:DWORD
	s_mov_b64 s[6:7], -1
	s_and_b64 vcc, exec, s[20:21]
	s_cbranch_vccnz .LBB6_135
; %bb.126:
	v_mov_b32_e32 v2, 3
	v_cmp_lt_i16_sdwa s[20:21], s33, v2 src0_sel:BYTE_0 src1_sel:DWORD
	s_and_b64 vcc, exec, s[20:21]
	s_cbranch_vccnz .LBB6_132
; %bb.127:
	v_cmp_gt_i16_sdwa s[20:21], s33, v2 src0_sel:BYTE_0 src1_sel:DWORD
	s_and_b64 vcc, exec, s[20:21]
	s_cbranch_vccz .LBB6_129
; %bb.128:
	v_trunc_f64_e32 v[2:3], v[0:1]
	s_movk_i32 s6, 0xffe0
	v_ldexp_f64 v[6:7], v[2:3], s6
	v_floor_f64_e32 v[6:7], v[6:7]
	v_fmac_f64_e32 v[2:3], 0xc1f00000, v[6:7]
	v_cvt_i32_f64_e32 v9, v[6:7]
	v_cvt_u32_f64_e32 v8, v[2:3]
	global_store_dwordx2 v[4:5], v[8:9], off
	s_mov_b64 s[6:7], 0
.LBB6_129:
	s_andn2_b64 vcc, exec, s[6:7]
	s_cbranch_vccnz .LBB6_131
; %bb.130:
	v_cvt_i32_f64_e32 v2, v[0:1]
	global_store_dword v[4:5], v2, off
.LBB6_131:
	s_mov_b64 s[6:7], 0
.LBB6_132:
	s_andn2_b64 vcc, exec, s[6:7]
	s_cbranch_vccnz .LBB6_134
; %bb.133:
	v_cvt_i32_f64_e32 v2, v[0:1]
	global_store_short v[4:5], v2, off
.LBB6_134:
	s_mov_b64 s[6:7], 0
.LBB6_135:
	s_andn2_b64 vcc, exec, s[6:7]
	s_cbranch_vccnz .LBB6_140
; %bb.136:
	v_mov_b32_e32 v2, 0
	v_cmp_gt_i16_sdwa s[20:21], s33, v2 src0_sel:BYTE_0 src1_sel:DWORD
	s_mov_b64 s[6:7], -1
	s_and_b64 vcc, exec, s[20:21]
	s_cbranch_vccz .LBB6_138
; %bb.137:
	v_cvt_i32_f64_e32 v2, v[0:1]
	global_store_byte v[4:5], v2, off
	s_mov_b64 s[6:7], 0
.LBB6_138:
	s_andn2_b64 vcc, exec, s[6:7]
	s_cbranch_vccnz .LBB6_140
; %bb.139:
	v_trunc_f64_e32 v[0:1], v[0:1]
	s_movk_i32 s6, 0xffe0
	v_ldexp_f64 v[2:3], v[0:1], s6
	v_floor_f64_e32 v[2:3], v[2:3]
	v_fmac_f64_e32 v[0:1], 0xc1f00000, v[2:3]
	v_cvt_u32_f64_e32 v0, v[0:1]
	global_store_byte v[4:5], v0, off
.LBB6_140:
	s_branch .LBB6_21
.LBB6_141:
	s_mov_b64 s[20:21], 0
                                        ; implicit-def: $vgpr10
	s_branch .LBB6_251
.LBB6_142:
	s_mov_b64 s[16:17], -1
                                        ; implicit-def: $vgpr2_vgpr3
.LBB6_143:
	s_mov_b64 s[6:7], 0
.LBB6_144:
	s_and_b64 vcc, exec, s[6:7]
	s_cbranch_vccz .LBB6_148
; %bb.145:
	v_cmp_eq_u16_e32 vcc, 29, v11
	s_cbranch_vccz .LBB6_147
; %bb.146:
	global_load_dwordx2 v[2:3], v[0:1], off
	s_mov_b64 s[0:1], -1
	s_mov_b64 s[16:17], 0
	s_mov_b64 s[6:7], 0
	s_waitcnt vmcnt(0)
	v_cvt_f64_u32_e32 v[4:5], v3
	v_cvt_f64_u32_e32 v[2:3], v2
	v_ldexp_f64 v[4:5], v[4:5], 32
	v_add_f64 v[2:3], v[4:5], v[2:3]
	s_branch .LBB6_149
.LBB6_147:
	s_mov_b64 s[16:17], -1
                                        ; implicit-def: $vgpr2_vgpr3
.LBB6_148:
	s_mov_b64 s[6:7], 0
.LBB6_149:
	s_and_b64 vcc, exec, s[6:7]
	s_cbranch_vccz .LBB6_167
; %bb.150:
	v_cmp_gt_i16_e32 vcc, 27, v11
	s_cbranch_vccnz .LBB6_153
; %bb.151:
	v_cmp_lt_i16_e32 vcc, 27, v11
	s_cbranch_vccz .LBB6_154
; %bb.152:
	global_load_dword v2, v[0:1], off
	s_mov_b64 s[0:1], 0
	s_waitcnt vmcnt(0)
	v_cvt_f64_u32_e32 v[2:3], v2
	s_branch .LBB6_155
.LBB6_153:
	s_mov_b64 s[0:1], -1
                                        ; implicit-def: $vgpr2_vgpr3
	s_branch .LBB6_158
.LBB6_154:
	s_mov_b64 s[0:1], -1
                                        ; implicit-def: $vgpr2_vgpr3
.LBB6_155:
	s_andn2_b64 vcc, exec, s[0:1]
	s_cbranch_vccnz .LBB6_157
; %bb.156:
	global_load_ushort v2, v[0:1], off
	s_waitcnt vmcnt(0)
	v_cvt_f64_u32_e32 v[2:3], v2
.LBB6_157:
	s_mov_b64 s[0:1], 0
.LBB6_158:
	s_andn2_b64 vcc, exec, s[0:1]
	s_cbranch_vccnz .LBB6_166
; %bb.159:
	global_load_ubyte v4, v[0:1], off
	s_movk_i32 s0, 0x7f
                                        ; implicit-def: $sgpr6_sgpr7
	s_waitcnt vmcnt(0)
	v_cmp_lt_i16_e32 vcc, s0, v4
	s_mov_b64 s[0:1], 0
	s_and_saveexec_b64 s[20:21], vcc
	s_xor_b64 s[20:21], exec, s[20:21]
	s_cbranch_execz .LBB6_179
; %bb.160:
	s_movk_i32 s0, 0x80
	v_cmp_eq_u16_e32 vcc, s0, v4
	s_mov_b64 s[24:25], -1
                                        ; implicit-def: $sgpr6_sgpr7
	s_and_saveexec_b64 s[0:1], vcc
; %bb.161:
	s_mov_b32 s7, 0x7ff80000
	s_brev_b32 s6, 4
	s_xor_b64 s[24:25], exec, -1
; %bb.162:
	s_or_b64 exec, exec, s[0:1]
	s_and_b64 s[0:1], s[24:25], exec
	s_or_saveexec_b64 s[20:21], s[20:21]
	v_pk_mov_b32 v[2:3], s[6:7], s[6:7] op_sel:[0,1]
	s_xor_b64 exec, exec, s[20:21]
	s_cbranch_execnz .LBB6_180
.LBB6_163:
	s_or_b64 exec, exec, s[20:21]
	s_and_saveexec_b64 s[6:7], s[0:1]
	s_cbranch_execz .LBB6_165
.LBB6_164:
	v_and_b32_e32 v3, 0xffff, v4
	v_lshlrev_b32_e32 v2, 24, v4
	v_and_b32_e32 v4, 7, v3
	v_ffbh_u32_e32 v6, v4
	v_min_u32_e32 v6, 32, v6
	v_subrev_u32_e32 v7, 28, v6
	v_bfe_u32 v5, v3, 3, 4
	v_lshlrev_b32_e32 v3, v7, v3
	v_sub_u32_e32 v6, 29, v6
	v_and_b32_e32 v3, 7, v3
	v_cmp_eq_u32_e32 vcc, 0, v5
	v_cndmask_b32_e32 v5, v5, v6, vcc
	v_cndmask_b32_e32 v3, v4, v3, vcc
	v_mov_b32_e32 v4, 0x3b800000
	v_lshlrev_b32_e32 v3, 20, v3
	v_and_b32_e32 v2, 0x80000000, v2
	v_lshl_add_u32 v4, v5, 23, v4
	v_or3_b32 v2, v2, v4, v3
	v_cvt_f64_f32_e32 v[2:3], v2
.LBB6_165:
	s_or_b64 exec, exec, s[6:7]
.LBB6_166:
	s_mov_b64 s[0:1], -1
.LBB6_167:
	s_branch .LBB6_202
.LBB6_168:
	v_cmp_lt_i16_e32 vcc, 22, v11
	s_cbranch_vccz .LBB6_178
; %bb.169:
	v_cmp_gt_i16_e32 vcc, 24, v11
	s_cbranch_vccnz .LBB6_181
; %bb.170:
	v_cmp_lt_i16_e32 vcc, 24, v11
	s_cbranch_vccz .LBB6_182
; %bb.171:
	global_load_ubyte v4, v[0:1], off
	s_movk_i32 s0, 0x7f
                                        ; implicit-def: $sgpr6_sgpr7
	s_waitcnt vmcnt(0)
	v_cmp_lt_i16_e32 vcc, s0, v4
	s_mov_b64 s[0:1], 0
	s_and_saveexec_b64 s[20:21], vcc
	s_xor_b64 s[20:21], exec, s[20:21]
	s_cbranch_execz .LBB6_194
; %bb.172:
	s_movk_i32 s0, 0x80
	v_cmp_eq_u16_e32 vcc, s0, v4
	s_mov_b64 s[24:25], -1
                                        ; implicit-def: $sgpr6_sgpr7
	s_and_saveexec_b64 s[0:1], vcc
; %bb.173:
	s_mov_b32 s7, 0x7ff80000
	s_brev_b32 s6, 4
	s_xor_b64 s[24:25], exec, -1
; %bb.174:
	s_or_b64 exec, exec, s[0:1]
	s_and_b64 s[0:1], s[24:25], exec
	s_or_saveexec_b64 s[20:21], s[20:21]
	v_pk_mov_b32 v[2:3], s[6:7], s[6:7] op_sel:[0,1]
	s_xor_b64 exec, exec, s[20:21]
	s_cbranch_execnz .LBB6_195
.LBB6_175:
	s_or_b64 exec, exec, s[20:21]
	s_and_saveexec_b64 s[6:7], s[0:1]
	s_cbranch_execz .LBB6_177
.LBB6_176:
	v_and_b32_e32 v3, 0xffff, v4
	v_lshlrev_b32_e32 v2, 24, v4
	v_and_b32_e32 v4, 3, v3
	v_ffbh_u32_e32 v6, v4
	v_min_u32_e32 v6, 32, v6
	v_subrev_u32_e32 v7, 29, v6
	v_bfe_u32 v5, v3, 2, 5
	v_lshlrev_b32_e32 v3, v7, v3
	v_sub_u32_e32 v6, 30, v6
	v_and_b32_e32 v3, 3, v3
	v_cmp_eq_u32_e32 vcc, 0, v5
	v_cndmask_b32_e32 v5, v5, v6, vcc
	v_cndmask_b32_e32 v3, v4, v3, vcc
	v_mov_b32_e32 v4, 0x37800000
	v_lshlrev_b32_e32 v3, 21, v3
	v_and_b32_e32 v2, 0x80000000, v2
	v_lshl_add_u32 v4, v5, 23, v4
	v_or3_b32 v2, v2, v4, v3
	v_cvt_f64_f32_e32 v[2:3], v2
.LBB6_177:
	s_or_b64 exec, exec, s[6:7]
	s_mov_b64 s[0:1], 0
	s_branch .LBB6_183
.LBB6_178:
	s_mov_b64 s[6:7], -1
                                        ; implicit-def: $vgpr2_vgpr3
	s_branch .LBB6_189
.LBB6_179:
	s_or_saveexec_b64 s[20:21], s[20:21]
	v_pk_mov_b32 v[2:3], s[6:7], s[6:7] op_sel:[0,1]
	s_xor_b64 exec, exec, s[20:21]
	s_cbranch_execz .LBB6_163
.LBB6_180:
	v_cmp_ne_u16_e32 vcc, 0, v4
	s_andn2_b64 s[0:1], s[0:1], exec
	s_and_b64 s[6:7], vcc, exec
	v_pk_mov_b32 v[2:3], 0, 0
	s_or_b64 s[0:1], s[0:1], s[6:7]
	s_or_b64 exec, exec, s[20:21]
	s_and_saveexec_b64 s[6:7], s[0:1]
	s_cbranch_execnz .LBB6_164
	s_branch .LBB6_165
.LBB6_181:
	s_mov_b64 s[0:1], -1
                                        ; implicit-def: $vgpr2_vgpr3
	s_branch .LBB6_186
.LBB6_182:
	s_mov_b64 s[0:1], -1
                                        ; implicit-def: $vgpr2_vgpr3
.LBB6_183:
	s_and_b64 vcc, exec, s[0:1]
	s_cbranch_vccz .LBB6_185
; %bb.184:
	global_load_ubyte v2, v[0:1], off
	s_mov_b32 s0, 0x7f800000
	s_waitcnt vmcnt(0)
	v_lshlrev_b32_e32 v2, 24, v2
	v_and_b32_e32 v3, 0x7f000000, v2
	v_ffbh_u32_e32 v4, v3
	v_min_u32_e32 v4, 32, v4
	v_sub_u32_e64 v4, v4, 4 clamp
	v_lshlrev_b32_e32 v6, v4, v3
	v_lshlrev_b32_e32 v4, 23, v4
	v_lshrrev_b32_e32 v6, 4, v6
	v_add_u32_e32 v5, 0x1000000, v3
	v_sub_u32_e32 v4, v6, v4
	v_ashrrev_i32_e32 v5, 8, v5
	v_add_u32_e32 v4, 0x3c000000, v4
	v_and_or_b32 v4, v5, s0, v4
	v_cmp_ne_u32_e32 vcc, 0, v3
	v_cndmask_b32_e32 v3, 0, v4, vcc
	s_brev_b32 s0, 1
	v_and_or_b32 v2, v2, s0, v3
	v_cvt_f64_f32_e32 v[2:3], v2
.LBB6_185:
	s_mov_b64 s[0:1], 0
.LBB6_186:
	s_andn2_b64 vcc, exec, s[0:1]
	s_cbranch_vccnz .LBB6_188
; %bb.187:
	global_load_ubyte v2, v[0:1], off
	s_movk_i32 s0, 0x7f00
	s_brev_b32 s1, 16
	s_waitcnt vmcnt(0)
	v_lshlrev_b16_e32 v3, 8, v2
	v_lshlrev_b32_e32 v2, 25, v2
	v_lshrrev_b32_e32 v4, 4, v2
	v_and_or_b32 v5, v3, s0, 0.5
	v_or_b32_e32 v4, 0x70000000, v4
	v_add_f32_e32 v5, -0.5, v5
	v_mul_f32_e32 v4, 0x7800000, v4
	v_cmp_gt_u32_e32 vcc, s1, v2
	v_bfe_i32 v3, v3, 0, 16
	v_cndmask_b32_e32 v2, v4, v5, vcc
	s_brev_b32 s0, 1
	v_and_or_b32 v2, v3, s0, v2
	v_cvt_f64_f32_e32 v[2:3], v2
.LBB6_188:
	s_mov_b64 s[6:7], 0
	s_mov_b64 s[0:1], -1
.LBB6_189:
	s_andn2_b64 vcc, exec, s[6:7]
	s_cbranch_vccnz .LBB6_202
; %bb.190:
	v_cmp_lt_i16_e32 vcc, 14, v11
	s_cbranch_vccz .LBB6_193
; %bb.191:
	v_cmp_eq_u16_e32 vcc, 15, v11
	s_cbranch_vccz .LBB6_196
; %bb.192:
	global_load_ushort v2, v[0:1], off
	s_mov_b64 s[0:1], -1
	s_mov_b64 s[16:17], 0
	s_waitcnt vmcnt(0)
	v_lshlrev_b32_e32 v2, 16, v2
	v_cvt_f64_f32_e32 v[2:3], v2
	s_branch .LBB6_197
.LBB6_193:
	s_mov_b64 s[6:7], -1
                                        ; implicit-def: $vgpr2_vgpr3
	s_branch .LBB6_198
.LBB6_194:
	s_or_saveexec_b64 s[20:21], s[20:21]
	v_pk_mov_b32 v[2:3], s[6:7], s[6:7] op_sel:[0,1]
	s_xor_b64 exec, exec, s[20:21]
	s_cbranch_execz .LBB6_175
.LBB6_195:
	v_cmp_ne_u16_e32 vcc, 0, v4
	s_andn2_b64 s[0:1], s[0:1], exec
	s_and_b64 s[6:7], vcc, exec
	v_pk_mov_b32 v[2:3], 0, 0
	s_or_b64 s[0:1], s[0:1], s[6:7]
	s_or_b64 exec, exec, s[20:21]
	s_and_saveexec_b64 s[6:7], s[0:1]
	s_cbranch_execnz .LBB6_176
	s_branch .LBB6_177
.LBB6_196:
	s_mov_b64 s[16:17], -1
                                        ; implicit-def: $vgpr2_vgpr3
.LBB6_197:
	s_mov_b64 s[6:7], 0
.LBB6_198:
	s_and_b64 vcc, exec, s[6:7]
	s_cbranch_vccz .LBB6_202
; %bb.199:
	v_cmp_eq_u16_e32 vcc, 11, v11
	s_cbranch_vccz .LBB6_201
; %bb.200:
	global_load_ubyte v3, v[0:1], off
	v_mov_b32_e32 v4, 0x3ff00000
	v_mov_b32_e32 v2, 0
	s_mov_b64 s[0:1], -1
	s_mov_b64 s[16:17], 0
	s_waitcnt vmcnt(0)
	v_cmp_ne_u16_e32 vcc, 0, v3
	v_cndmask_b32_e32 v3, 0, v4, vcc
	s_branch .LBB6_202
.LBB6_201:
	s_mov_b64 s[16:17], -1
                                        ; implicit-def: $vgpr2_vgpr3
.LBB6_202:
	s_branch .LBB6_10
.LBB6_203:
	v_cmp_gt_i16_e32 vcc, 5, v11
	s_cbranch_vccnz .LBB6_208
; %bb.204:
	v_cmp_gt_i16_e32 vcc, 8, v11
	s_cbranch_vccnz .LBB6_209
; %bb.205:
	v_cmp_gt_i16_e32 vcc, 9, v11
	s_cbranch_vccnz .LBB6_210
; %bb.206:
	v_cmp_lt_i16_e32 vcc, 9, v11
	s_cbranch_vccz .LBB6_211
; %bb.207:
	global_load_dwordx2 v[2:3], v[0:1], off
	s_mov_b64 s[0:1], 0
	s_branch .LBB6_212
.LBB6_208:
                                        ; implicit-def: $vgpr2_vgpr3
	s_branch .LBB6_230
.LBB6_209:
	s_mov_b64 s[0:1], -1
                                        ; implicit-def: $vgpr2_vgpr3
	s_branch .LBB6_218
.LBB6_210:
	s_mov_b64 s[0:1], -1
                                        ; implicit-def: $vgpr2_vgpr3
	s_branch .LBB6_215
.LBB6_211:
	s_mov_b64 s[0:1], -1
                                        ; implicit-def: $vgpr2_vgpr3
.LBB6_212:
	s_andn2_b64 vcc, exec, s[0:1]
	s_cbranch_vccnz .LBB6_214
; %bb.213:
	global_load_dword v2, v[0:1], off
	s_waitcnt vmcnt(0)
	v_cvt_f64_f32_e32 v[2:3], v2
.LBB6_214:
	s_mov_b64 s[0:1], 0
.LBB6_215:
	s_andn2_b64 vcc, exec, s[0:1]
	s_cbranch_vccnz .LBB6_217
; %bb.216:
	global_load_dword v2, v[0:1], off
	s_waitcnt vmcnt(0)
	v_cvt_f32_f16_e32 v2, v2
	v_cvt_f64_f32_e32 v[2:3], v2
.LBB6_217:
	s_mov_b64 s[0:1], 0
.LBB6_218:
	s_andn2_b64 vcc, exec, s[0:1]
	s_cbranch_vccnz .LBB6_229
; %bb.219:
	v_cmp_gt_i16_e32 vcc, 6, v11
	s_cbranch_vccnz .LBB6_222
; %bb.220:
	v_cmp_lt_i16_e32 vcc, 6, v11
	s_cbranch_vccz .LBB6_223
; %bb.221:
	global_load_dwordx2 v[2:3], v[0:1], off
	s_mov_b64 s[0:1], 0
	s_branch .LBB6_224
.LBB6_222:
	s_mov_b64 s[0:1], -1
                                        ; implicit-def: $vgpr2_vgpr3
	s_branch .LBB6_227
.LBB6_223:
	s_mov_b64 s[0:1], -1
                                        ; implicit-def: $vgpr2_vgpr3
.LBB6_224:
	s_andn2_b64 vcc, exec, s[0:1]
	s_cbranch_vccnz .LBB6_226
; %bb.225:
	global_load_dword v2, v[0:1], off
	s_waitcnt vmcnt(0)
	v_cvt_f64_f32_e32 v[2:3], v2
.LBB6_226:
	s_mov_b64 s[0:1], 0
.LBB6_227:
	s_andn2_b64 vcc, exec, s[0:1]
	s_cbranch_vccnz .LBB6_229
; %bb.228:
	global_load_ushort v2, v[0:1], off
	s_waitcnt vmcnt(0)
	v_cvt_f32_f16_e32 v2, v2
	v_cvt_f64_f32_e32 v[2:3], v2
.LBB6_229:
	s_cbranch_execnz .LBB6_249
.LBB6_230:
	v_cmp_gt_i16_e32 vcc, 2, v11
	s_cbranch_vccnz .LBB6_234
; %bb.231:
	v_cmp_gt_i16_e32 vcc, 3, v11
	s_cbranch_vccnz .LBB6_235
; %bb.232:
	v_cmp_lt_i16_e32 vcc, 3, v11
	s_cbranch_vccz .LBB6_236
; %bb.233:
	global_load_dwordx2 v[2:3], v[0:1], off
	s_mov_b64 s[0:1], 0
	s_waitcnt vmcnt(0)
	v_cvt_f64_i32_e32 v[4:5], v3
	v_cvt_f64_u32_e32 v[2:3], v2
	v_ldexp_f64 v[4:5], v[4:5], 32
	v_add_f64 v[2:3], v[4:5], v[2:3]
	s_branch .LBB6_237
.LBB6_234:
	s_mov_b64 s[0:1], -1
                                        ; implicit-def: $vgpr2_vgpr3
	s_branch .LBB6_243
.LBB6_235:
	s_mov_b64 s[0:1], -1
                                        ; implicit-def: $vgpr2_vgpr3
	s_branch .LBB6_240
.LBB6_236:
	s_mov_b64 s[0:1], -1
                                        ; implicit-def: $vgpr2_vgpr3
.LBB6_237:
	s_andn2_b64 vcc, exec, s[0:1]
	s_cbranch_vccnz .LBB6_239
; %bb.238:
	global_load_dword v2, v[0:1], off
	s_waitcnt vmcnt(0)
	v_cvt_f64_i32_e32 v[2:3], v2
.LBB6_239:
	s_mov_b64 s[0:1], 0
.LBB6_240:
	s_andn2_b64 vcc, exec, s[0:1]
	s_cbranch_vccnz .LBB6_242
; %bb.241:
	global_load_sshort v2, v[0:1], off
	s_waitcnt vmcnt(0)
	v_cvt_f64_i32_e32 v[2:3], v2
.LBB6_242:
	s_mov_b64 s[0:1], 0
.LBB6_243:
	s_andn2_b64 vcc, exec, s[0:1]
	s_cbranch_vccnz .LBB6_249
; %bb.244:
	v_cmp_lt_i16_e32 vcc, 0, v11
	s_cbranch_vccz .LBB6_246
; %bb.245:
	global_load_sbyte v2, v[0:1], off
	s_mov_b64 s[0:1], 0
	s_waitcnt vmcnt(0)
	v_cvt_f64_i32_e32 v[2:3], v2
	s_branch .LBB6_247
.LBB6_246:
	s_mov_b64 s[0:1], -1
                                        ; implicit-def: $vgpr2_vgpr3
.LBB6_247:
	s_andn2_b64 vcc, exec, s[0:1]
	s_cbranch_vccnz .LBB6_249
; %bb.248:
	global_load_ubyte v0, v[0:1], off
	s_waitcnt vmcnt(0)
	v_cvt_f64_u32_e32 v[2:3], v0
.LBB6_249:
	s_branch .LBB6_11
.LBB6_250:
	s_mov_b64 s[0:1], 0
                                        ; implicit-def: $vgpr10
	s_mov_b64 s[20:21], 0
.LBB6_251:
	s_and_b64 s[6:7], s[0:1], exec
	s_and_b64 s[16:17], s[16:17], exec
	s_orn2_b64 s[20:21], s[20:21], exec
.LBB6_252:
	s_or_b64 exec, exec, s[18:19]
	s_mov_b64 s[24:25], 0
	s_mov_b64 s[0:1], 0
                                        ; implicit-def: $vgpr0_vgpr1
                                        ; implicit-def: $vgpr2_vgpr3
	s_and_saveexec_b64 s[18:19], s[20:21]
	s_cbranch_execz .LBB6_261
; %bb.253:
	v_cmp_gt_i32_e32 vcc, s40, v10
	s_mov_b64 s[0:1], -1
	s_mov_b64 s[20:21], s[16:17]
	s_mov_b64 s[22:23], s[6:7]
	s_and_saveexec_b64 s[24:25], vcc
	s_cbranch_execz .LBB6_513
; %bb.254:
	v_mul_lo_u32 v0, v10, s13
	v_ashrrev_i32_e32 v1, 31, v0
	s_waitcnt vmcnt(0)
	v_mov_b32_e32 v2, s11
	v_add_co_u32_e32 v0, vcc, s10, v0
	v_addc_co_u32_e32 v1, vcc, v2, v1, vcc
	v_cmp_gt_i16_e32 vcc, 11, v11
	s_cbranch_vccnz .LBB6_264
; %bb.255:
	v_cmp_lt_i16_e32 vcc, 25, v11
	s_cbranch_vccz .LBB6_273
; %bb.256:
	v_cmp_lt_i16_e32 vcc, 28, v11
	s_cbranch_vccz .LBB6_275
	;; [unrolled: 3-line block ×4, first 2 shown]
; %bb.259:
	v_cmp_eq_u16_e32 vcc, 46, v11
	s_mov_b64 s[22:23], 0
	s_cbranch_vccz .LBB6_285
; %bb.260:
	global_load_dword v2, v[0:1], off
	s_mov_b64 s[20:21], 0
	s_waitcnt vmcnt(0)
	v_lshlrev_b32_e32 v2, 16, v2
	v_cvt_f64_f32_e32 v[2:3], v2
	s_branch .LBB6_286
.LBB6_261:
	s_or_b64 exec, exec, s[18:19]
	s_mov_b64 s[18:19], 0
	s_and_saveexec_b64 s[20:21], s[16:17]
	s_cbranch_execnz .LBB6_859
.LBB6_262:
	s_or_b64 exec, exec, s[20:21]
	s_and_saveexec_b64 s[16:17], s[22:23]
	s_xor_b64 s[16:17], exec, s[16:17]
	s_cbranch_execz .LBB6_860
.LBB6_263:
	global_load_ubyte v3, v[0:1], off
	v_mov_b32_e32 v4, 0x3ff00000
	s_waitcnt vmcnt(1)
	v_mov_b32_e32 v2, 0
	s_or_b64 s[0:1], s[0:1], exec
	s_waitcnt vmcnt(0)
	v_cmp_ne_u16_e32 vcc, 0, v3
	v_cndmask_b32_e32 v3, 0, v4, vcc
	s_or_b64 exec, exec, s[16:17]
	s_and_saveexec_b64 s[16:17], s[24:25]
	s_cbranch_execz .LBB6_906
	s_branch .LBB6_861
.LBB6_264:
	s_mov_b64 s[0:1], 0
                                        ; implicit-def: $vgpr2_vgpr3
	s_mov_b64 s[20:21], s[16:17]
	s_cbranch_execnz .LBB6_463
.LBB6_265:
	s_andn2_b64 vcc, exec, s[0:1]
	s_cbranch_vccnz .LBB6_511
.LBB6_266:
	s_waitcnt vmcnt(0)
	v_cmp_nge_f64_e64 s[0:1], v[2:3], -s[14:15]
	v_cmp_nge_f64_e32 vcc, s[14:15], v[2:3]
	s_or_b64 vcc, s[0:1], vcc
	v_cndmask_b32_e32 v0, 0, v2, vcc
	v_mul_lo_u32 v2, v10, s12
	v_cndmask_b32_e32 v1, 0, v3, vcc
	v_ashrrev_i32_e32 v3, 31, v2
	v_mov_b32_e32 v5, s9
	v_add_co_u32_e32 v4, vcc, s8, v2
	v_mov_b32_e32 v2, 11
	v_addc_co_u32_e32 v5, vcc, v5, v3, vcc
	v_cmp_lt_i16_sdwa s[0:1], s33, v2 src0_sel:BYTE_0 src1_sel:DWORD
	s_and_b64 vcc, exec, s[0:1]
	s_cbranch_vccnz .LBB6_274
; %bb.267:
	v_mov_b32_e32 v2, 25
	v_cmp_gt_i16_sdwa s[0:1], s33, v2 src0_sel:BYTE_0 src1_sel:DWORD
	s_and_b64 vcc, exec, s[0:1]
	s_cbranch_vccz .LBB6_276
; %bb.268:
	v_mov_b32_e32 v2, 28
	v_cmp_gt_i16_sdwa s[0:1], s33, v2 src0_sel:BYTE_0 src1_sel:DWORD
	s_and_b64 vcc, exec, s[0:1]
	s_cbranch_vccz .LBB6_278
	;; [unrolled: 5-line block ×4, first 2 shown]
; %bb.271:
	v_mov_b32_e32 v2, 46
	v_cmp_eq_u16_sdwa s[22:23], s33, v2 src0_sel:BYTE_0 src1_sel:DWORD
	s_mov_b64 s[26:27], 0
	s_mov_b64 s[0:1], -1
	s_and_b64 vcc, exec, s[22:23]
	s_mov_b64 s[22:23], 0
	s_cbranch_vccz .LBB6_290
; %bb.272:
	v_cvt_f32_f64_e32 v2, v[0:1]
	v_bfe_u32 v3, v2, 16, 1
	s_movk_i32 s0, 0x7fff
	v_add3_u32 v3, v2, v3, s0
	v_lshrrev_b32_e32 v3, 16, v3
	v_mov_b32_e32 v6, 0x7fc0
	v_cmp_o_f32_e32 vcc, v2, v2
	v_cndmask_b32_e32 v2, v6, v3, vcc
	global_store_dword v[4:5], v2, off
	s_mov_b64 s[22:23], -1
	s_mov_b64 s[0:1], 0
	s_branch .LBB6_290
.LBB6_273:
	s_mov_b64 s[22:23], -1
	s_mov_b64 s[0:1], 0
	s_mov_b64 s[20:21], s[16:17]
                                        ; implicit-def: $vgpr2_vgpr3
	s_branch .LBB6_427
.LBB6_274:
	s_mov_b64 s[26:27], -1
	s_mov_b64 s[22:23], 0
	s_mov_b64 s[0:1], s[6:7]
	s_branch .LBB6_359
.LBB6_275:
	s_mov_b64 s[22:23], -1
	s_mov_b64 s[0:1], 0
	s_mov_b64 s[20:21], s[16:17]
                                        ; implicit-def: $vgpr2_vgpr3
	s_branch .LBB6_408
.LBB6_276:
	s_mov_b64 s[26:27], -1
	s_mov_b64 s[22:23], 0
	s_mov_b64 s[0:1], s[6:7]
	s_branch .LBB6_317
.LBB6_277:
	s_mov_b64 s[22:23], -1
	s_mov_b64 s[0:1], 0
	s_mov_b64 s[20:21], s[16:17]
                                        ; implicit-def: $vgpr2_vgpr3
	s_branch .LBB6_403
.LBB6_278:
	s_mov_b64 s[26:27], -1
	s_mov_b64 s[22:23], 0
	s_mov_b64 s[0:1], s[6:7]
	s_branch .LBB6_300
.LBB6_279:
	s_or_saveexec_b64 s[24:25], s[24:25]
                                        ; implicit-def: $sgpr26
	s_xor_b64 exec, exec, s[24:25]
	s_cbranch_execz .LBB6_55
.LBB6_280:
	s_mov_b32 s26, 0x46000000
	v_add_f32_e64 v3, |v2|, s26
	v_and_b32_e32 v3, 0xff, v3
	v_cmp_ne_u32_e32 vcc, 0, v3
	s_andn2_b64 s[20:21], s[20:21], exec
	s_and_b64 s[28:29], vcc, exec
	s_mov_b32 s26, 0
	s_or_b64 s[20:21], s[20:21], s[28:29]
	s_or_b64 exec, exec, s[24:25]
	v_mov_b32_e32 v6, s26
	s_and_saveexec_b64 s[24:25], s[20:21]
	s_cbranch_execnz .LBB6_56
	s_branch .LBB6_57
.LBB6_281:
	s_mov_b64 s[22:23], -1
	s_mov_b64 s[0:1], 0
	s_mov_b64 s[20:21], s[16:17]
                                        ; implicit-def: $vgpr2_vgpr3
	s_branch .LBB6_286
.LBB6_282:
	s_mov_b64 s[26:27], -1
	s_mov_b64 s[22:23], 0
	s_mov_b64 s[0:1], s[6:7]
	s_branch .LBB6_296
.LBB6_283:
	s_or_saveexec_b64 s[24:25], s[24:25]
                                        ; implicit-def: $sgpr26
	s_xor_b64 exec, exec, s[24:25]
	s_cbranch_execz .LBB6_68
.LBB6_284:
	s_mov_b32 s26, 0x42800000
	v_add_f32_e64 v3, |v2|, s26
	v_and_b32_e32 v3, 0xff, v3
	v_cmp_ne_u32_e32 vcc, 0, v3
	s_andn2_b64 s[20:21], s[20:21], exec
	s_and_b64 s[28:29], vcc, exec
	s_mov_b32 s26, 0
	s_or_b64 s[20:21], s[20:21], s[28:29]
	s_or_b64 exec, exec, s[24:25]
	v_mov_b32_e32 v6, s26
	s_and_saveexec_b64 s[24:25], s[20:21]
	s_cbranch_execnz .LBB6_69
	s_branch .LBB6_70
.LBB6_285:
	s_mov_b64 s[20:21], -1
                                        ; implicit-def: $vgpr2_vgpr3
	s_mov_b64 s[0:1], 0
.LBB6_286:
	s_and_b64 vcc, exec, s[22:23]
	s_cbranch_vccz .LBB6_402
; %bb.287:
	v_cmp_eq_u16_e32 vcc, 44, v11
	s_cbranch_vccz .LBB6_401
; %bb.288:
	global_load_ubyte v4, v[0:1], off
	s_movk_i32 s20, 0xff
	v_bfrev_b32_e32 v5, 4
	v_mov_b32_e32 v6, 0x7ff80000
	v_bfrev_b32_e32 v7, 28
	s_mov_b64 s[0:1], -1
	s_waitcnt vmcnt(0)
	v_lshlrev_b32_e32 v2, 23, v4
	v_cvt_f64_f32_e32 v[2:3], v2
	v_cmp_ne_u32_e32 vcc, s20, v4
	v_cndmask_b32_e32 v2, v5, v2, vcc
	v_cndmask_b32_e32 v3, v6, v3, vcc
	v_cmp_ne_u32_e32 vcc, 0, v4
	v_cndmask_b32_e32 v3, v7, v3, vcc
	v_cndmask_b32_e32 v2, 0, v2, vcc
	s_mov_b64 s[20:21], 0
	s_branch .LBB6_402
.LBB6_289:
	s_mov_b64 s[26:27], -1
	s_mov_b64 s[22:23], 0
	s_mov_b64 s[0:1], s[6:7]
.LBB6_290:
	s_and_b64 vcc, exec, s[26:27]
	s_cbranch_vccz .LBB6_295
; %bb.291:
	v_mov_b32_e32 v2, 44
	v_cmp_eq_u16_sdwa s[26:27], s33, v2 src0_sel:BYTE_0 src1_sel:DWORD
	s_mov_b64 s[0:1], -1
	s_and_b64 vcc, exec, s[26:27]
	s_cbranch_vccz .LBB6_295
; %bb.292:
	v_cvt_f32_f64_e32 v2, v[0:1]
	v_bfe_u32 v3, v2, 23, 8
	s_movk_i32 s0, 0xff
	v_cmp_ne_u32_e32 vcc, s0, v3
	v_mov_b32_e32 v6, 0xff
	s_and_saveexec_b64 s[22:23], vcc
; %bb.293:
	s_mov_b32 s0, 0x3fffff
	v_lshrrev_b32_e32 v6, 23, v2
	v_and_b32_e32 v7, 0x400000, v2
	v_and_or_b32 v2, v2, s0, v3
	v_cmp_ne_u32_e32 vcc, 0, v7
	v_cmp_ne_u32_e64 s[0:1], 0, v2
	s_and_b64 s[0:1], vcc, s[0:1]
	v_cndmask_b32_e64 v2, 0, 1, s[0:1]
	v_add_u32_e32 v6, v6, v2
; %bb.294:
	s_or_b64 exec, exec, s[22:23]
	s_mov_b64 s[22:23], -1
	s_mov_b64 s[0:1], 0
	global_store_byte v[4:5], v6, off
.LBB6_295:
	s_mov_b64 s[26:27], 0
.LBB6_296:
	s_and_b64 vcc, exec, s[26:27]
	s_cbranch_vccz .LBB6_299
; %bb.297:
	v_mov_b32_e32 v2, 29
	v_cmp_eq_u16_sdwa s[26:27], s33, v2 src0_sel:BYTE_0 src1_sel:DWORD
	s_mov_b64 s[0:1], -1
	s_and_b64 vcc, exec, s[26:27]
	s_cbranch_vccz .LBB6_299
; %bb.298:
	v_trunc_f64_e32 v[2:3], v[0:1]
	s_movk_i32 s0, 0xffe0
	v_ldexp_f64 v[6:7], v[2:3], s0
	v_floor_f64_e32 v[6:7], v[6:7]
	v_fmac_f64_e32 v[2:3], 0xc1f00000, v[6:7]
	v_cvt_u32_f64_e32 v9, v[6:7]
	v_cvt_u32_f64_e32 v8, v[2:3]
	global_store_dwordx2 v[4:5], v[8:9], off
	s_mov_b64 s[22:23], -1
	s_mov_b64 s[0:1], 0
.LBB6_299:
	s_mov_b64 s[26:27], 0
.LBB6_300:
	s_and_b64 vcc, exec, s[26:27]
	s_cbranch_vccz .LBB6_316
; %bb.301:
	v_mov_b32_e32 v2, 27
	v_cmp_lt_i16_sdwa s[26:27], s33, v2 src0_sel:BYTE_0 src1_sel:DWORD
	s_mov_b64 s[22:23], -1
	s_and_b64 vcc, exec, s[26:27]
	s_cbranch_vccnz .LBB6_307
; %bb.302:
	v_cmp_gt_i16_sdwa s[26:27], s33, v2 src0_sel:BYTE_0 src1_sel:DWORD
	s_and_b64 vcc, exec, s[26:27]
	v_cvt_u32_f64_e32 v2, v[0:1]
	s_cbranch_vccz .LBB6_304
; %bb.303:
	s_mov_b64 s[22:23], 0
	global_store_dword v[4:5], v2, off
.LBB6_304:
	s_andn2_b64 vcc, exec, s[22:23]
	s_cbranch_vccnz .LBB6_306
; %bb.305:
	global_store_short v[4:5], v2, off
.LBB6_306:
	s_mov_b64 s[22:23], 0
.LBB6_307:
	s_andn2_b64 vcc, exec, s[22:23]
	s_cbranch_vccnz .LBB6_315
; %bb.308:
	v_cvt_f32_f64_e32 v2, v[0:1]
	v_and_b32_e32 v3, 0x7fffffff, v2
	s_mov_b32 s22, 0x43800000
	v_cmp_gt_u32_e32 vcc, s22, v3
	v_mov_b32_e32 v6, 0x80
	s_and_saveexec_b64 s[22:23], vcc
	s_cbranch_execz .LBB6_314
; %bb.309:
	s_mov_b32 s26, 0x3bffffff
	v_cmp_lt_u32_e32 vcc, s26, v3
	s_mov_b64 s[26:27], 0
                                        ; implicit-def: $vgpr3
	s_and_saveexec_b64 s[28:29], vcc
	s_xor_b64 s[28:29], exec, s[28:29]
	s_cbranch_execz .LBB6_526
; %bb.310:
	v_bfe_u32 v3, v2, 20, 1
	s_mov_b32 s30, 0x487ffff
	v_add3_u32 v3, v2, v3, s30
	s_mov_b64 s[26:27], exec
	v_lshrrev_b32_e32 v3, 20, v3
	s_or_saveexec_b64 s[28:29], s[28:29]
                                        ; implicit-def: $sgpr30
	s_xor_b64 exec, exec, s[28:29]
	s_cbranch_execnz .LBB6_527
.LBB6_311:
	s_or_b64 exec, exec, s[28:29]
	v_mov_b32_e32 v6, s30
	s_and_saveexec_b64 s[28:29], s[26:27]
.LBB6_312:
	v_lshrrev_b32_e32 v2, 24, v2
	s_movk_i32 s26, 0x80
	v_and_or_b32 v6, v2, s26, v3
.LBB6_313:
	s_or_b64 exec, exec, s[28:29]
.LBB6_314:
	s_or_b64 exec, exec, s[22:23]
	global_store_byte v[4:5], v6, off
.LBB6_315:
	s_mov_b64 s[22:23], -1
.LBB6_316:
	s_mov_b64 s[26:27], 0
.LBB6_317:
	s_and_b64 vcc, exec, s[26:27]
	s_cbranch_vccz .LBB6_358
; %bb.318:
	v_mov_b32_e32 v2, 22
	v_cmp_gt_i16_sdwa s[28:29], s33, v2 src0_sel:BYTE_0 src1_sel:DWORD
	s_mov_b64 s[26:27], -1
	s_and_b64 vcc, exec, s[28:29]
	s_cbranch_vccz .LBB6_350
; %bb.319:
	v_mov_b32_e32 v2, 24
	v_cmp_lt_i16_sdwa s[26:27], s33, v2 src0_sel:BYTE_0 src1_sel:DWORD
	s_mov_b64 s[22:23], -1
	s_and_b64 vcc, exec, s[26:27]
	s_cbranch_vccnz .LBB6_339
; %bb.320:
	v_cmp_gt_i16_sdwa s[26:27], s33, v2 src0_sel:BYTE_0 src1_sel:DWORD
	s_and_b64 vcc, exec, s[26:27]
	s_cbranch_vccz .LBB6_328
; %bb.321:
	v_cvt_f32_f64_e32 v2, v[0:1]
	v_and_b32_e32 v3, 0x7fffffff, v2
	s_mov_b32 s22, 0x47800000
	v_cmp_gt_u32_e32 vcc, s22, v3
	v_mov_b32_e32 v6, 0x80
	s_and_saveexec_b64 s[22:23], vcc
	s_cbranch_execz .LBB6_327
; %bb.322:
	s_mov_b32 s26, 0x37ffffff
	v_cmp_lt_u32_e32 vcc, s26, v3
	s_mov_b64 s[26:27], 0
                                        ; implicit-def: $vgpr3
	s_and_saveexec_b64 s[28:29], vcc
	s_xor_b64 s[28:29], exec, s[28:29]
	s_cbranch_execz .LBB6_529
; %bb.323:
	v_bfe_u32 v3, v2, 21, 1
	s_mov_b32 s30, 0x88fffff
	v_add3_u32 v3, v2, v3, s30
	s_mov_b64 s[26:27], exec
	v_lshrrev_b32_e32 v3, 21, v3
	s_or_saveexec_b64 s[28:29], s[28:29]
                                        ; implicit-def: $sgpr30
	s_xor_b64 exec, exec, s[28:29]
	s_cbranch_execnz .LBB6_530
.LBB6_324:
	s_or_b64 exec, exec, s[28:29]
	v_mov_b32_e32 v6, s30
	s_and_saveexec_b64 s[28:29], s[26:27]
.LBB6_325:
	v_lshrrev_b32_e32 v2, 24, v2
	s_movk_i32 s26, 0x80
	v_and_or_b32 v6, v2, s26, v3
.LBB6_326:
	s_or_b64 exec, exec, s[28:29]
.LBB6_327:
	s_or_b64 exec, exec, s[22:23]
	s_mov_b64 s[22:23], 0
	global_store_byte v[4:5], v6, off
.LBB6_328:
	s_and_b64 vcc, exec, s[22:23]
	s_cbranch_vccz .LBB6_338
; %bb.329:
	v_cvt_f32_f64_e32 v2, v[0:1]
	v_and_b32_e32 v6, 0x7fffffff, v2
	s_mov_b32 s22, 0x43f00000
	v_cmp_gt_u32_e32 vcc, s22, v6
                                        ; implicit-def: $vgpr3
	s_and_saveexec_b64 s[22:23], vcc
	s_xor_b64 s[22:23], exec, s[22:23]
	s_cbranch_execz .LBB6_335
; %bb.330:
	s_mov_b32 s26, 0x3c7fffff
	v_cmp_lt_u32_e32 vcc, s26, v6
                                        ; implicit-def: $vgpr3
	s_and_saveexec_b64 s[26:27], vcc
	s_xor_b64 s[26:27], exec, s[26:27]
; %bb.331:
	v_bfe_u32 v3, v2, 20, 1
	s_mov_b32 s28, 0x407ffff
	v_add3_u32 v3, v2, v3, s28
	v_lshrrev_b32_e32 v6, 20, v3
	v_and_b32_e32 v3, 0xff00000, v3
	s_mov_b32 s28, 0x7f00000
	v_mov_b32_e32 v7, 0x7e
	v_cmp_ne_u32_e32 vcc, s28, v3
	v_cndmask_b32_e32 v3, v7, v6, vcc
; %bb.332:
	s_andn2_saveexec_b64 s[26:27], s[26:27]
; %bb.333:
	s_mov_b32 s28, 0x46800000
	v_add_f32_e64 v3, |v2|, s28
; %bb.334:
	s_or_b64 exec, exec, s[26:27]
                                        ; implicit-def: $vgpr6
.LBB6_335:
	s_andn2_saveexec_b64 s[22:23], s[22:23]
; %bb.336:
	s_mov_b32 s26, 0x7f800000
	v_mov_b32_e32 v3, 0x7e
	v_mov_b32_e32 v7, 0x7f
	v_cmp_lt_u32_e32 vcc, s26, v6
	v_cndmask_b32_e32 v3, v3, v7, vcc
; %bb.337:
	s_or_b64 exec, exec, s[22:23]
	v_lshrrev_b32_e32 v2, 24, v2
	s_movk_i32 s22, 0x80
	v_and_or_b32 v2, v2, s22, v3
	global_store_byte v[4:5], v2, off
.LBB6_338:
	s_mov_b64 s[22:23], 0
.LBB6_339:
	s_andn2_b64 vcc, exec, s[22:23]
	s_cbranch_vccnz .LBB6_349
; %bb.340:
	v_cvt_f32_f64_e32 v2, v[0:1]
	v_and_b32_e32 v6, 0x7fffffff, v2
	s_mov_b32 s22, 0x47800000
	v_cmp_gt_u32_e32 vcc, s22, v6
                                        ; implicit-def: $vgpr3
	s_and_saveexec_b64 s[22:23], vcc
	s_xor_b64 s[22:23], exec, s[22:23]
	s_cbranch_execz .LBB6_346
; %bb.341:
	s_mov_b32 s26, 0x387fffff
	v_cmp_lt_u32_e32 vcc, s26, v6
                                        ; implicit-def: $vgpr3
	s_and_saveexec_b64 s[26:27], vcc
	s_xor_b64 s[26:27], exec, s[26:27]
; %bb.342:
	v_bfe_u32 v3, v2, 21, 1
	s_mov_b32 s28, 0x80fffff
	v_add3_u32 v3, v2, v3, s28
	v_lshrrev_b32_e32 v3, 21, v3
; %bb.343:
	s_andn2_saveexec_b64 s[26:27], s[26:27]
; %bb.344:
	s_mov_b32 s28, 0x43000000
	v_add_f32_e64 v3, |v2|, s28
; %bb.345:
	s_or_b64 exec, exec, s[26:27]
                                        ; implicit-def: $vgpr6
.LBB6_346:
	s_andn2_saveexec_b64 s[22:23], s[22:23]
; %bb.347:
	s_mov_b32 s26, 0x7f800000
	v_mov_b32_e32 v3, 0x7c
	v_mov_b32_e32 v7, 0x7f
	v_cmp_lt_u32_e32 vcc, s26, v6
	v_cndmask_b32_e32 v3, v3, v7, vcc
; %bb.348:
	s_or_b64 exec, exec, s[22:23]
	v_lshrrev_b32_e32 v2, 24, v2
	s_movk_i32 s22, 0x80
	v_and_or_b32 v2, v2, s22, v3
	global_store_byte v[4:5], v2, off
.LBB6_349:
	s_mov_b64 s[26:27], 0
	s_mov_b64 s[22:23], -1
.LBB6_350:
	s_andn2_b64 vcc, exec, s[26:27]
	s_cbranch_vccnz .LBB6_358
; %bb.351:
	v_mov_b32_e32 v2, 14
	v_cmp_gt_i16_sdwa s[28:29], s33, v2 src0_sel:BYTE_0 src1_sel:DWORD
	s_mov_b64 s[26:27], -1
	s_and_b64 vcc, exec, s[28:29]
	s_cbranch_vccz .LBB6_355
; %bb.352:
	v_mov_b32_e32 v2, 15
	v_cmp_eq_u16_sdwa s[26:27], s33, v2 src0_sel:BYTE_0 src1_sel:DWORD
	s_mov_b64 s[0:1], -1
	s_and_b64 vcc, exec, s[26:27]
	s_cbranch_vccz .LBB6_354
; %bb.353:
	v_cvt_f32_f64_e32 v2, v[0:1]
	v_bfe_u32 v3, v2, 16, 1
	s_movk_i32 s0, 0x7fff
	v_add3_u32 v3, v2, v3, s0
	v_lshrrev_b32_e32 v3, 16, v3
	v_mov_b32_e32 v6, 0x7fc0
	v_cmp_o_f32_e32 vcc, v2, v2
	v_cndmask_b32_e32 v2, v6, v3, vcc
	global_store_short v[4:5], v2, off
	s_mov_b64 s[22:23], -1
	s_mov_b64 s[0:1], 0
.LBB6_354:
	s_mov_b64 s[26:27], 0
.LBB6_355:
	s_and_b64 vcc, exec, s[26:27]
	s_cbranch_vccz .LBB6_358
; %bb.356:
	v_mov_b32_e32 v2, 11
	v_cmp_eq_u16_sdwa s[26:27], s33, v2 src0_sel:BYTE_0 src1_sel:DWORD
	s_mov_b64 s[0:1], -1
	s_and_b64 vcc, exec, s[26:27]
	s_cbranch_vccz .LBB6_358
; %bb.357:
	v_cmp_neq_f64_e32 vcc, 0, v[0:1]
	s_mov_b64 s[0:1], 0
	v_cndmask_b32_e64 v2, 0, 1, vcc
	s_mov_b64 s[22:23], -1
	global_store_byte v[4:5], v2, off
.LBB6_358:
	s_mov_b64 s[26:27], 0
.LBB6_359:
	s_and_b64 vcc, exec, s[26:27]
	s_cbranch_vccz .LBB6_398
; %bb.360:
	v_mov_b32_e32 v2, 5
	v_cmp_lt_i16_sdwa s[26:27], s33, v2 src0_sel:BYTE_0 src1_sel:DWORD
	s_mov_b64 s[22:23], -1
	s_and_b64 vcc, exec, s[26:27]
	s_cbranch_vccnz .LBB6_381
; %bb.361:
	v_mov_b32_e32 v2, 8
	v_cmp_lt_i16_sdwa s[26:27], s33, v2 src0_sel:BYTE_0 src1_sel:DWORD
	s_and_b64 vcc, exec, s[26:27]
	s_cbranch_vccnz .LBB6_371
; %bb.362:
	v_mov_b32_e32 v2, 9
	v_cmp_lt_i16_sdwa s[26:27], s33, v2 src0_sel:BYTE_0 src1_sel:DWORD
	s_and_b64 vcc, exec, s[26:27]
	s_cbranch_vccnz .LBB6_368
; %bb.363:
	v_cmp_gt_i16_sdwa s[26:27], s33, v2 src0_sel:BYTE_0 src1_sel:DWORD
	s_and_b64 vcc, exec, s[26:27]
	s_cbranch_vccz .LBB6_365
; %bb.364:
	v_mov_b32_e32 v2, 0
	v_mov_b32_e32 v3, v2
	s_mov_b64 s[22:23], 0
	global_store_dwordx4 v[4:5], v[0:3], off
.LBB6_365:
	s_andn2_b64 vcc, exec, s[22:23]
	s_cbranch_vccnz .LBB6_367
; %bb.366:
	v_cvt_f32_f64_e32 v2, v[0:1]
	v_mov_b32_e32 v3, 0
	global_store_dwordx2 v[4:5], v[2:3], off
.LBB6_367:
	s_mov_b64 s[22:23], 0
.LBB6_368:
	s_andn2_b64 vcc, exec, s[22:23]
	s_cbranch_vccnz .LBB6_370
; %bb.369:
	v_cvt_f32_f64_e32 v2, v[0:1]
	v_cvt_f16_f32_e32 v2, v2
	global_store_dword v[4:5], v2, off
.LBB6_370:
	s_mov_b64 s[22:23], 0
.LBB6_371:
	s_andn2_b64 vcc, exec, s[22:23]
	s_cbranch_vccnz .LBB6_380
; %bb.372:
	v_mov_b32_e32 v2, 6
	v_cmp_lt_i16_sdwa s[26:27], s33, v2 src0_sel:BYTE_0 src1_sel:DWORD
	s_mov_b64 s[22:23], -1
	s_and_b64 vcc, exec, s[26:27]
	s_cbranch_vccnz .LBB6_378
; %bb.373:
	v_cmp_gt_i16_sdwa s[26:27], s33, v2 src0_sel:BYTE_0 src1_sel:DWORD
	s_and_b64 vcc, exec, s[26:27]
	s_cbranch_vccz .LBB6_375
; %bb.374:
	s_mov_b64 s[22:23], 0
	global_store_dwordx2 v[4:5], v[0:1], off
.LBB6_375:
	s_andn2_b64 vcc, exec, s[22:23]
	s_cbranch_vccnz .LBB6_377
; %bb.376:
	v_cvt_f32_f64_e32 v2, v[0:1]
	global_store_dword v[4:5], v2, off
.LBB6_377:
	s_mov_b64 s[22:23], 0
.LBB6_378:
	s_andn2_b64 vcc, exec, s[22:23]
	s_cbranch_vccnz .LBB6_380
; %bb.379:
	v_cvt_f32_f64_e32 v2, v[0:1]
	v_cvt_f16_f32_e32 v2, v2
	global_store_short v[4:5], v2, off
.LBB6_380:
	s_mov_b64 s[22:23], 0
.LBB6_381:
	s_andn2_b64 vcc, exec, s[22:23]
	s_cbranch_vccnz .LBB6_397
; %bb.382:
	v_mov_b32_e32 v2, 2
	v_cmp_lt_i16_sdwa s[26:27], s33, v2 src0_sel:BYTE_0 src1_sel:DWORD
	s_mov_b64 s[22:23], -1
	s_and_b64 vcc, exec, s[26:27]
	s_cbranch_vccnz .LBB6_392
; %bb.383:
	v_mov_b32_e32 v2, 3
	v_cmp_lt_i16_sdwa s[26:27], s33, v2 src0_sel:BYTE_0 src1_sel:DWORD
	s_and_b64 vcc, exec, s[26:27]
	s_cbranch_vccnz .LBB6_389
; %bb.384:
	v_cmp_gt_i16_sdwa s[26:27], s33, v2 src0_sel:BYTE_0 src1_sel:DWORD
	s_and_b64 vcc, exec, s[26:27]
	s_cbranch_vccz .LBB6_386
; %bb.385:
	v_trunc_f64_e32 v[2:3], v[0:1]
	s_movk_i32 s22, 0xffe0
	v_ldexp_f64 v[6:7], v[2:3], s22
	v_floor_f64_e32 v[6:7], v[6:7]
	v_fmac_f64_e32 v[2:3], 0xc1f00000, v[6:7]
	v_cvt_i32_f64_e32 v9, v[6:7]
	v_cvt_u32_f64_e32 v8, v[2:3]
	s_mov_b64 s[22:23], 0
	global_store_dwordx2 v[4:5], v[8:9], off
.LBB6_386:
	s_andn2_b64 vcc, exec, s[22:23]
	s_cbranch_vccnz .LBB6_388
; %bb.387:
	v_cvt_i32_f64_e32 v2, v[0:1]
	global_store_dword v[4:5], v2, off
.LBB6_388:
	s_mov_b64 s[22:23], 0
.LBB6_389:
	s_andn2_b64 vcc, exec, s[22:23]
	s_cbranch_vccnz .LBB6_391
; %bb.390:
	v_cvt_i32_f64_e32 v2, v[0:1]
	global_store_short v[4:5], v2, off
.LBB6_391:
	s_mov_b64 s[22:23], 0
.LBB6_392:
	s_andn2_b64 vcc, exec, s[22:23]
	s_cbranch_vccnz .LBB6_397
; %bb.393:
	v_mov_b32_e32 v2, 0
	v_cmp_gt_i16_sdwa s[26:27], s33, v2 src0_sel:BYTE_0 src1_sel:DWORD
	s_mov_b64 s[22:23], -1
	s_and_b64 vcc, exec, s[26:27]
	s_cbranch_vccz .LBB6_395
; %bb.394:
	v_cvt_i32_f64_e32 v2, v[0:1]
	s_mov_b64 s[22:23], 0
	global_store_byte v[4:5], v2, off
.LBB6_395:
	s_andn2_b64 vcc, exec, s[22:23]
	s_cbranch_vccnz .LBB6_397
; %bb.396:
	v_trunc_f64_e32 v[0:1], v[0:1]
	s_movk_i32 s22, 0xffe0
	v_ldexp_f64 v[2:3], v[0:1], s22
	v_floor_f64_e32 v[2:3], v[2:3]
	v_fmac_f64_e32 v[0:1], 0xc1f00000, v[2:3]
	v_cvt_u32_f64_e32 v0, v[0:1]
	global_store_byte v[4:5], v0, off
.LBB6_397:
	s_mov_b64 s[22:23], -1
.LBB6_398:
	s_andn2_b64 vcc, exec, s[22:23]
	s_cbranch_vccnz .LBB6_400
; %bb.399:
	v_add_u32_e32 v10, 0x80, v10
	s_mov_b64 s[26:27], -1
	s_branch .LBB6_512
.LBB6_400:
	s_mov_b64 s[26:27], 0
                                        ; implicit-def: $vgpr10
	s_branch .LBB6_512
.LBB6_401:
	s_mov_b64 s[20:21], -1
                                        ; implicit-def: $vgpr2_vgpr3
.LBB6_402:
	s_mov_b64 s[22:23], 0
.LBB6_403:
	s_and_b64 vcc, exec, s[22:23]
	s_cbranch_vccz .LBB6_407
; %bb.404:
	v_cmp_eq_u16_e32 vcc, 29, v11
	s_cbranch_vccz .LBB6_406
; %bb.405:
	global_load_dwordx2 v[2:3], v[0:1], off
	s_mov_b64 s[0:1], -1
	s_mov_b64 s[20:21], 0
	s_mov_b64 s[22:23], 0
	s_waitcnt vmcnt(0)
	v_cvt_f64_u32_e32 v[4:5], v3
	v_cvt_f64_u32_e32 v[2:3], v2
	v_ldexp_f64 v[4:5], v[4:5], 32
	v_add_f64 v[2:3], v[4:5], v[2:3]
	s_branch .LBB6_408
.LBB6_406:
	s_mov_b64 s[20:21], -1
                                        ; implicit-def: $vgpr2_vgpr3
.LBB6_407:
	s_mov_b64 s[22:23], 0
.LBB6_408:
	s_and_b64 vcc, exec, s[22:23]
	s_cbranch_vccz .LBB6_426
; %bb.409:
	v_cmp_gt_i16_e32 vcc, 27, v11
	s_cbranch_vccnz .LBB6_412
; %bb.410:
	v_cmp_lt_i16_e32 vcc, 27, v11
	s_cbranch_vccz .LBB6_413
; %bb.411:
	global_load_dword v2, v[0:1], off
	s_mov_b64 s[0:1], 0
	s_waitcnt vmcnt(0)
	v_cvt_f64_u32_e32 v[2:3], v2
	s_branch .LBB6_414
.LBB6_412:
	s_mov_b64 s[0:1], -1
                                        ; implicit-def: $vgpr2_vgpr3
	s_branch .LBB6_417
.LBB6_413:
	s_mov_b64 s[0:1], -1
                                        ; implicit-def: $vgpr2_vgpr3
.LBB6_414:
	s_andn2_b64 vcc, exec, s[0:1]
	s_cbranch_vccnz .LBB6_416
; %bb.415:
	global_load_ushort v2, v[0:1], off
	s_waitcnt vmcnt(0)
	v_cvt_f64_u32_e32 v[2:3], v2
.LBB6_416:
	s_mov_b64 s[0:1], 0
.LBB6_417:
	s_andn2_b64 vcc, exec, s[0:1]
	s_cbranch_vccnz .LBB6_425
; %bb.418:
	global_load_ubyte v4, v[0:1], off
	s_movk_i32 s0, 0x7f
                                        ; implicit-def: $sgpr22_sgpr23
	s_waitcnt vmcnt(0)
	v_cmp_lt_i16_e32 vcc, s0, v4
	s_mov_b64 s[0:1], 0
	s_and_saveexec_b64 s[26:27], vcc
	s_xor_b64 s[26:27], exec, s[26:27]
	s_cbranch_execz .LBB6_439
; %bb.419:
	s_movk_i32 s0, 0x80
	v_cmp_eq_u16_e32 vcc, s0, v4
	s_mov_b64 s[28:29], -1
                                        ; implicit-def: $sgpr22_sgpr23
	s_and_saveexec_b64 s[0:1], vcc
; %bb.420:
	s_mov_b32 s23, 0x7ff80000
	s_brev_b32 s22, 4
	s_xor_b64 s[28:29], exec, -1
; %bb.421:
	s_or_b64 exec, exec, s[0:1]
	s_and_b64 s[0:1], s[28:29], exec
	s_or_saveexec_b64 s[26:27], s[26:27]
	v_pk_mov_b32 v[2:3], s[22:23], s[22:23] op_sel:[0,1]
	s_xor_b64 exec, exec, s[26:27]
	s_cbranch_execnz .LBB6_440
.LBB6_422:
	s_or_b64 exec, exec, s[26:27]
	s_and_saveexec_b64 s[22:23], s[0:1]
	s_cbranch_execz .LBB6_424
.LBB6_423:
	v_and_b32_e32 v3, 0xffff, v4
	v_lshlrev_b32_e32 v2, 24, v4
	v_and_b32_e32 v4, 7, v3
	v_ffbh_u32_e32 v6, v4
	v_min_u32_e32 v6, 32, v6
	v_subrev_u32_e32 v7, 28, v6
	v_bfe_u32 v5, v3, 3, 4
	v_lshlrev_b32_e32 v3, v7, v3
	v_sub_u32_e32 v6, 29, v6
	v_and_b32_e32 v3, 7, v3
	v_cmp_eq_u32_e32 vcc, 0, v5
	v_cndmask_b32_e32 v5, v5, v6, vcc
	v_cndmask_b32_e32 v3, v4, v3, vcc
	v_mov_b32_e32 v4, 0x3b800000
	v_lshlrev_b32_e32 v3, 20, v3
	v_and_b32_e32 v2, 0x80000000, v2
	v_lshl_add_u32 v4, v5, 23, v4
	v_or3_b32 v2, v2, v4, v3
	v_cvt_f64_f32_e32 v[2:3], v2
.LBB6_424:
	s_or_b64 exec, exec, s[22:23]
.LBB6_425:
	s_mov_b64 s[0:1], -1
.LBB6_426:
	s_mov_b64 s[22:23], 0
.LBB6_427:
	s_and_b64 vcc, exec, s[22:23]
	s_cbranch_vccz .LBB6_462
; %bb.428:
	v_cmp_lt_i16_e32 vcc, 22, v11
	s_cbranch_vccz .LBB6_438
; %bb.429:
	v_cmp_gt_i16_e32 vcc, 24, v11
	s_cbranch_vccnz .LBB6_441
; %bb.430:
	v_cmp_lt_i16_e32 vcc, 24, v11
	s_cbranch_vccz .LBB6_442
; %bb.431:
	global_load_ubyte v4, v[0:1], off
	s_movk_i32 s0, 0x7f
                                        ; implicit-def: $sgpr22_sgpr23
	s_waitcnt vmcnt(0)
	v_cmp_lt_i16_e32 vcc, s0, v4
	s_mov_b64 s[0:1], 0
	s_and_saveexec_b64 s[26:27], vcc
	s_xor_b64 s[26:27], exec, s[26:27]
	s_cbranch_execz .LBB6_454
; %bb.432:
	s_movk_i32 s0, 0x80
	v_cmp_eq_u16_e32 vcc, s0, v4
	s_mov_b64 s[28:29], -1
                                        ; implicit-def: $sgpr22_sgpr23
	s_and_saveexec_b64 s[0:1], vcc
; %bb.433:
	s_mov_b32 s23, 0x7ff80000
	s_brev_b32 s22, 4
	s_xor_b64 s[28:29], exec, -1
; %bb.434:
	s_or_b64 exec, exec, s[0:1]
	s_and_b64 s[0:1], s[28:29], exec
	s_or_saveexec_b64 s[26:27], s[26:27]
	v_pk_mov_b32 v[2:3], s[22:23], s[22:23] op_sel:[0,1]
	s_xor_b64 exec, exec, s[26:27]
	s_cbranch_execnz .LBB6_455
.LBB6_435:
	s_or_b64 exec, exec, s[26:27]
	s_and_saveexec_b64 s[22:23], s[0:1]
	s_cbranch_execz .LBB6_437
.LBB6_436:
	v_and_b32_e32 v3, 0xffff, v4
	v_lshlrev_b32_e32 v2, 24, v4
	v_and_b32_e32 v4, 3, v3
	v_ffbh_u32_e32 v6, v4
	v_min_u32_e32 v6, 32, v6
	v_subrev_u32_e32 v7, 29, v6
	v_bfe_u32 v5, v3, 2, 5
	v_lshlrev_b32_e32 v3, v7, v3
	v_sub_u32_e32 v6, 30, v6
	v_and_b32_e32 v3, 3, v3
	v_cmp_eq_u32_e32 vcc, 0, v5
	v_cndmask_b32_e32 v5, v5, v6, vcc
	v_cndmask_b32_e32 v3, v4, v3, vcc
	v_mov_b32_e32 v4, 0x37800000
	v_lshlrev_b32_e32 v3, 21, v3
	v_and_b32_e32 v2, 0x80000000, v2
	v_lshl_add_u32 v4, v5, 23, v4
	v_or3_b32 v2, v2, v4, v3
	v_cvt_f64_f32_e32 v[2:3], v2
.LBB6_437:
	s_or_b64 exec, exec, s[22:23]
	s_mov_b64 s[0:1], 0
	s_branch .LBB6_443
.LBB6_438:
	s_mov_b64 s[22:23], -1
                                        ; implicit-def: $vgpr2_vgpr3
	s_branch .LBB6_449
.LBB6_439:
	s_or_saveexec_b64 s[26:27], s[26:27]
	v_pk_mov_b32 v[2:3], s[22:23], s[22:23] op_sel:[0,1]
	s_xor_b64 exec, exec, s[26:27]
	s_cbranch_execz .LBB6_422
.LBB6_440:
	v_cmp_ne_u16_e32 vcc, 0, v4
	s_andn2_b64 s[0:1], s[0:1], exec
	s_and_b64 s[22:23], vcc, exec
	v_pk_mov_b32 v[2:3], 0, 0
	s_or_b64 s[0:1], s[0:1], s[22:23]
	s_or_b64 exec, exec, s[26:27]
	s_and_saveexec_b64 s[22:23], s[0:1]
	s_cbranch_execnz .LBB6_423
	s_branch .LBB6_424
.LBB6_441:
	s_mov_b64 s[0:1], -1
                                        ; implicit-def: $vgpr2_vgpr3
	s_branch .LBB6_446
.LBB6_442:
	s_mov_b64 s[0:1], -1
                                        ; implicit-def: $vgpr2_vgpr3
.LBB6_443:
	s_and_b64 vcc, exec, s[0:1]
	s_cbranch_vccz .LBB6_445
; %bb.444:
	global_load_ubyte v2, v[0:1], off
	s_mov_b32 s0, 0x7f800000
	s_waitcnt vmcnt(0)
	v_lshlrev_b32_e32 v2, 24, v2
	v_and_b32_e32 v3, 0x7f000000, v2
	v_ffbh_u32_e32 v4, v3
	v_min_u32_e32 v4, 32, v4
	v_sub_u32_e64 v4, v4, 4 clamp
	v_lshlrev_b32_e32 v6, v4, v3
	v_lshlrev_b32_e32 v4, 23, v4
	v_lshrrev_b32_e32 v6, 4, v6
	v_add_u32_e32 v5, 0x1000000, v3
	v_sub_u32_e32 v4, v6, v4
	v_ashrrev_i32_e32 v5, 8, v5
	v_add_u32_e32 v4, 0x3c000000, v4
	v_and_or_b32 v4, v5, s0, v4
	v_cmp_ne_u32_e32 vcc, 0, v3
	v_cndmask_b32_e32 v3, 0, v4, vcc
	s_brev_b32 s0, 1
	v_and_or_b32 v2, v2, s0, v3
	v_cvt_f64_f32_e32 v[2:3], v2
.LBB6_445:
	s_mov_b64 s[0:1], 0
.LBB6_446:
	s_andn2_b64 vcc, exec, s[0:1]
	s_cbranch_vccnz .LBB6_448
; %bb.447:
	global_load_ubyte v2, v[0:1], off
	s_movk_i32 s0, 0x7f00
	s_brev_b32 s1, 16
	s_waitcnt vmcnt(0)
	v_lshlrev_b16_e32 v3, 8, v2
	v_lshlrev_b32_e32 v2, 25, v2
	v_lshrrev_b32_e32 v4, 4, v2
	v_and_or_b32 v5, v3, s0, 0.5
	v_or_b32_e32 v4, 0x70000000, v4
	v_add_f32_e32 v5, -0.5, v5
	v_mul_f32_e32 v4, 0x7800000, v4
	v_cmp_gt_u32_e32 vcc, s1, v2
	v_bfe_i32 v3, v3, 0, 16
	v_cndmask_b32_e32 v2, v4, v5, vcc
	s_brev_b32 s0, 1
	v_and_or_b32 v2, v3, s0, v2
	v_cvt_f64_f32_e32 v[2:3], v2
.LBB6_448:
	s_mov_b64 s[22:23], 0
	s_mov_b64 s[0:1], -1
.LBB6_449:
	s_andn2_b64 vcc, exec, s[22:23]
	s_cbranch_vccnz .LBB6_462
; %bb.450:
	v_cmp_lt_i16_e32 vcc, 14, v11
	s_cbranch_vccz .LBB6_453
; %bb.451:
	v_cmp_eq_u16_e32 vcc, 15, v11
	s_cbranch_vccz .LBB6_456
; %bb.452:
	global_load_ushort v2, v[0:1], off
	s_mov_b64 s[0:1], -1
	s_mov_b64 s[20:21], 0
	s_waitcnt vmcnt(0)
	v_lshlrev_b32_e32 v2, 16, v2
	v_cvt_f64_f32_e32 v[2:3], v2
	s_branch .LBB6_457
.LBB6_453:
	s_mov_b64 s[22:23], -1
                                        ; implicit-def: $vgpr2_vgpr3
	s_branch .LBB6_458
.LBB6_454:
	s_or_saveexec_b64 s[26:27], s[26:27]
	v_pk_mov_b32 v[2:3], s[22:23], s[22:23] op_sel:[0,1]
	s_xor_b64 exec, exec, s[26:27]
	s_cbranch_execz .LBB6_435
.LBB6_455:
	v_cmp_ne_u16_e32 vcc, 0, v4
	s_andn2_b64 s[0:1], s[0:1], exec
	s_and_b64 s[22:23], vcc, exec
	v_pk_mov_b32 v[2:3], 0, 0
	s_or_b64 s[0:1], s[0:1], s[22:23]
	s_or_b64 exec, exec, s[26:27]
	s_and_saveexec_b64 s[22:23], s[0:1]
	s_cbranch_execnz .LBB6_436
	s_branch .LBB6_437
.LBB6_456:
	s_mov_b64 s[20:21], -1
                                        ; implicit-def: $vgpr2_vgpr3
.LBB6_457:
	s_mov_b64 s[22:23], 0
.LBB6_458:
	s_and_b64 vcc, exec, s[22:23]
	s_cbranch_vccz .LBB6_462
; %bb.459:
	v_cmp_eq_u16_e32 vcc, 11, v11
	s_cbranch_vccz .LBB6_461
; %bb.460:
	global_load_ubyte v3, v[0:1], off
	v_mov_b32_e32 v4, 0x3ff00000
	v_mov_b32_e32 v2, 0
	s_mov_b64 s[0:1], -1
	s_mov_b64 s[20:21], 0
	s_waitcnt vmcnt(0)
	v_cmp_ne_u16_e32 vcc, 0, v3
	v_cndmask_b32_e32 v3, 0, v4, vcc
	s_branch .LBB6_462
.LBB6_461:
	s_mov_b64 s[20:21], -1
                                        ; implicit-def: $vgpr2_vgpr3
.LBB6_462:
	s_branch .LBB6_265
.LBB6_463:
	v_cmp_gt_i16_e32 vcc, 5, v11
	s_cbranch_vccnz .LBB6_468
; %bb.464:
	v_cmp_gt_i16_e32 vcc, 8, v11
	s_cbranch_vccnz .LBB6_469
; %bb.465:
	;; [unrolled: 3-line block ×3, first 2 shown]
	v_cmp_lt_i16_e32 vcc, 9, v11
	s_cbranch_vccz .LBB6_471
; %bb.467:
	global_load_dwordx2 v[2:3], v[0:1], off
	s_mov_b64 s[0:1], 0
	s_branch .LBB6_472
.LBB6_468:
	s_mov_b64 s[0:1], -1
                                        ; implicit-def: $vgpr2_vgpr3
	s_branch .LBB6_490
.LBB6_469:
	s_mov_b64 s[0:1], -1
                                        ; implicit-def: $vgpr2_vgpr3
	s_branch .LBB6_478
.LBB6_470:
	s_mov_b64 s[0:1], -1
                                        ; implicit-def: $vgpr2_vgpr3
	s_branch .LBB6_475
.LBB6_471:
	s_mov_b64 s[0:1], -1
                                        ; implicit-def: $vgpr2_vgpr3
.LBB6_472:
	s_andn2_b64 vcc, exec, s[0:1]
	s_cbranch_vccnz .LBB6_474
; %bb.473:
	global_load_dword v2, v[0:1], off
	s_waitcnt vmcnt(0)
	v_cvt_f64_f32_e32 v[2:3], v2
.LBB6_474:
	s_mov_b64 s[0:1], 0
.LBB6_475:
	s_andn2_b64 vcc, exec, s[0:1]
	s_cbranch_vccnz .LBB6_477
; %bb.476:
	global_load_dword v2, v[0:1], off
	s_waitcnt vmcnt(0)
	v_cvt_f32_f16_e32 v2, v2
	v_cvt_f64_f32_e32 v[2:3], v2
.LBB6_477:
	s_mov_b64 s[0:1], 0
.LBB6_478:
	s_andn2_b64 vcc, exec, s[0:1]
	s_cbranch_vccnz .LBB6_489
; %bb.479:
	v_cmp_gt_i16_e32 vcc, 6, v11
	s_cbranch_vccnz .LBB6_482
; %bb.480:
	v_cmp_lt_i16_e32 vcc, 6, v11
	s_cbranch_vccz .LBB6_483
; %bb.481:
	global_load_dwordx2 v[2:3], v[0:1], off
	s_mov_b64 s[0:1], 0
	s_branch .LBB6_484
.LBB6_482:
	s_mov_b64 s[0:1], -1
                                        ; implicit-def: $vgpr2_vgpr3
	s_branch .LBB6_487
.LBB6_483:
	s_mov_b64 s[0:1], -1
                                        ; implicit-def: $vgpr2_vgpr3
.LBB6_484:
	s_andn2_b64 vcc, exec, s[0:1]
	s_cbranch_vccnz .LBB6_486
; %bb.485:
	global_load_dword v2, v[0:1], off
	s_waitcnt vmcnt(0)
	v_cvt_f64_f32_e32 v[2:3], v2
.LBB6_486:
	s_mov_b64 s[0:1], 0
.LBB6_487:
	s_andn2_b64 vcc, exec, s[0:1]
	s_cbranch_vccnz .LBB6_489
; %bb.488:
	global_load_ushort v2, v[0:1], off
	s_waitcnt vmcnt(0)
	v_cvt_f32_f16_e32 v2, v2
	v_cvt_f64_f32_e32 v[2:3], v2
.LBB6_489:
	s_mov_b64 s[0:1], 0
.LBB6_490:
	s_andn2_b64 vcc, exec, s[0:1]
	s_cbranch_vccnz .LBB6_510
; %bb.491:
	v_cmp_gt_i16_e32 vcc, 2, v11
	s_cbranch_vccnz .LBB6_495
; %bb.492:
	v_cmp_gt_i16_e32 vcc, 3, v11
	s_cbranch_vccnz .LBB6_496
; %bb.493:
	v_cmp_lt_i16_e32 vcc, 3, v11
	s_cbranch_vccz .LBB6_497
; %bb.494:
	global_load_dwordx2 v[2:3], v[0:1], off
	s_mov_b64 s[0:1], 0
	s_waitcnt vmcnt(0)
	v_cvt_f64_i32_e32 v[4:5], v3
	v_cvt_f64_u32_e32 v[2:3], v2
	v_ldexp_f64 v[4:5], v[4:5], 32
	v_add_f64 v[2:3], v[4:5], v[2:3]
	s_branch .LBB6_498
.LBB6_495:
	s_mov_b64 s[0:1], -1
                                        ; implicit-def: $vgpr2_vgpr3
	s_branch .LBB6_504
.LBB6_496:
	s_mov_b64 s[0:1], -1
                                        ; implicit-def: $vgpr2_vgpr3
	s_branch .LBB6_501
.LBB6_497:
	s_mov_b64 s[0:1], -1
                                        ; implicit-def: $vgpr2_vgpr3
.LBB6_498:
	s_andn2_b64 vcc, exec, s[0:1]
	s_cbranch_vccnz .LBB6_500
; %bb.499:
	global_load_dword v2, v[0:1], off
	s_waitcnt vmcnt(0)
	v_cvt_f64_i32_e32 v[2:3], v2
.LBB6_500:
	s_mov_b64 s[0:1], 0
.LBB6_501:
	s_andn2_b64 vcc, exec, s[0:1]
	s_cbranch_vccnz .LBB6_503
; %bb.502:
	global_load_sshort v2, v[0:1], off
	s_waitcnt vmcnt(0)
	v_cvt_f64_i32_e32 v[2:3], v2
.LBB6_503:
	s_mov_b64 s[0:1], 0
.LBB6_504:
	s_andn2_b64 vcc, exec, s[0:1]
	s_cbranch_vccnz .LBB6_510
; %bb.505:
	v_cmp_lt_i16_e32 vcc, 0, v11
	s_cbranch_vccz .LBB6_507
; %bb.506:
	global_load_sbyte v2, v[0:1], off
	s_mov_b64 s[0:1], 0
	s_waitcnt vmcnt(0)
	v_cvt_f64_i32_e32 v[2:3], v2
	s_branch .LBB6_508
.LBB6_507:
	s_mov_b64 s[0:1], -1
                                        ; implicit-def: $vgpr2_vgpr3
.LBB6_508:
	s_andn2_b64 vcc, exec, s[0:1]
	s_cbranch_vccnz .LBB6_510
; %bb.509:
	global_load_ubyte v0, v[0:1], off
	s_waitcnt vmcnt(0)
	v_cvt_f64_u32_e32 v[2:3], v0
.LBB6_510:
	s_branch .LBB6_266
.LBB6_511:
	s_mov_b64 s[26:27], 0
                                        ; implicit-def: $vgpr10
	s_mov_b64 s[0:1], s[6:7]
.LBB6_512:
	s_andn2_b64 s[22:23], s[6:7], exec
	s_and_b64 s[0:1], s[0:1], exec
	s_or_b64 s[22:23], s[22:23], s[0:1]
	s_andn2_b64 s[0:1], s[16:17], exec
	s_and_b64 s[20:21], s[20:21], exec
	s_or_b64 s[20:21], s[0:1], s[20:21]
	s_orn2_b64 s[0:1], s[26:27], exec
.LBB6_513:
	s_or_b64 exec, exec, s[24:25]
	s_mov_b64 s[26:27], 0
	s_mov_b64 s[28:29], 0
	;; [unrolled: 1-line block ×3, first 2 shown]
                                        ; implicit-def: $vgpr0_vgpr1
                                        ; implicit-def: $vgpr2_vgpr3
	s_and_saveexec_b64 s[24:25], s[0:1]
	s_cbranch_execz .LBB6_858
; %bb.514:
	v_cmp_gt_i32_e32 vcc, s40, v10
	s_mov_b64 s[36:37], -1
	s_mov_b64 s[0:1], s[20:21]
	s_mov_b64 s[30:31], s[22:23]
	s_and_saveexec_b64 s[26:27], vcc
	s_cbranch_execz .LBB6_772
; %bb.515:
	v_mul_lo_u32 v0, v10, s13
	v_ashrrev_i32_e32 v1, 31, v0
	s_waitcnt vmcnt(0)
	v_mov_b32_e32 v2, s11
	v_add_co_u32_e32 v0, vcc, s10, v0
	v_addc_co_u32_e32 v1, vcc, v2, v1, vcc
	v_cmp_gt_i16_e32 vcc, 11, v11
	s_cbranch_vccnz .LBB6_522
; %bb.516:
	v_cmp_lt_i16_e32 vcc, 25, v11
	s_cbranch_vccz .LBB6_523
; %bb.517:
	v_cmp_lt_i16_e32 vcc, 28, v11
	s_cbranch_vccz .LBB6_524
	;; [unrolled: 3-line block ×4, first 2 shown]
; %bb.520:
	v_cmp_eq_u16_e32 vcc, 46, v11
	s_mov_b64 s[30:31], 0
	s_cbranch_vccz .LBB6_531
; %bb.521:
	global_load_dword v2, v[0:1], off
	s_mov_b64 s[0:1], -1
	s_waitcnt vmcnt(0)
	v_lshlrev_b32_e32 v2, 16, v2
	v_cvt_f64_f32_e32 v[2:3], v2
	s_branch .LBB6_532
.LBB6_522:
	s_mov_b64 s[30:31], -1
	s_mov_b64 s[0:1], 0
                                        ; implicit-def: $vgpr2_vgpr3
	s_mov_b64 s[28:29], s[20:21]
	s_branch .LBB6_597
.LBB6_523:
	s_mov_b64 s[30:31], -1
	s_mov_b64 s[0:1], 0
	s_mov_b64 s[28:29], s[20:21]
                                        ; implicit-def: $vgpr2_vgpr3
	s_branch .LBB6_561
.LBB6_524:
	s_mov_b64 s[30:31], -1
	s_mov_b64 s[0:1], 0
	s_mov_b64 s[28:29], s[20:21]
                                        ; implicit-def: $vgpr2_vgpr3
	s_branch .LBB6_542
.LBB6_525:
	s_mov_b64 s[30:31], -1
	s_mov_b64 s[0:1], 0
	s_mov_b64 s[28:29], s[20:21]
                                        ; implicit-def: $vgpr2_vgpr3
	s_branch .LBB6_537
.LBB6_526:
	s_or_saveexec_b64 s[28:29], s[28:29]
                                        ; implicit-def: $sgpr30
	s_xor_b64 exec, exec, s[28:29]
	s_cbranch_execz .LBB6_311
.LBB6_527:
	s_mov_b32 s30, 0x46000000
	v_add_f32_e64 v3, |v2|, s30
	v_and_b32_e32 v3, 0xff, v3
	v_cmp_ne_u32_e32 vcc, 0, v3
	s_andn2_b64 s[26:27], s[26:27], exec
	s_and_b64 s[34:35], vcc, exec
	s_mov_b32 s30, 0
	s_or_b64 s[26:27], s[26:27], s[34:35]
	s_or_b64 exec, exec, s[28:29]
	v_mov_b32_e32 v6, s30
	s_and_saveexec_b64 s[28:29], s[26:27]
	s_cbranch_execnz .LBB6_312
	s_branch .LBB6_313
.LBB6_528:
	s_mov_b64 s[30:31], -1
	s_mov_b64 s[0:1], 0
	s_mov_b64 s[28:29], s[20:21]
                                        ; implicit-def: $vgpr2_vgpr3
	s_branch .LBB6_532
.LBB6_529:
	s_or_saveexec_b64 s[28:29], s[28:29]
                                        ; implicit-def: $sgpr30
	s_xor_b64 exec, exec, s[28:29]
	s_cbranch_execz .LBB6_324
.LBB6_530:
	s_mov_b32 s30, 0x42800000
	v_add_f32_e64 v3, |v2|, s30
	v_and_b32_e32 v3, 0xff, v3
	v_cmp_ne_u32_e32 vcc, 0, v3
	s_andn2_b64 s[26:27], s[26:27], exec
	s_and_b64 s[34:35], vcc, exec
	s_mov_b32 s30, 0
	s_or_b64 s[26:27], s[26:27], s[34:35]
	s_or_b64 exec, exec, s[28:29]
	v_mov_b32_e32 v6, s30
	s_and_saveexec_b64 s[28:29], s[26:27]
	s_cbranch_execnz .LBB6_325
	s_branch .LBB6_326
.LBB6_531:
	s_mov_b64 s[28:29], -1
                                        ; implicit-def: $vgpr2_vgpr3
	s_mov_b64 s[0:1], 0
.LBB6_532:
	s_and_b64 vcc, exec, s[30:31]
	s_cbranch_vccz .LBB6_536
; %bb.533:
	v_cmp_eq_u16_e32 vcc, 44, v11
	s_cbranch_vccz .LBB6_535
; %bb.534:
	global_load_ubyte v4, v[0:1], off
	s_movk_i32 s28, 0xff
	v_bfrev_b32_e32 v5, 4
	v_mov_b32_e32 v6, 0x7ff80000
	v_bfrev_b32_e32 v7, 28
	s_mov_b64 s[0:1], -1
	s_waitcnt vmcnt(0)
	v_lshlrev_b32_e32 v2, 23, v4
	v_cvt_f64_f32_e32 v[2:3], v2
	v_cmp_ne_u32_e32 vcc, s28, v4
	v_cndmask_b32_e32 v2, v5, v2, vcc
	v_cndmask_b32_e32 v3, v6, v3, vcc
	v_cmp_ne_u32_e32 vcc, 0, v4
	v_cndmask_b32_e32 v3, v7, v3, vcc
	v_cndmask_b32_e32 v2, 0, v2, vcc
	s_mov_b64 s[28:29], 0
	s_branch .LBB6_536
.LBB6_535:
	s_mov_b64 s[28:29], -1
                                        ; implicit-def: $vgpr2_vgpr3
.LBB6_536:
	s_mov_b64 s[30:31], 0
.LBB6_537:
	s_and_b64 vcc, exec, s[30:31]
	s_cbranch_vccz .LBB6_541
; %bb.538:
	v_cmp_eq_u16_e32 vcc, 29, v11
	s_cbranch_vccz .LBB6_540
; %bb.539:
	global_load_dwordx2 v[2:3], v[0:1], off
	s_mov_b64 s[0:1], -1
	s_mov_b64 s[28:29], 0
	s_mov_b64 s[30:31], 0
	s_waitcnt vmcnt(0)
	v_cvt_f64_u32_e32 v[4:5], v3
	v_cvt_f64_u32_e32 v[2:3], v2
	v_ldexp_f64 v[4:5], v[4:5], 32
	v_add_f64 v[2:3], v[4:5], v[2:3]
	s_branch .LBB6_542
.LBB6_540:
	s_mov_b64 s[28:29], -1
                                        ; implicit-def: $vgpr2_vgpr3
.LBB6_541:
	s_mov_b64 s[30:31], 0
.LBB6_542:
	s_and_b64 vcc, exec, s[30:31]
	s_cbranch_vccz .LBB6_560
; %bb.543:
	v_cmp_gt_i16_e32 vcc, 27, v11
	s_cbranch_vccnz .LBB6_546
; %bb.544:
	v_cmp_lt_i16_e32 vcc, 27, v11
	s_cbranch_vccz .LBB6_547
; %bb.545:
	global_load_dword v2, v[0:1], off
	s_mov_b64 s[0:1], 0
	s_waitcnt vmcnt(0)
	v_cvt_f64_u32_e32 v[2:3], v2
	s_branch .LBB6_548
.LBB6_546:
	s_mov_b64 s[0:1], -1
                                        ; implicit-def: $vgpr2_vgpr3
	s_branch .LBB6_551
.LBB6_547:
	s_mov_b64 s[0:1], -1
                                        ; implicit-def: $vgpr2_vgpr3
.LBB6_548:
	s_andn2_b64 vcc, exec, s[0:1]
	s_cbranch_vccnz .LBB6_550
; %bb.549:
	global_load_ushort v2, v[0:1], off
	s_waitcnt vmcnt(0)
	v_cvt_f64_u32_e32 v[2:3], v2
.LBB6_550:
	s_mov_b64 s[0:1], 0
.LBB6_551:
	s_andn2_b64 vcc, exec, s[0:1]
	s_cbranch_vccnz .LBB6_559
; %bb.552:
	global_load_ubyte v4, v[0:1], off
	s_movk_i32 s0, 0x7f
                                        ; implicit-def: $sgpr30_sgpr31
	s_waitcnt vmcnt(0)
	v_cmp_lt_i16_e32 vcc, s0, v4
	s_mov_b64 s[0:1], 0
	s_and_saveexec_b64 s[34:35], vcc
	s_xor_b64 s[34:35], exec, s[34:35]
	s_cbranch_execz .LBB6_573
; %bb.553:
	s_movk_i32 s0, 0x80
	v_cmp_eq_u16_e32 vcc, s0, v4
                                        ; implicit-def: $sgpr30_sgpr31
	s_and_saveexec_b64 s[0:1], vcc
; %bb.554:
	s_mov_b32 s31, 0x7ff80000
	s_brev_b32 s30, 4
	s_xor_b64 s[36:37], exec, -1
; %bb.555:
	s_or_b64 exec, exec, s[0:1]
	s_and_b64 s[0:1], s[36:37], exec
	s_or_saveexec_b64 s[34:35], s[34:35]
	v_pk_mov_b32 v[2:3], s[30:31], s[30:31] op_sel:[0,1]
	s_xor_b64 exec, exec, s[34:35]
	s_cbranch_execnz .LBB6_574
.LBB6_556:
	s_or_b64 exec, exec, s[34:35]
	s_and_saveexec_b64 s[30:31], s[0:1]
	s_cbranch_execz .LBB6_558
.LBB6_557:
	v_and_b32_e32 v3, 0xffff, v4
	v_lshlrev_b32_e32 v2, 24, v4
	v_and_b32_e32 v4, 7, v3
	v_ffbh_u32_e32 v6, v4
	v_min_u32_e32 v6, 32, v6
	v_subrev_u32_e32 v7, 28, v6
	v_bfe_u32 v5, v3, 3, 4
	v_lshlrev_b32_e32 v3, v7, v3
	v_sub_u32_e32 v6, 29, v6
	v_and_b32_e32 v3, 7, v3
	v_cmp_eq_u32_e32 vcc, 0, v5
	v_cndmask_b32_e32 v5, v5, v6, vcc
	v_cndmask_b32_e32 v3, v4, v3, vcc
	v_mov_b32_e32 v4, 0x3b800000
	v_lshlrev_b32_e32 v3, 20, v3
	v_and_b32_e32 v2, 0x80000000, v2
	v_lshl_add_u32 v4, v5, 23, v4
	v_or3_b32 v2, v2, v4, v3
	v_cvt_f64_f32_e32 v[2:3], v2
.LBB6_558:
	s_or_b64 exec, exec, s[30:31]
.LBB6_559:
	s_mov_b64 s[0:1], -1
.LBB6_560:
	s_mov_b64 s[30:31], 0
.LBB6_561:
	s_and_b64 vcc, exec, s[30:31]
	s_cbranch_vccz .LBB6_596
; %bb.562:
	v_cmp_lt_i16_e32 vcc, 22, v11
	s_cbranch_vccz .LBB6_572
; %bb.563:
	v_cmp_gt_i16_e32 vcc, 24, v11
	s_cbranch_vccnz .LBB6_575
; %bb.564:
	v_cmp_lt_i16_e32 vcc, 24, v11
	s_cbranch_vccz .LBB6_576
; %bb.565:
	global_load_ubyte v4, v[0:1], off
	s_movk_i32 s0, 0x7f
                                        ; implicit-def: $sgpr30_sgpr31
	s_waitcnt vmcnt(0)
	v_cmp_lt_i16_e32 vcc, s0, v4
	s_mov_b64 s[0:1], 0
	s_and_saveexec_b64 s[34:35], vcc
	s_xor_b64 s[34:35], exec, s[34:35]
	s_cbranch_execz .LBB6_588
; %bb.566:
	s_movk_i32 s0, 0x80
	v_cmp_eq_u16_e32 vcc, s0, v4
	s_mov_b64 s[36:37], -1
                                        ; implicit-def: $sgpr30_sgpr31
	s_and_saveexec_b64 s[0:1], vcc
; %bb.567:
	s_mov_b32 s31, 0x7ff80000
	s_brev_b32 s30, 4
	s_xor_b64 s[36:37], exec, -1
; %bb.568:
	s_or_b64 exec, exec, s[0:1]
	s_and_b64 s[0:1], s[36:37], exec
	s_or_saveexec_b64 s[34:35], s[34:35]
	v_pk_mov_b32 v[2:3], s[30:31], s[30:31] op_sel:[0,1]
	s_xor_b64 exec, exec, s[34:35]
	s_cbranch_execnz .LBB6_589
.LBB6_569:
	s_or_b64 exec, exec, s[34:35]
	s_and_saveexec_b64 s[30:31], s[0:1]
	s_cbranch_execz .LBB6_571
.LBB6_570:
	v_and_b32_e32 v3, 0xffff, v4
	v_lshlrev_b32_e32 v2, 24, v4
	v_and_b32_e32 v4, 3, v3
	v_ffbh_u32_e32 v6, v4
	v_min_u32_e32 v6, 32, v6
	v_subrev_u32_e32 v7, 29, v6
	v_bfe_u32 v5, v3, 2, 5
	v_lshlrev_b32_e32 v3, v7, v3
	v_sub_u32_e32 v6, 30, v6
	v_and_b32_e32 v3, 3, v3
	v_cmp_eq_u32_e32 vcc, 0, v5
	v_cndmask_b32_e32 v5, v5, v6, vcc
	v_cndmask_b32_e32 v3, v4, v3, vcc
	v_mov_b32_e32 v4, 0x37800000
	v_lshlrev_b32_e32 v3, 21, v3
	v_and_b32_e32 v2, 0x80000000, v2
	v_lshl_add_u32 v4, v5, 23, v4
	v_or3_b32 v2, v2, v4, v3
	v_cvt_f64_f32_e32 v[2:3], v2
.LBB6_571:
	s_or_b64 exec, exec, s[30:31]
	s_mov_b64 s[0:1], 0
	s_branch .LBB6_577
.LBB6_572:
	s_mov_b64 s[30:31], -1
                                        ; implicit-def: $vgpr2_vgpr3
	s_branch .LBB6_583
.LBB6_573:
	s_or_saveexec_b64 s[34:35], s[34:35]
	v_pk_mov_b32 v[2:3], s[30:31], s[30:31] op_sel:[0,1]
	s_xor_b64 exec, exec, s[34:35]
	s_cbranch_execz .LBB6_556
.LBB6_574:
	v_cmp_ne_u16_e32 vcc, 0, v4
	s_andn2_b64 s[0:1], s[0:1], exec
	s_and_b64 s[30:31], vcc, exec
	v_pk_mov_b32 v[2:3], 0, 0
	s_or_b64 s[0:1], s[0:1], s[30:31]
	s_or_b64 exec, exec, s[34:35]
	s_and_saveexec_b64 s[30:31], s[0:1]
	s_cbranch_execnz .LBB6_557
	s_branch .LBB6_558
.LBB6_575:
	s_mov_b64 s[0:1], -1
                                        ; implicit-def: $vgpr2_vgpr3
	s_branch .LBB6_580
.LBB6_576:
	s_mov_b64 s[0:1], -1
                                        ; implicit-def: $vgpr2_vgpr3
.LBB6_577:
	s_and_b64 vcc, exec, s[0:1]
	s_cbranch_vccz .LBB6_579
; %bb.578:
	global_load_ubyte v2, v[0:1], off
	s_mov_b32 s0, 0x7f800000
	s_waitcnt vmcnt(0)
	v_lshlrev_b32_e32 v2, 24, v2
	v_and_b32_e32 v3, 0x7f000000, v2
	v_ffbh_u32_e32 v4, v3
	v_min_u32_e32 v4, 32, v4
	v_sub_u32_e64 v4, v4, 4 clamp
	v_lshlrev_b32_e32 v6, v4, v3
	v_lshlrev_b32_e32 v4, 23, v4
	v_lshrrev_b32_e32 v6, 4, v6
	v_add_u32_e32 v5, 0x1000000, v3
	v_sub_u32_e32 v4, v6, v4
	v_ashrrev_i32_e32 v5, 8, v5
	v_add_u32_e32 v4, 0x3c000000, v4
	v_and_or_b32 v4, v5, s0, v4
	v_cmp_ne_u32_e32 vcc, 0, v3
	v_cndmask_b32_e32 v3, 0, v4, vcc
	s_brev_b32 s0, 1
	v_and_or_b32 v2, v2, s0, v3
	v_cvt_f64_f32_e32 v[2:3], v2
.LBB6_579:
	s_mov_b64 s[0:1], 0
.LBB6_580:
	s_andn2_b64 vcc, exec, s[0:1]
	s_cbranch_vccnz .LBB6_582
; %bb.581:
	global_load_ubyte v2, v[0:1], off
	s_movk_i32 s0, 0x7f00
	s_brev_b32 s1, 16
	s_waitcnt vmcnt(0)
	v_lshlrev_b16_e32 v3, 8, v2
	v_lshlrev_b32_e32 v2, 25, v2
	v_lshrrev_b32_e32 v4, 4, v2
	v_and_or_b32 v5, v3, s0, 0.5
	v_or_b32_e32 v4, 0x70000000, v4
	v_add_f32_e32 v5, -0.5, v5
	v_mul_f32_e32 v4, 0x7800000, v4
	v_cmp_gt_u32_e32 vcc, s1, v2
	v_bfe_i32 v3, v3, 0, 16
	v_cndmask_b32_e32 v2, v4, v5, vcc
	s_brev_b32 s0, 1
	v_and_or_b32 v2, v3, s0, v2
	v_cvt_f64_f32_e32 v[2:3], v2
.LBB6_582:
	s_mov_b64 s[30:31], 0
	s_mov_b64 s[0:1], -1
.LBB6_583:
	s_andn2_b64 vcc, exec, s[30:31]
	s_cbranch_vccnz .LBB6_596
; %bb.584:
	v_cmp_lt_i16_e32 vcc, 14, v11
	s_cbranch_vccz .LBB6_587
; %bb.585:
	v_cmp_eq_u16_e32 vcc, 15, v11
	s_cbranch_vccz .LBB6_590
; %bb.586:
	global_load_ushort v2, v[0:1], off
	s_mov_b64 s[0:1], -1
	s_mov_b64 s[28:29], 0
	s_waitcnt vmcnt(0)
	v_lshlrev_b32_e32 v2, 16, v2
	v_cvt_f64_f32_e32 v[2:3], v2
	s_branch .LBB6_591
.LBB6_587:
	s_mov_b64 s[30:31], -1
                                        ; implicit-def: $vgpr2_vgpr3
	s_branch .LBB6_592
.LBB6_588:
	s_or_saveexec_b64 s[34:35], s[34:35]
	v_pk_mov_b32 v[2:3], s[30:31], s[30:31] op_sel:[0,1]
	s_xor_b64 exec, exec, s[34:35]
	s_cbranch_execz .LBB6_569
.LBB6_589:
	v_cmp_ne_u16_e32 vcc, 0, v4
	s_andn2_b64 s[0:1], s[0:1], exec
	s_and_b64 s[30:31], vcc, exec
	v_pk_mov_b32 v[2:3], 0, 0
	s_or_b64 s[0:1], s[0:1], s[30:31]
	s_or_b64 exec, exec, s[34:35]
	s_and_saveexec_b64 s[30:31], s[0:1]
	s_cbranch_execnz .LBB6_570
	s_branch .LBB6_571
.LBB6_590:
	s_mov_b64 s[28:29], -1
                                        ; implicit-def: $vgpr2_vgpr3
.LBB6_591:
	s_mov_b64 s[30:31], 0
.LBB6_592:
	s_and_b64 vcc, exec, s[30:31]
	s_cbranch_vccz .LBB6_596
; %bb.593:
	v_cmp_eq_u16_e32 vcc, 11, v11
	s_cbranch_vccz .LBB6_595
; %bb.594:
	global_load_ubyte v3, v[0:1], off
	v_mov_b32_e32 v4, 0x3ff00000
	v_mov_b32_e32 v2, 0
	s_mov_b64 s[0:1], -1
	s_mov_b64 s[28:29], 0
	s_waitcnt vmcnt(0)
	v_cmp_ne_u16_e32 vcc, 0, v3
	v_cndmask_b32_e32 v3, 0, v4, vcc
	s_branch .LBB6_596
.LBB6_595:
	s_mov_b64 s[28:29], -1
                                        ; implicit-def: $vgpr2_vgpr3
.LBB6_596:
	s_mov_b64 s[30:31], 0
.LBB6_597:
	s_and_b64 vcc, exec, s[30:31]
	s_cbranch_vccz .LBB6_646
; %bb.598:
	v_cmp_gt_i16_e32 vcc, 5, v11
	s_cbranch_vccnz .LBB6_603
; %bb.599:
	v_cmp_gt_i16_e32 vcc, 8, v11
	s_cbranch_vccnz .LBB6_604
; %bb.600:
	v_cmp_gt_i16_e32 vcc, 9, v11
	s_cbranch_vccnz .LBB6_605
; %bb.601:
	v_cmp_lt_i16_e32 vcc, 9, v11
	s_cbranch_vccz .LBB6_606
; %bb.602:
	global_load_dwordx2 v[2:3], v[0:1], off
	s_mov_b64 s[0:1], 0
	s_branch .LBB6_607
.LBB6_603:
	s_mov_b64 s[0:1], -1
                                        ; implicit-def: $vgpr2_vgpr3
	s_branch .LBB6_625
.LBB6_604:
	s_mov_b64 s[0:1], -1
                                        ; implicit-def: $vgpr2_vgpr3
	s_branch .LBB6_613
.LBB6_605:
	s_mov_b64 s[0:1], -1
                                        ; implicit-def: $vgpr2_vgpr3
	s_branch .LBB6_610
.LBB6_606:
	s_mov_b64 s[0:1], -1
                                        ; implicit-def: $vgpr2_vgpr3
.LBB6_607:
	s_andn2_b64 vcc, exec, s[0:1]
	s_cbranch_vccnz .LBB6_609
; %bb.608:
	global_load_dword v2, v[0:1], off
	s_waitcnt vmcnt(0)
	v_cvt_f64_f32_e32 v[2:3], v2
.LBB6_609:
	s_mov_b64 s[0:1], 0
.LBB6_610:
	s_andn2_b64 vcc, exec, s[0:1]
	s_cbranch_vccnz .LBB6_612
; %bb.611:
	global_load_dword v2, v[0:1], off
	s_waitcnt vmcnt(0)
	v_cvt_f32_f16_e32 v2, v2
	v_cvt_f64_f32_e32 v[2:3], v2
.LBB6_612:
	s_mov_b64 s[0:1], 0
.LBB6_613:
	s_andn2_b64 vcc, exec, s[0:1]
	s_cbranch_vccnz .LBB6_624
; %bb.614:
	v_cmp_gt_i16_e32 vcc, 6, v11
	s_cbranch_vccnz .LBB6_617
; %bb.615:
	v_cmp_lt_i16_e32 vcc, 6, v11
	s_cbranch_vccz .LBB6_618
; %bb.616:
	global_load_dwordx2 v[2:3], v[0:1], off
	s_mov_b64 s[0:1], 0
	s_branch .LBB6_619
.LBB6_617:
	s_mov_b64 s[0:1], -1
                                        ; implicit-def: $vgpr2_vgpr3
	s_branch .LBB6_622
.LBB6_618:
	s_mov_b64 s[0:1], -1
                                        ; implicit-def: $vgpr2_vgpr3
.LBB6_619:
	s_andn2_b64 vcc, exec, s[0:1]
	s_cbranch_vccnz .LBB6_621
; %bb.620:
	global_load_dword v2, v[0:1], off
	s_waitcnt vmcnt(0)
	v_cvt_f64_f32_e32 v[2:3], v2
.LBB6_621:
	s_mov_b64 s[0:1], 0
.LBB6_622:
	s_andn2_b64 vcc, exec, s[0:1]
	s_cbranch_vccnz .LBB6_624
; %bb.623:
	global_load_ushort v2, v[0:1], off
	s_waitcnt vmcnt(0)
	v_cvt_f32_f16_e32 v2, v2
	v_cvt_f64_f32_e32 v[2:3], v2
.LBB6_624:
	s_mov_b64 s[0:1], 0
.LBB6_625:
	s_andn2_b64 vcc, exec, s[0:1]
	s_cbranch_vccnz .LBB6_645
; %bb.626:
	v_cmp_gt_i16_e32 vcc, 2, v11
	s_cbranch_vccnz .LBB6_630
; %bb.627:
	v_cmp_gt_i16_e32 vcc, 3, v11
	s_cbranch_vccnz .LBB6_631
; %bb.628:
	v_cmp_lt_i16_e32 vcc, 3, v11
	s_cbranch_vccz .LBB6_632
; %bb.629:
	global_load_dwordx2 v[2:3], v[0:1], off
	s_mov_b64 s[0:1], 0
	s_waitcnt vmcnt(0)
	v_cvt_f64_i32_e32 v[4:5], v3
	v_cvt_f64_u32_e32 v[2:3], v2
	v_ldexp_f64 v[4:5], v[4:5], 32
	v_add_f64 v[2:3], v[4:5], v[2:3]
	s_branch .LBB6_633
.LBB6_630:
	s_mov_b64 s[0:1], -1
                                        ; implicit-def: $vgpr2_vgpr3
	s_branch .LBB6_639
.LBB6_631:
	s_mov_b64 s[0:1], -1
                                        ; implicit-def: $vgpr2_vgpr3
	s_branch .LBB6_636
.LBB6_632:
	s_mov_b64 s[0:1], -1
                                        ; implicit-def: $vgpr2_vgpr3
.LBB6_633:
	s_andn2_b64 vcc, exec, s[0:1]
	s_cbranch_vccnz .LBB6_635
; %bb.634:
	global_load_dword v2, v[0:1], off
	s_waitcnt vmcnt(0)
	v_cvt_f64_i32_e32 v[2:3], v2
.LBB6_635:
	s_mov_b64 s[0:1], 0
.LBB6_636:
	s_andn2_b64 vcc, exec, s[0:1]
	s_cbranch_vccnz .LBB6_638
; %bb.637:
	global_load_sshort v2, v[0:1], off
	s_waitcnt vmcnt(0)
	v_cvt_f64_i32_e32 v[2:3], v2
.LBB6_638:
	s_mov_b64 s[0:1], 0
.LBB6_639:
	s_andn2_b64 vcc, exec, s[0:1]
	s_cbranch_vccnz .LBB6_645
; %bb.640:
	v_cmp_lt_i16_e32 vcc, 0, v11
	s_cbranch_vccz .LBB6_642
; %bb.641:
	global_load_sbyte v2, v[0:1], off
	s_mov_b64 s[0:1], 0
	s_waitcnt vmcnt(0)
	v_cvt_f64_i32_e32 v[2:3], v2
	s_branch .LBB6_643
.LBB6_642:
	s_mov_b64 s[0:1], -1
                                        ; implicit-def: $vgpr2_vgpr3
.LBB6_643:
	s_andn2_b64 vcc, exec, s[0:1]
	s_cbranch_vccnz .LBB6_645
; %bb.644:
	global_load_ubyte v0, v[0:1], off
	s_waitcnt vmcnt(0)
	v_cvt_f64_u32_e32 v[2:3], v0
.LBB6_645:
	s_mov_b64 s[0:1], -1
.LBB6_646:
	s_andn2_b64 vcc, exec, s[0:1]
	s_cbranch_vccnz .LBB6_654
; %bb.647:
	s_waitcnt vmcnt(0)
	v_cmp_nge_f64_e64 s[0:1], v[2:3], -s[14:15]
	v_cmp_nge_f64_e32 vcc, s[14:15], v[2:3]
	s_or_b64 vcc, s[0:1], vcc
	v_cndmask_b32_e32 v0, 0, v2, vcc
	v_mul_lo_u32 v2, v10, s12
	v_cndmask_b32_e32 v1, 0, v3, vcc
	v_ashrrev_i32_e32 v3, 31, v2
	v_mov_b32_e32 v5, s9
	v_add_co_u32_e32 v4, vcc, s8, v2
	v_mov_b32_e32 v2, 11
	v_addc_co_u32_e32 v5, vcc, v5, v3, vcc
	v_cmp_lt_i16_sdwa s[0:1], s33, v2 src0_sel:BYTE_0 src1_sel:DWORD
	s_and_b64 vcc, exec, s[0:1]
	s_cbranch_vccnz .LBB6_655
; %bb.648:
	v_mov_b32_e32 v2, 25
	v_cmp_gt_i16_sdwa s[0:1], s33, v2 src0_sel:BYTE_0 src1_sel:DWORD
	s_and_b64 vcc, exec, s[0:1]
	s_cbranch_vccz .LBB6_656
; %bb.649:
	v_mov_b32_e32 v2, 28
	v_cmp_gt_i16_sdwa s[0:1], s33, v2 src0_sel:BYTE_0 src1_sel:DWORD
	s_and_b64 vcc, exec, s[0:1]
	s_cbranch_vccz .LBB6_657
; %bb.650:
	v_mov_b32_e32 v2, 43
	v_cmp_gt_i16_sdwa s[0:1], s33, v2 src0_sel:BYTE_0 src1_sel:DWORD
	s_and_b64 vcc, exec, s[0:1]
	s_cbranch_vccz .LBB6_658
; %bb.651:
	v_mov_b32_e32 v2, 45
	v_cmp_gt_i16_sdwa s[0:1], s33, v2 src0_sel:BYTE_0 src1_sel:DWORD
	s_and_b64 vcc, exec, s[0:1]
	s_cbranch_vccz .LBB6_659
; %bb.652:
	v_mov_b32_e32 v2, 46
	v_cmp_eq_u16_sdwa s[30:31], s33, v2 src0_sel:BYTE_0 src1_sel:DWORD
	s_mov_b64 s[34:35], 0
	s_mov_b64 s[0:1], -1
	s_and_b64 vcc, exec, s[30:31]
	s_mov_b64 s[30:31], 0
	s_cbranch_vccz .LBB6_660
; %bb.653:
	v_cvt_f32_f64_e32 v2, v[0:1]
	v_bfe_u32 v3, v2, 16, 1
	s_movk_i32 s0, 0x7fff
	v_add3_u32 v3, v2, v3, s0
	v_lshrrev_b32_e32 v3, 16, v3
	v_mov_b32_e32 v6, 0x7fc0
	v_cmp_o_f32_e32 vcc, v2, v2
	v_cndmask_b32_e32 v2, v6, v3, vcc
	global_store_dword v[4:5], v2, off
	s_mov_b64 s[30:31], -1
	s_mov_b64 s[0:1], 0
	s_branch .LBB6_660
.LBB6_654:
	s_mov_b64 s[34:35], 0
                                        ; implicit-def: $vgpr10
	s_mov_b64 s[0:1], s[22:23]
	s_branch .LBB6_771
.LBB6_655:
	s_mov_b64 s[34:35], -1
	s_mov_b64 s[30:31], 0
	s_mov_b64 s[0:1], s[22:23]
	s_branch .LBB6_729
.LBB6_656:
	s_mov_b64 s[34:35], -1
	s_mov_b64 s[30:31], 0
	s_mov_b64 s[0:1], s[22:23]
	s_branch .LBB6_687
.LBB6_657:
	s_mov_b64 s[34:35], -1
	s_mov_b64 s[30:31], 0
	s_mov_b64 s[0:1], s[22:23]
	s_branch .LBB6_670
.LBB6_658:
	s_mov_b64 s[34:35], -1
	s_mov_b64 s[30:31], 0
	s_mov_b64 s[0:1], s[22:23]
	s_branch .LBB6_666
.LBB6_659:
	s_mov_b64 s[34:35], -1
	s_mov_b64 s[30:31], 0
	s_mov_b64 s[0:1], s[22:23]
.LBB6_660:
	s_and_b64 vcc, exec, s[34:35]
	s_cbranch_vccz .LBB6_665
; %bb.661:
	v_mov_b32_e32 v2, 44
	v_cmp_eq_u16_sdwa s[34:35], s33, v2 src0_sel:BYTE_0 src1_sel:DWORD
	s_mov_b64 s[0:1], -1
	s_and_b64 vcc, exec, s[34:35]
	s_cbranch_vccz .LBB6_665
; %bb.662:
	v_cvt_f32_f64_e32 v2, v[0:1]
	v_bfe_u32 v3, v2, 23, 8
	s_movk_i32 s0, 0xff
	v_cmp_ne_u32_e32 vcc, s0, v3
	v_mov_b32_e32 v6, 0xff
	s_and_saveexec_b64 s[30:31], vcc
; %bb.663:
	s_mov_b32 s0, 0x3fffff
	v_lshrrev_b32_e32 v6, 23, v2
	v_and_b32_e32 v7, 0x400000, v2
	v_and_or_b32 v2, v2, s0, v3
	v_cmp_ne_u32_e32 vcc, 0, v7
	v_cmp_ne_u32_e64 s[0:1], 0, v2
	s_and_b64 s[0:1], vcc, s[0:1]
	v_cndmask_b32_e64 v2, 0, 1, s[0:1]
	v_add_u32_e32 v6, v6, v2
; %bb.664:
	s_or_b64 exec, exec, s[30:31]
	s_mov_b64 s[30:31], -1
	s_mov_b64 s[0:1], 0
	global_store_byte v[4:5], v6, off
.LBB6_665:
	s_mov_b64 s[34:35], 0
.LBB6_666:
	s_and_b64 vcc, exec, s[34:35]
	s_cbranch_vccz .LBB6_669
; %bb.667:
	v_mov_b32_e32 v2, 29
	v_cmp_eq_u16_sdwa s[34:35], s33, v2 src0_sel:BYTE_0 src1_sel:DWORD
	s_mov_b64 s[0:1], -1
	s_and_b64 vcc, exec, s[34:35]
	s_cbranch_vccz .LBB6_669
; %bb.668:
	v_trunc_f64_e32 v[2:3], v[0:1]
	s_movk_i32 s0, 0xffe0
	v_ldexp_f64 v[6:7], v[2:3], s0
	v_floor_f64_e32 v[6:7], v[6:7]
	v_fmac_f64_e32 v[2:3], 0xc1f00000, v[6:7]
	v_cvt_u32_f64_e32 v9, v[6:7]
	v_cvt_u32_f64_e32 v8, v[2:3]
	global_store_dwordx2 v[4:5], v[8:9], off
	s_mov_b64 s[30:31], -1
	s_mov_b64 s[0:1], 0
.LBB6_669:
	s_mov_b64 s[34:35], 0
.LBB6_670:
	s_and_b64 vcc, exec, s[34:35]
	s_cbranch_vccz .LBB6_686
; %bb.671:
	v_mov_b32_e32 v2, 27
	v_cmp_lt_i16_sdwa s[34:35], s33, v2 src0_sel:BYTE_0 src1_sel:DWORD
	s_mov_b64 s[30:31], -1
	s_and_b64 vcc, exec, s[34:35]
	s_cbranch_vccnz .LBB6_677
; %bb.672:
	v_cmp_gt_i16_sdwa s[34:35], s33, v2 src0_sel:BYTE_0 src1_sel:DWORD
	s_and_b64 vcc, exec, s[34:35]
	v_cvt_u32_f64_e32 v2, v[0:1]
	s_cbranch_vccz .LBB6_674
; %bb.673:
	s_mov_b64 s[30:31], 0
	global_store_dword v[4:5], v2, off
.LBB6_674:
	s_andn2_b64 vcc, exec, s[30:31]
	s_cbranch_vccnz .LBB6_676
; %bb.675:
	global_store_short v[4:5], v2, off
.LBB6_676:
	s_mov_b64 s[30:31], 0
.LBB6_677:
	s_andn2_b64 vcc, exec, s[30:31]
	s_cbranch_vccnz .LBB6_685
; %bb.678:
	v_cvt_f32_f64_e32 v2, v[0:1]
	v_and_b32_e32 v3, 0x7fffffff, v2
	s_mov_b32 s30, 0x43800000
	v_cmp_gt_u32_e32 vcc, s30, v3
	v_mov_b32_e32 v6, 0x80
	s_and_saveexec_b64 s[30:31], vcc
	s_cbranch_execz .LBB6_684
; %bb.679:
	s_mov_b32 s34, 0x3bffffff
	v_cmp_lt_u32_e32 vcc, s34, v3
	s_mov_b64 s[34:35], 0
                                        ; implicit-def: $vgpr3
	s_and_saveexec_b64 s[36:37], vcc
	s_xor_b64 s[36:37], exec, s[36:37]
	s_cbranch_execz .LBB6_785
; %bb.680:
	v_bfe_u32 v3, v2, 20, 1
	s_mov_b32 s38, 0x487ffff
	v_add3_u32 v3, v2, v3, s38
	s_mov_b64 s[34:35], exec
	v_lshrrev_b32_e32 v3, 20, v3
	s_or_saveexec_b64 s[36:37], s[36:37]
                                        ; implicit-def: $sgpr38
	s_xor_b64 exec, exec, s[36:37]
	s_cbranch_execnz .LBB6_786
.LBB6_681:
	s_or_b64 exec, exec, s[36:37]
	v_mov_b32_e32 v6, s38
	s_and_saveexec_b64 s[36:37], s[34:35]
.LBB6_682:
	v_lshrrev_b32_e32 v2, 24, v2
	s_movk_i32 s34, 0x80
	v_and_or_b32 v6, v2, s34, v3
.LBB6_683:
	s_or_b64 exec, exec, s[36:37]
.LBB6_684:
	s_or_b64 exec, exec, s[30:31]
	global_store_byte v[4:5], v6, off
.LBB6_685:
	s_mov_b64 s[30:31], -1
.LBB6_686:
	s_mov_b64 s[34:35], 0
.LBB6_687:
	s_and_b64 vcc, exec, s[34:35]
	s_cbranch_vccz .LBB6_728
; %bb.688:
	v_mov_b32_e32 v2, 22
	v_cmp_gt_i16_sdwa s[36:37], s33, v2 src0_sel:BYTE_0 src1_sel:DWORD
	s_mov_b64 s[34:35], -1
	s_and_b64 vcc, exec, s[36:37]
	s_cbranch_vccz .LBB6_720
; %bb.689:
	v_mov_b32_e32 v2, 24
	v_cmp_lt_i16_sdwa s[34:35], s33, v2 src0_sel:BYTE_0 src1_sel:DWORD
	s_mov_b64 s[30:31], -1
	s_and_b64 vcc, exec, s[34:35]
	s_cbranch_vccnz .LBB6_709
; %bb.690:
	v_cmp_gt_i16_sdwa s[34:35], s33, v2 src0_sel:BYTE_0 src1_sel:DWORD
	s_and_b64 vcc, exec, s[34:35]
	s_cbranch_vccz .LBB6_698
; %bb.691:
	v_cvt_f32_f64_e32 v2, v[0:1]
	v_and_b32_e32 v3, 0x7fffffff, v2
	s_mov_b32 s30, 0x47800000
	v_cmp_gt_u32_e32 vcc, s30, v3
	v_mov_b32_e32 v6, 0x80
	s_and_saveexec_b64 s[30:31], vcc
	s_cbranch_execz .LBB6_697
; %bb.692:
	s_mov_b32 s34, 0x37ffffff
	v_cmp_lt_u32_e32 vcc, s34, v3
	s_mov_b64 s[34:35], 0
                                        ; implicit-def: $vgpr3
	s_and_saveexec_b64 s[36:37], vcc
	s_xor_b64 s[36:37], exec, s[36:37]
	s_cbranch_execz .LBB6_788
; %bb.693:
	v_bfe_u32 v3, v2, 21, 1
	s_mov_b32 s38, 0x88fffff
	v_add3_u32 v3, v2, v3, s38
	s_mov_b64 s[34:35], exec
	v_lshrrev_b32_e32 v3, 21, v3
	s_or_saveexec_b64 s[36:37], s[36:37]
                                        ; implicit-def: $sgpr38
	s_xor_b64 exec, exec, s[36:37]
	s_cbranch_execnz .LBB6_789
.LBB6_694:
	s_or_b64 exec, exec, s[36:37]
	v_mov_b32_e32 v6, s38
	s_and_saveexec_b64 s[36:37], s[34:35]
.LBB6_695:
	v_lshrrev_b32_e32 v2, 24, v2
	s_movk_i32 s34, 0x80
	v_and_or_b32 v6, v2, s34, v3
.LBB6_696:
	s_or_b64 exec, exec, s[36:37]
.LBB6_697:
	s_or_b64 exec, exec, s[30:31]
	s_mov_b64 s[30:31], 0
	global_store_byte v[4:5], v6, off
.LBB6_698:
	s_and_b64 vcc, exec, s[30:31]
	s_cbranch_vccz .LBB6_708
; %bb.699:
	v_cvt_f32_f64_e32 v2, v[0:1]
	v_and_b32_e32 v6, 0x7fffffff, v2
	s_mov_b32 s30, 0x43f00000
	v_cmp_gt_u32_e32 vcc, s30, v6
                                        ; implicit-def: $vgpr3
	s_and_saveexec_b64 s[30:31], vcc
	s_xor_b64 s[30:31], exec, s[30:31]
	s_cbranch_execz .LBB6_705
; %bb.700:
	s_mov_b32 s34, 0x3c7fffff
	v_cmp_lt_u32_e32 vcc, s34, v6
                                        ; implicit-def: $vgpr3
	s_and_saveexec_b64 s[34:35], vcc
	s_xor_b64 s[34:35], exec, s[34:35]
; %bb.701:
	v_bfe_u32 v3, v2, 20, 1
	s_mov_b32 s36, 0x407ffff
	v_add3_u32 v3, v2, v3, s36
	v_lshrrev_b32_e32 v6, 20, v3
	v_and_b32_e32 v3, 0xff00000, v3
	s_mov_b32 s36, 0x7f00000
	v_mov_b32_e32 v7, 0x7e
	v_cmp_ne_u32_e32 vcc, s36, v3
	v_cndmask_b32_e32 v3, v7, v6, vcc
; %bb.702:
	s_andn2_saveexec_b64 s[34:35], s[34:35]
; %bb.703:
	s_mov_b32 s36, 0x46800000
	v_add_f32_e64 v3, |v2|, s36
; %bb.704:
	s_or_b64 exec, exec, s[34:35]
                                        ; implicit-def: $vgpr6
.LBB6_705:
	s_andn2_saveexec_b64 s[30:31], s[30:31]
; %bb.706:
	s_mov_b32 s34, 0x7f800000
	v_mov_b32_e32 v3, 0x7e
	v_mov_b32_e32 v7, 0x7f
	v_cmp_lt_u32_e32 vcc, s34, v6
	v_cndmask_b32_e32 v3, v3, v7, vcc
; %bb.707:
	s_or_b64 exec, exec, s[30:31]
	v_lshrrev_b32_e32 v2, 24, v2
	s_movk_i32 s30, 0x80
	v_and_or_b32 v2, v2, s30, v3
	global_store_byte v[4:5], v2, off
.LBB6_708:
	s_mov_b64 s[30:31], 0
.LBB6_709:
	s_andn2_b64 vcc, exec, s[30:31]
	s_cbranch_vccnz .LBB6_719
; %bb.710:
	v_cvt_f32_f64_e32 v2, v[0:1]
	v_and_b32_e32 v6, 0x7fffffff, v2
	s_mov_b32 s30, 0x47800000
	v_cmp_gt_u32_e32 vcc, s30, v6
                                        ; implicit-def: $vgpr3
	s_and_saveexec_b64 s[30:31], vcc
	s_xor_b64 s[30:31], exec, s[30:31]
	s_cbranch_execz .LBB6_716
; %bb.711:
	s_mov_b32 s34, 0x387fffff
	v_cmp_lt_u32_e32 vcc, s34, v6
                                        ; implicit-def: $vgpr3
	s_and_saveexec_b64 s[34:35], vcc
	s_xor_b64 s[34:35], exec, s[34:35]
; %bb.712:
	v_bfe_u32 v3, v2, 21, 1
	s_mov_b32 s36, 0x80fffff
	v_add3_u32 v3, v2, v3, s36
	v_lshrrev_b32_e32 v3, 21, v3
; %bb.713:
	s_andn2_saveexec_b64 s[34:35], s[34:35]
; %bb.714:
	s_mov_b32 s36, 0x43000000
	v_add_f32_e64 v3, |v2|, s36
; %bb.715:
	s_or_b64 exec, exec, s[34:35]
                                        ; implicit-def: $vgpr6
.LBB6_716:
	s_andn2_saveexec_b64 s[30:31], s[30:31]
; %bb.717:
	s_mov_b32 s34, 0x7f800000
	v_mov_b32_e32 v3, 0x7c
	v_mov_b32_e32 v7, 0x7f
	v_cmp_lt_u32_e32 vcc, s34, v6
	v_cndmask_b32_e32 v3, v3, v7, vcc
; %bb.718:
	s_or_b64 exec, exec, s[30:31]
	v_lshrrev_b32_e32 v2, 24, v2
	s_movk_i32 s30, 0x80
	v_and_or_b32 v2, v2, s30, v3
	global_store_byte v[4:5], v2, off
.LBB6_719:
	s_mov_b64 s[34:35], 0
	s_mov_b64 s[30:31], -1
.LBB6_720:
	s_andn2_b64 vcc, exec, s[34:35]
	s_cbranch_vccnz .LBB6_728
; %bb.721:
	v_mov_b32_e32 v2, 14
	v_cmp_gt_i16_sdwa s[36:37], s33, v2 src0_sel:BYTE_0 src1_sel:DWORD
	s_mov_b64 s[34:35], -1
	s_and_b64 vcc, exec, s[36:37]
	s_cbranch_vccz .LBB6_725
; %bb.722:
	v_mov_b32_e32 v2, 15
	v_cmp_eq_u16_sdwa s[34:35], s33, v2 src0_sel:BYTE_0 src1_sel:DWORD
	s_mov_b64 s[0:1], -1
	s_and_b64 vcc, exec, s[34:35]
	s_cbranch_vccz .LBB6_724
; %bb.723:
	v_cvt_f32_f64_e32 v2, v[0:1]
	v_bfe_u32 v3, v2, 16, 1
	s_movk_i32 s0, 0x7fff
	v_add3_u32 v3, v2, v3, s0
	v_lshrrev_b32_e32 v3, 16, v3
	v_mov_b32_e32 v6, 0x7fc0
	v_cmp_o_f32_e32 vcc, v2, v2
	v_cndmask_b32_e32 v2, v6, v3, vcc
	global_store_short v[4:5], v2, off
	s_mov_b64 s[30:31], -1
	s_mov_b64 s[0:1], 0
.LBB6_724:
	s_mov_b64 s[34:35], 0
.LBB6_725:
	s_and_b64 vcc, exec, s[34:35]
	s_cbranch_vccz .LBB6_728
; %bb.726:
	v_mov_b32_e32 v2, 11
	v_cmp_eq_u16_sdwa s[34:35], s33, v2 src0_sel:BYTE_0 src1_sel:DWORD
	s_mov_b64 s[0:1], -1
	s_and_b64 vcc, exec, s[34:35]
	s_cbranch_vccz .LBB6_728
; %bb.727:
	v_cmp_neq_f64_e32 vcc, 0, v[0:1]
	s_mov_b64 s[0:1], 0
	v_cndmask_b32_e64 v2, 0, 1, vcc
	s_mov_b64 s[30:31], -1
	global_store_byte v[4:5], v2, off
.LBB6_728:
	s_mov_b64 s[34:35], 0
.LBB6_729:
	s_and_b64 vcc, exec, s[34:35]
	s_cbranch_vccz .LBB6_768
; %bb.730:
	v_mov_b32_e32 v2, 5
	v_cmp_lt_i16_sdwa s[34:35], s33, v2 src0_sel:BYTE_0 src1_sel:DWORD
	s_mov_b64 s[30:31], -1
	s_and_b64 vcc, exec, s[34:35]
	s_cbranch_vccnz .LBB6_751
; %bb.731:
	v_mov_b32_e32 v2, 8
	v_cmp_lt_i16_sdwa s[34:35], s33, v2 src0_sel:BYTE_0 src1_sel:DWORD
	s_and_b64 vcc, exec, s[34:35]
	s_cbranch_vccnz .LBB6_741
; %bb.732:
	v_mov_b32_e32 v2, 9
	v_cmp_lt_i16_sdwa s[34:35], s33, v2 src0_sel:BYTE_0 src1_sel:DWORD
	s_and_b64 vcc, exec, s[34:35]
	s_cbranch_vccnz .LBB6_738
; %bb.733:
	v_cmp_gt_i16_sdwa s[34:35], s33, v2 src0_sel:BYTE_0 src1_sel:DWORD
	s_and_b64 vcc, exec, s[34:35]
	s_cbranch_vccz .LBB6_735
; %bb.734:
	v_mov_b32_e32 v2, 0
	v_mov_b32_e32 v3, v2
	s_mov_b64 s[30:31], 0
	global_store_dwordx4 v[4:5], v[0:3], off
.LBB6_735:
	s_andn2_b64 vcc, exec, s[30:31]
	s_cbranch_vccnz .LBB6_737
; %bb.736:
	v_cvt_f32_f64_e32 v2, v[0:1]
	v_mov_b32_e32 v3, 0
	global_store_dwordx2 v[4:5], v[2:3], off
.LBB6_737:
	s_mov_b64 s[30:31], 0
.LBB6_738:
	s_andn2_b64 vcc, exec, s[30:31]
	s_cbranch_vccnz .LBB6_740
; %bb.739:
	v_cvt_f32_f64_e32 v2, v[0:1]
	v_cvt_f16_f32_e32 v2, v2
	global_store_dword v[4:5], v2, off
.LBB6_740:
	s_mov_b64 s[30:31], 0
.LBB6_741:
	s_andn2_b64 vcc, exec, s[30:31]
	s_cbranch_vccnz .LBB6_750
; %bb.742:
	v_mov_b32_e32 v2, 6
	v_cmp_lt_i16_sdwa s[34:35], s33, v2 src0_sel:BYTE_0 src1_sel:DWORD
	s_mov_b64 s[30:31], -1
	s_and_b64 vcc, exec, s[34:35]
	s_cbranch_vccnz .LBB6_748
; %bb.743:
	v_cmp_gt_i16_sdwa s[34:35], s33, v2 src0_sel:BYTE_0 src1_sel:DWORD
	s_and_b64 vcc, exec, s[34:35]
	s_cbranch_vccz .LBB6_745
; %bb.744:
	s_mov_b64 s[30:31], 0
	global_store_dwordx2 v[4:5], v[0:1], off
.LBB6_745:
	s_andn2_b64 vcc, exec, s[30:31]
	s_cbranch_vccnz .LBB6_747
; %bb.746:
	v_cvt_f32_f64_e32 v2, v[0:1]
	global_store_dword v[4:5], v2, off
.LBB6_747:
	s_mov_b64 s[30:31], 0
.LBB6_748:
	s_andn2_b64 vcc, exec, s[30:31]
	s_cbranch_vccnz .LBB6_750
; %bb.749:
	v_cvt_f32_f64_e32 v2, v[0:1]
	v_cvt_f16_f32_e32 v2, v2
	global_store_short v[4:5], v2, off
.LBB6_750:
	s_mov_b64 s[30:31], 0
.LBB6_751:
	s_andn2_b64 vcc, exec, s[30:31]
	s_cbranch_vccnz .LBB6_767
; %bb.752:
	v_mov_b32_e32 v2, 2
	v_cmp_lt_i16_sdwa s[34:35], s33, v2 src0_sel:BYTE_0 src1_sel:DWORD
	s_mov_b64 s[30:31], -1
	s_and_b64 vcc, exec, s[34:35]
	s_cbranch_vccnz .LBB6_762
; %bb.753:
	v_mov_b32_e32 v2, 3
	v_cmp_lt_i16_sdwa s[34:35], s33, v2 src0_sel:BYTE_0 src1_sel:DWORD
	s_and_b64 vcc, exec, s[34:35]
	s_cbranch_vccnz .LBB6_759
; %bb.754:
	v_cmp_gt_i16_sdwa s[34:35], s33, v2 src0_sel:BYTE_0 src1_sel:DWORD
	s_and_b64 vcc, exec, s[34:35]
	s_cbranch_vccz .LBB6_756
; %bb.755:
	v_trunc_f64_e32 v[2:3], v[0:1]
	s_movk_i32 s30, 0xffe0
	v_ldexp_f64 v[6:7], v[2:3], s30
	v_floor_f64_e32 v[6:7], v[6:7]
	v_fmac_f64_e32 v[2:3], 0xc1f00000, v[6:7]
	v_cvt_i32_f64_e32 v9, v[6:7]
	v_cvt_u32_f64_e32 v8, v[2:3]
	s_mov_b64 s[30:31], 0
	global_store_dwordx2 v[4:5], v[8:9], off
.LBB6_756:
	s_andn2_b64 vcc, exec, s[30:31]
	s_cbranch_vccnz .LBB6_758
; %bb.757:
	v_cvt_i32_f64_e32 v2, v[0:1]
	global_store_dword v[4:5], v2, off
.LBB6_758:
	s_mov_b64 s[30:31], 0
.LBB6_759:
	s_andn2_b64 vcc, exec, s[30:31]
	s_cbranch_vccnz .LBB6_761
; %bb.760:
	v_cvt_i32_f64_e32 v2, v[0:1]
	global_store_short v[4:5], v2, off
.LBB6_761:
	s_mov_b64 s[30:31], 0
.LBB6_762:
	s_andn2_b64 vcc, exec, s[30:31]
	s_cbranch_vccnz .LBB6_767
; %bb.763:
	v_mov_b32_e32 v2, 0
	v_cmp_gt_i16_sdwa s[34:35], s33, v2 src0_sel:BYTE_0 src1_sel:DWORD
	s_mov_b64 s[30:31], -1
	s_and_b64 vcc, exec, s[34:35]
	s_cbranch_vccz .LBB6_765
; %bb.764:
	v_cvt_i32_f64_e32 v2, v[0:1]
	s_mov_b64 s[30:31], 0
	global_store_byte v[4:5], v2, off
.LBB6_765:
	s_andn2_b64 vcc, exec, s[30:31]
	s_cbranch_vccnz .LBB6_767
; %bb.766:
	v_trunc_f64_e32 v[0:1], v[0:1]
	s_movk_i32 s30, 0xffe0
	v_ldexp_f64 v[2:3], v[0:1], s30
	v_floor_f64_e32 v[2:3], v[2:3]
	v_fmac_f64_e32 v[0:1], 0xc1f00000, v[2:3]
	v_cvt_u32_f64_e32 v0, v[0:1]
	global_store_byte v[4:5], v0, off
.LBB6_767:
	s_mov_b64 s[30:31], -1
.LBB6_768:
	s_andn2_b64 vcc, exec, s[30:31]
	s_cbranch_vccnz .LBB6_770
; %bb.769:
	v_add_u32_e32 v10, 0x80, v10
	s_mov_b64 s[34:35], -1
	s_branch .LBB6_771
.LBB6_770:
	s_mov_b64 s[34:35], 0
                                        ; implicit-def: $vgpr10
.LBB6_771:
	s_andn2_b64 s[30:31], s[22:23], exec
	s_and_b64 s[0:1], s[0:1], exec
	s_or_b64 s[30:31], s[30:31], s[0:1]
	s_andn2_b64 s[0:1], s[20:21], exec
	s_and_b64 s[28:29], s[28:29], exec
	s_or_b64 s[0:1], s[0:1], s[28:29]
	s_orn2_b64 s[36:37], s[34:35], exec
.LBB6_772:
	s_or_b64 exec, exec, s[26:27]
	s_mov_b64 s[34:35], 0
	s_mov_b64 s[28:29], 0
	;; [unrolled: 1-line block ×3, first 2 shown]
                                        ; implicit-def: $vgpr0_vgpr1
                                        ; implicit-def: $vgpr2_vgpr3
	s_and_saveexec_b64 s[26:27], s[36:37]
	s_cbranch_execz .LBB6_857
; %bb.773:
	v_cmp_gt_i32_e32 vcc, s40, v10
	s_mov_b64 s[36:37], 0
	s_mov_b64 s[40:41], s[0:1]
	;; [unrolled: 1-line block ×3, first 2 shown]
                                        ; implicit-def: $vgpr0_vgpr1
                                        ; implicit-def: $vgpr2_vgpr3
	s_and_saveexec_b64 s[28:29], vcc
	s_cbranch_execz .LBB6_856
; %bb.774:
	v_mul_lo_u32 v0, v10, s13
	v_ashrrev_i32_e32 v1, 31, v0
	s_waitcnt vmcnt(0)
	v_mov_b32_e32 v2, s11
	v_add_co_u32_e32 v0, vcc, s10, v0
	v_addc_co_u32_e32 v1, vcc, v2, v1, vcc
	v_cmp_gt_i16_e32 vcc, 11, v11
	s_cbranch_vccnz .LBB6_781
; %bb.775:
	v_cmp_lt_i16_e32 vcc, 25, v11
	s_cbranch_vccz .LBB6_782
; %bb.776:
	v_cmp_lt_i16_e32 vcc, 28, v11
	s_cbranch_vccz .LBB6_783
; %bb.777:
	v_cmp_lt_i16_e32 vcc, 43, v11
	s_cbranch_vccz .LBB6_784
; %bb.778:
	v_cmp_lt_i16_e32 vcc, 45, v11
	s_cbranch_vccz .LBB6_787
; %bb.779:
	v_cmp_eq_u16_e32 vcc, 46, v11
	s_mov_b64 s[40:41], 0
	s_cbranch_vccz .LBB6_790
; %bb.780:
	global_load_dword v2, v[0:1], off
	s_mov_b64 s[38:39], -1
	s_waitcnt vmcnt(0)
	v_lshlrev_b32_e32 v2, 16, v2
	v_cvt_f64_f32_e32 v[2:3], v2
	s_branch .LBB6_792
.LBB6_781:
	s_mov_b64 s[40:41], -1
                                        ; implicit-def: $vgpr2_vgpr3
	s_mov_b64 s[34:35], s[0:1]
	s_branch .LBB6_855
.LBB6_782:
	s_mov_b64 s[40:41], -1
	s_mov_b64 s[34:35], s[0:1]
                                        ; implicit-def: $vgpr2_vgpr3
	s_branch .LBB6_821
.LBB6_783:
	s_mov_b64 s[40:41], -1
	s_mov_b64 s[34:35], s[0:1]
                                        ; implicit-def: $vgpr2_vgpr3
	s_branch .LBB6_802
.LBB6_784:
	s_mov_b64 s[40:41], -1
	s_mov_b64 s[34:35], s[0:1]
                                        ; implicit-def: $vgpr2_vgpr3
	s_branch .LBB6_797
.LBB6_785:
	s_or_saveexec_b64 s[36:37], s[36:37]
                                        ; implicit-def: $sgpr38
	s_xor_b64 exec, exec, s[36:37]
	s_cbranch_execz .LBB6_681
.LBB6_786:
	s_mov_b32 s38, 0x46000000
	v_add_f32_e64 v3, |v2|, s38
	v_and_b32_e32 v3, 0xff, v3
	v_cmp_ne_u32_e32 vcc, 0, v3
	s_andn2_b64 s[34:35], s[34:35], exec
	s_and_b64 s[42:43], vcc, exec
	s_mov_b32 s38, 0
	s_or_b64 s[34:35], s[34:35], s[42:43]
	s_or_b64 exec, exec, s[36:37]
	v_mov_b32_e32 v6, s38
	s_and_saveexec_b64 s[36:37], s[34:35]
	s_cbranch_execnz .LBB6_682
	s_branch .LBB6_683
.LBB6_787:
	s_mov_b64 s[40:41], -1
	s_mov_b64 s[34:35], s[0:1]
	s_branch .LBB6_791
.LBB6_788:
	s_or_saveexec_b64 s[36:37], s[36:37]
                                        ; implicit-def: $sgpr38
	s_xor_b64 exec, exec, s[36:37]
	s_cbranch_execz .LBB6_694
.LBB6_789:
	s_mov_b32 s38, 0x42800000
	v_add_f32_e64 v3, |v2|, s38
	v_and_b32_e32 v3, 0xff, v3
	v_cmp_ne_u32_e32 vcc, 0, v3
	s_andn2_b64 s[34:35], s[34:35], exec
	s_and_b64 s[42:43], vcc, exec
	s_mov_b32 s38, 0
	s_or_b64 s[34:35], s[34:35], s[42:43]
	s_or_b64 exec, exec, s[36:37]
	v_mov_b32_e32 v6, s38
	s_and_saveexec_b64 s[36:37], s[34:35]
	s_cbranch_execnz .LBB6_695
	s_branch .LBB6_696
.LBB6_790:
	s_mov_b64 s[34:35], -1
.LBB6_791:
                                        ; implicit-def: $vgpr2_vgpr3
.LBB6_792:
	s_and_b64 vcc, exec, s[40:41]
	s_cbranch_vccz .LBB6_796
; %bb.793:
	v_cmp_eq_u16_e32 vcc, 44, v11
	s_cbranch_vccz .LBB6_795
; %bb.794:
	global_load_ubyte v4, v[0:1], off
	s_movk_i32 s38, 0xff
	v_bfrev_b32_e32 v5, 4
	v_mov_b32_e32 v6, 0x7ff80000
	v_bfrev_b32_e32 v7, 28
	s_mov_b64 s[34:35], 0
	s_waitcnt vmcnt(0)
	v_lshlrev_b32_e32 v2, 23, v4
	v_cvt_f64_f32_e32 v[2:3], v2
	v_cmp_ne_u32_e32 vcc, s38, v4
	v_cndmask_b32_e32 v2, v5, v2, vcc
	v_cndmask_b32_e32 v3, v6, v3, vcc
	v_cmp_ne_u32_e32 vcc, 0, v4
	v_cndmask_b32_e32 v3, v7, v3, vcc
	v_cndmask_b32_e32 v2, 0, v2, vcc
	s_mov_b64 s[38:39], -1
	s_branch .LBB6_796
.LBB6_795:
	s_mov_b64 s[34:35], -1
                                        ; implicit-def: $vgpr2_vgpr3
.LBB6_796:
	s_mov_b64 s[40:41], 0
.LBB6_797:
	s_and_b64 vcc, exec, s[40:41]
	s_cbranch_vccz .LBB6_801
; %bb.798:
	v_cmp_eq_u16_e32 vcc, 29, v11
	s_cbranch_vccz .LBB6_800
; %bb.799:
	global_load_dwordx2 v[2:3], v[0:1], off
	s_mov_b64 s[34:35], 0
	s_mov_b64 s[38:39], -1
	s_mov_b64 s[40:41], 0
	s_waitcnt vmcnt(0)
	v_cvt_f64_u32_e32 v[4:5], v3
	v_cvt_f64_u32_e32 v[2:3], v2
	v_ldexp_f64 v[4:5], v[4:5], 32
	v_add_f64 v[2:3], v[4:5], v[2:3]
	s_branch .LBB6_802
.LBB6_800:
	s_mov_b64 s[34:35], -1
                                        ; implicit-def: $vgpr2_vgpr3
.LBB6_801:
	s_mov_b64 s[40:41], 0
.LBB6_802:
	s_and_b64 vcc, exec, s[40:41]
	s_cbranch_vccz .LBB6_820
; %bb.803:
	v_cmp_gt_i16_e32 vcc, 27, v11
	s_cbranch_vccnz .LBB6_806
; %bb.804:
	v_cmp_lt_i16_e32 vcc, 27, v11
	s_cbranch_vccz .LBB6_807
; %bb.805:
	global_load_dword v2, v[0:1], off
	s_mov_b64 s[38:39], 0
	s_waitcnt vmcnt(0)
	v_cvt_f64_u32_e32 v[2:3], v2
	s_branch .LBB6_808
.LBB6_806:
	s_mov_b64 s[38:39], -1
                                        ; implicit-def: $vgpr2_vgpr3
	s_branch .LBB6_811
.LBB6_807:
	s_mov_b64 s[38:39], -1
                                        ; implicit-def: $vgpr2_vgpr3
.LBB6_808:
	s_andn2_b64 vcc, exec, s[38:39]
	s_cbranch_vccnz .LBB6_810
; %bb.809:
	global_load_ushort v2, v[0:1], off
	s_waitcnt vmcnt(0)
	v_cvt_f64_u32_e32 v[2:3], v2
.LBB6_810:
	s_mov_b64 s[38:39], 0
.LBB6_811:
	s_andn2_b64 vcc, exec, s[38:39]
	s_cbranch_vccnz .LBB6_819
; %bb.812:
	global_load_ubyte v4, v[0:1], off
	s_movk_i32 s38, 0x7f
                                        ; implicit-def: $sgpr40_sgpr41
	s_waitcnt vmcnt(0)
	v_cmp_lt_i16_e32 vcc, s38, v4
	s_mov_b64 s[38:39], 0
	s_and_saveexec_b64 s[42:43], vcc
	s_xor_b64 s[42:43], exec, s[42:43]
	s_cbranch_execz .LBB6_833
; %bb.813:
	s_movk_i32 s38, 0x80
	v_cmp_eq_u16_e32 vcc, s38, v4
	s_mov_b64 s[44:45], -1
                                        ; implicit-def: $sgpr40_sgpr41
	s_and_saveexec_b64 s[38:39], vcc
; %bb.814:
	s_mov_b32 s41, 0x7ff80000
	s_brev_b32 s40, 4
	s_xor_b64 s[44:45], exec, -1
; %bb.815:
	s_or_b64 exec, exec, s[38:39]
	s_and_b64 s[38:39], s[44:45], exec
	s_or_saveexec_b64 s[42:43], s[42:43]
	v_pk_mov_b32 v[2:3], s[40:41], s[40:41] op_sel:[0,1]
	s_xor_b64 exec, exec, s[42:43]
	s_cbranch_execnz .LBB6_834
.LBB6_816:
	s_or_b64 exec, exec, s[42:43]
	s_and_saveexec_b64 s[40:41], s[38:39]
	s_cbranch_execz .LBB6_818
.LBB6_817:
	v_and_b32_e32 v3, 0xffff, v4
	v_lshlrev_b32_e32 v2, 24, v4
	v_and_b32_e32 v4, 7, v3
	v_ffbh_u32_e32 v6, v4
	v_min_u32_e32 v6, 32, v6
	v_subrev_u32_e32 v7, 28, v6
	v_bfe_u32 v5, v3, 3, 4
	v_lshlrev_b32_e32 v3, v7, v3
	v_sub_u32_e32 v6, 29, v6
	v_and_b32_e32 v3, 7, v3
	v_cmp_eq_u32_e32 vcc, 0, v5
	v_cndmask_b32_e32 v5, v5, v6, vcc
	v_cndmask_b32_e32 v3, v4, v3, vcc
	v_mov_b32_e32 v4, 0x3b800000
	v_lshlrev_b32_e32 v3, 20, v3
	v_and_b32_e32 v2, 0x80000000, v2
	v_lshl_add_u32 v4, v5, 23, v4
	v_or3_b32 v2, v2, v4, v3
	v_cvt_f64_f32_e32 v[2:3], v2
.LBB6_818:
	s_or_b64 exec, exec, s[40:41]
.LBB6_819:
	s_mov_b64 s[38:39], -1
.LBB6_820:
	s_mov_b64 s[40:41], 0
.LBB6_821:
	s_and_b64 vcc, exec, s[40:41]
	s_cbranch_vccz .LBB6_854
; %bb.822:
	v_cmp_lt_i16_e32 vcc, 22, v11
	s_cbranch_vccz .LBB6_832
; %bb.823:
	v_cmp_gt_i16_e32 vcc, 24, v11
	s_cbranch_vccnz .LBB6_835
; %bb.824:
	v_cmp_lt_i16_e32 vcc, 24, v11
	s_cbranch_vccz .LBB6_836
; %bb.825:
	global_load_ubyte v4, v[0:1], off
	s_movk_i32 s36, 0x7f
                                        ; implicit-def: $sgpr38_sgpr39
	s_waitcnt vmcnt(0)
	v_cmp_lt_i16_e32 vcc, s36, v4
	s_mov_b64 s[36:37], 0
	s_and_saveexec_b64 s[40:41], vcc
	s_xor_b64 s[40:41], exec, s[40:41]
	s_cbranch_execz .LBB6_848
; %bb.826:
	s_movk_i32 s36, 0x80
	v_cmp_eq_u16_e32 vcc, s36, v4
	s_mov_b64 s[42:43], -1
                                        ; implicit-def: $sgpr38_sgpr39
	s_and_saveexec_b64 s[36:37], vcc
; %bb.827:
	s_mov_b32 s39, 0x7ff80000
	s_brev_b32 s38, 4
	s_xor_b64 s[42:43], exec, -1
; %bb.828:
	s_or_b64 exec, exec, s[36:37]
	s_and_b64 s[36:37], s[42:43], exec
	s_or_saveexec_b64 s[40:41], s[40:41]
	v_pk_mov_b32 v[2:3], s[38:39], s[38:39] op_sel:[0,1]
	s_xor_b64 exec, exec, s[40:41]
	s_cbranch_execnz .LBB6_849
.LBB6_829:
	s_or_b64 exec, exec, s[40:41]
	s_and_saveexec_b64 s[38:39], s[36:37]
	s_cbranch_execz .LBB6_831
.LBB6_830:
	v_and_b32_e32 v3, 0xffff, v4
	v_lshlrev_b32_e32 v2, 24, v4
	v_and_b32_e32 v4, 3, v3
	v_ffbh_u32_e32 v6, v4
	v_min_u32_e32 v6, 32, v6
	v_subrev_u32_e32 v7, 29, v6
	v_bfe_u32 v5, v3, 2, 5
	v_lshlrev_b32_e32 v3, v7, v3
	v_sub_u32_e32 v6, 30, v6
	v_and_b32_e32 v3, 3, v3
	v_cmp_eq_u32_e32 vcc, 0, v5
	v_cndmask_b32_e32 v5, v5, v6, vcc
	v_cndmask_b32_e32 v3, v4, v3, vcc
	v_mov_b32_e32 v4, 0x37800000
	v_lshlrev_b32_e32 v3, 21, v3
	v_and_b32_e32 v2, 0x80000000, v2
	v_lshl_add_u32 v4, v5, 23, v4
	v_or3_b32 v2, v2, v4, v3
	v_cvt_f64_f32_e32 v[2:3], v2
.LBB6_831:
	s_or_b64 exec, exec, s[38:39]
	s_mov_b64 s[36:37], 0
	s_branch .LBB6_837
.LBB6_832:
	s_mov_b64 s[36:37], -1
                                        ; implicit-def: $vgpr2_vgpr3
	s_branch .LBB6_843
.LBB6_833:
	s_or_saveexec_b64 s[42:43], s[42:43]
	v_pk_mov_b32 v[2:3], s[40:41], s[40:41] op_sel:[0,1]
	s_xor_b64 exec, exec, s[42:43]
	s_cbranch_execz .LBB6_816
.LBB6_834:
	v_cmp_ne_u16_e32 vcc, 0, v4
	s_andn2_b64 s[38:39], s[38:39], exec
	s_and_b64 s[40:41], vcc, exec
	v_pk_mov_b32 v[2:3], 0, 0
	s_or_b64 s[38:39], s[38:39], s[40:41]
	s_or_b64 exec, exec, s[42:43]
	s_and_saveexec_b64 s[40:41], s[38:39]
	s_cbranch_execnz .LBB6_817
	s_branch .LBB6_818
.LBB6_835:
	s_mov_b64 s[36:37], -1
                                        ; implicit-def: $vgpr2_vgpr3
	s_branch .LBB6_840
.LBB6_836:
	s_mov_b64 s[36:37], -1
                                        ; implicit-def: $vgpr2_vgpr3
.LBB6_837:
	s_and_b64 vcc, exec, s[36:37]
	s_cbranch_vccz .LBB6_839
; %bb.838:
	global_load_ubyte v2, v[0:1], off
	s_mov_b32 s36, 0x7f800000
	s_waitcnt vmcnt(0)
	v_lshlrev_b32_e32 v2, 24, v2
	v_and_b32_e32 v3, 0x7f000000, v2
	v_ffbh_u32_e32 v4, v3
	v_min_u32_e32 v4, 32, v4
	v_sub_u32_e64 v4, v4, 4 clamp
	v_lshlrev_b32_e32 v6, v4, v3
	v_lshlrev_b32_e32 v4, 23, v4
	v_lshrrev_b32_e32 v6, 4, v6
	v_add_u32_e32 v5, 0x1000000, v3
	v_sub_u32_e32 v4, v6, v4
	v_ashrrev_i32_e32 v5, 8, v5
	v_add_u32_e32 v4, 0x3c000000, v4
	v_and_or_b32 v4, v5, s36, v4
	v_cmp_ne_u32_e32 vcc, 0, v3
	v_cndmask_b32_e32 v3, 0, v4, vcc
	s_brev_b32 s36, 1
	v_and_or_b32 v2, v2, s36, v3
	v_cvt_f64_f32_e32 v[2:3], v2
.LBB6_839:
	s_mov_b64 s[36:37], 0
.LBB6_840:
	s_andn2_b64 vcc, exec, s[36:37]
	s_cbranch_vccnz .LBB6_842
; %bb.841:
	global_load_ubyte v2, v[0:1], off
	s_movk_i32 s36, 0x7f00
	s_brev_b32 s37, 16
	s_waitcnt vmcnt(0)
	v_lshlrev_b16_e32 v3, 8, v2
	v_lshlrev_b32_e32 v2, 25, v2
	v_lshrrev_b32_e32 v4, 4, v2
	v_and_or_b32 v5, v3, s36, 0.5
	v_or_b32_e32 v4, 0x70000000, v4
	v_add_f32_e32 v5, -0.5, v5
	v_mul_f32_e32 v4, 0x7800000, v4
	v_cmp_gt_u32_e32 vcc, s37, v2
	v_bfe_i32 v3, v3, 0, 16
	v_cndmask_b32_e32 v2, v4, v5, vcc
	s_brev_b32 s36, 1
	v_and_or_b32 v2, v3, s36, v2
	v_cvt_f64_f32_e32 v[2:3], v2
.LBB6_842:
	s_mov_b64 s[36:37], 0
	s_mov_b64 s[38:39], -1
.LBB6_843:
	s_andn2_b64 vcc, exec, s[36:37]
	s_mov_b64 s[36:37], 0
	s_cbranch_vccnz .LBB6_854
; %bb.844:
	v_cmp_lt_i16_e32 vcc, 14, v11
	s_cbranch_vccz .LBB6_847
; %bb.845:
	v_cmp_eq_u16_e32 vcc, 15, v11
	s_cbranch_vccz .LBB6_850
; %bb.846:
	global_load_ushort v2, v[0:1], off
	s_mov_b64 s[34:35], 0
	s_mov_b64 s[38:39], -1
	s_waitcnt vmcnt(0)
	v_lshlrev_b32_e32 v2, 16, v2
	v_cvt_f64_f32_e32 v[2:3], v2
	s_branch .LBB6_851
.LBB6_847:
	s_mov_b64 s[40:41], -1
                                        ; implicit-def: $vgpr2_vgpr3
	s_branch .LBB6_852
.LBB6_848:
	s_or_saveexec_b64 s[40:41], s[40:41]
	v_pk_mov_b32 v[2:3], s[38:39], s[38:39] op_sel:[0,1]
	s_xor_b64 exec, exec, s[40:41]
	s_cbranch_execz .LBB6_829
.LBB6_849:
	v_cmp_ne_u16_e32 vcc, 0, v4
	s_andn2_b64 s[36:37], s[36:37], exec
	s_and_b64 s[38:39], vcc, exec
	v_pk_mov_b32 v[2:3], 0, 0
	s_or_b64 s[36:37], s[36:37], s[38:39]
	s_or_b64 exec, exec, s[40:41]
	s_and_saveexec_b64 s[38:39], s[36:37]
	s_cbranch_execnz .LBB6_830
	s_branch .LBB6_831
.LBB6_850:
	s_mov_b64 s[34:35], -1
                                        ; implicit-def: $vgpr2_vgpr3
.LBB6_851:
	s_mov_b64 s[40:41], 0
.LBB6_852:
	s_and_b64 vcc, exec, s[40:41]
	s_cbranch_vccz .LBB6_854
; %bb.853:
	v_cmp_ne_u16_e32 vcc, 11, v11
	s_andn2_b64 s[34:35], s[34:35], exec
	s_and_b64 s[40:41], vcc, exec
	s_mov_b64 s[36:37], -1
	s_or_b64 s[34:35], s[34:35], s[40:41]
                                        ; implicit-def: $vgpr2_vgpr3
.LBB6_854:
	s_mov_b64 s[40:41], 0
.LBB6_855:
	s_and_b64 s[42:43], s[40:41], exec
	s_andn2_b64 s[40:41], s[0:1], exec
	s_and_b64 s[34:35], s[34:35], exec
	s_and_b64 s[38:39], s[38:39], exec
	;; [unrolled: 1-line block ×3, first 2 shown]
	s_or_b64 s[40:41], s[40:41], s[34:35]
.LBB6_856:
	s_or_b64 exec, exec, s[28:29]
	s_and_b64 s[34:35], s[36:37], exec
	s_andn2_b64 s[0:1], s[0:1], exec
	s_and_b64 s[36:37], s[40:41], exec
	s_and_b64 s[38:39], s[38:39], exec
	;; [unrolled: 1-line block ×3, first 2 shown]
	s_or_b64 s[0:1], s[0:1], s[36:37]
.LBB6_857:
	s_or_b64 exec, exec, s[26:27]
	s_andn2_b64 s[22:23], s[22:23], exec
	s_and_b64 s[26:27], s[30:31], exec
	s_andn2_b64 s[20:21], s[20:21], exec
	s_and_b64 s[0:1], s[0:1], exec
	s_or_b64 s[22:23], s[22:23], s[26:27]
	s_and_b64 s[30:31], s[38:39], exec
	s_and_b64 s[28:29], s[28:29], exec
	s_and_b64 s[26:27], s[34:35], exec
	s_or_b64 s[20:21], s[20:21], s[0:1]
.LBB6_858:
	s_or_b64 exec, exec, s[24:25]
	s_andn2_b64 s[0:1], s[6:7], exec
	s_and_b64 s[6:7], s[22:23], exec
	s_andn2_b64 s[16:17], s[16:17], exec
	s_and_b64 s[20:21], s[20:21], exec
	s_or_b64 s[6:7], s[0:1], s[6:7]
	s_and_b64 s[0:1], s[30:31], exec
	s_and_b64 s[24:25], s[28:29], exec
	;; [unrolled: 1-line block ×3, first 2 shown]
	s_or_b64 s[16:17], s[16:17], s[20:21]
	s_or_b64 exec, exec, s[18:19]
	s_mov_b64 s[18:19], 0
	s_and_saveexec_b64 s[20:21], s[16:17]
	s_cbranch_execz .LBB6_262
.LBB6_859:
	s_mov_b64 s[18:19], exec
	s_andn2_b64 s[22:23], s[22:23], exec
	s_trap 2
                                        ; implicit-def: $vgpr2_vgpr3
	s_or_b64 exec, exec, s[20:21]
	s_and_saveexec_b64 s[16:17], s[22:23]
	s_xor_b64 s[16:17], exec, s[16:17]
	s_cbranch_execnz .LBB6_263
.LBB6_860:
	s_or_b64 exec, exec, s[16:17]
	s_and_saveexec_b64 s[16:17], s[24:25]
	s_cbranch_execz .LBB6_906
.LBB6_861:
	v_cmp_gt_i16_e32 vcc, 5, v11
	s_cbranch_vccnz .LBB6_866
; %bb.862:
	v_cmp_gt_i16_e32 vcc, 8, v11
	s_cbranch_vccnz .LBB6_867
; %bb.863:
	;; [unrolled: 3-line block ×3, first 2 shown]
	v_cmp_lt_i16_e32 vcc, 9, v11
	s_cbranch_vccz .LBB6_869
; %bb.865:
	global_load_dwordx2 v[2:3], v[0:1], off
	s_mov_b64 s[20:21], 0
	s_branch .LBB6_870
.LBB6_866:
                                        ; implicit-def: $vgpr2_vgpr3
	s_branch .LBB6_887
.LBB6_867:
                                        ; implicit-def: $vgpr2_vgpr3
	s_branch .LBB6_876
.LBB6_868:
	s_mov_b64 s[20:21], -1
                                        ; implicit-def: $vgpr2_vgpr3
	s_branch .LBB6_873
.LBB6_869:
	s_mov_b64 s[20:21], -1
                                        ; implicit-def: $vgpr2_vgpr3
.LBB6_870:
	s_andn2_b64 vcc, exec, s[20:21]
	s_cbranch_vccnz .LBB6_872
; %bb.871:
	global_load_dword v2, v[0:1], off
	s_waitcnt vmcnt(0)
	v_cvt_f64_f32_e32 v[2:3], v2
.LBB6_872:
	s_mov_b64 s[20:21], 0
.LBB6_873:
	s_andn2_b64 vcc, exec, s[20:21]
	s_cbranch_vccnz .LBB6_875
; %bb.874:
	global_load_dword v2, v[0:1], off
	s_waitcnt vmcnt(0)
	v_cvt_f32_f16_e32 v2, v2
	v_cvt_f64_f32_e32 v[2:3], v2
.LBB6_875:
	s_cbranch_execnz .LBB6_886
.LBB6_876:
	v_cmp_gt_i16_e32 vcc, 6, v11
	s_cbranch_vccnz .LBB6_879
; %bb.877:
	v_cmp_lt_i16_e32 vcc, 6, v11
	s_cbranch_vccz .LBB6_880
; %bb.878:
	global_load_dwordx2 v[2:3], v[0:1], off
	s_mov_b64 s[20:21], 0
	s_branch .LBB6_881
.LBB6_879:
	s_mov_b64 s[20:21], -1
                                        ; implicit-def: $vgpr2_vgpr3
	s_branch .LBB6_884
.LBB6_880:
	s_mov_b64 s[20:21], -1
                                        ; implicit-def: $vgpr2_vgpr3
.LBB6_881:
	s_andn2_b64 vcc, exec, s[20:21]
	s_cbranch_vccnz .LBB6_883
; %bb.882:
	global_load_dword v2, v[0:1], off
	s_waitcnt vmcnt(0)
	v_cvt_f64_f32_e32 v[2:3], v2
.LBB6_883:
	s_mov_b64 s[20:21], 0
.LBB6_884:
	s_andn2_b64 vcc, exec, s[20:21]
	s_cbranch_vccnz .LBB6_886
; %bb.885:
	global_load_ushort v2, v[0:1], off
	s_waitcnt vmcnt(0)
	v_cvt_f32_f16_e32 v2, v2
	v_cvt_f64_f32_e32 v[2:3], v2
.LBB6_886:
	s_cbranch_execnz .LBB6_905
.LBB6_887:
	v_cmp_gt_i16_e32 vcc, 2, v11
	s_cbranch_vccnz .LBB6_891
; %bb.888:
	v_cmp_gt_i16_e32 vcc, 3, v11
	s_cbranch_vccnz .LBB6_892
; %bb.889:
	v_cmp_lt_i16_e32 vcc, 3, v11
	s_cbranch_vccz .LBB6_893
; %bb.890:
	global_load_dwordx2 v[2:3], v[0:1], off
	s_mov_b64 s[20:21], 0
	s_waitcnt vmcnt(0)
	v_cvt_f64_i32_e32 v[4:5], v3
	v_cvt_f64_u32_e32 v[2:3], v2
	v_ldexp_f64 v[4:5], v[4:5], 32
	v_add_f64 v[2:3], v[4:5], v[2:3]
	s_branch .LBB6_894
.LBB6_891:
                                        ; implicit-def: $vgpr2_vgpr3
	s_branch .LBB6_900
.LBB6_892:
	s_mov_b64 s[20:21], -1
                                        ; implicit-def: $vgpr2_vgpr3
	s_branch .LBB6_897
.LBB6_893:
	s_mov_b64 s[20:21], -1
                                        ; implicit-def: $vgpr2_vgpr3
.LBB6_894:
	s_andn2_b64 vcc, exec, s[20:21]
	s_cbranch_vccnz .LBB6_896
; %bb.895:
	global_load_dword v2, v[0:1], off
	s_waitcnt vmcnt(0)
	v_cvt_f64_i32_e32 v[2:3], v2
.LBB6_896:
	s_mov_b64 s[20:21], 0
.LBB6_897:
	s_andn2_b64 vcc, exec, s[20:21]
	s_cbranch_vccnz .LBB6_899
; %bb.898:
	global_load_sshort v2, v[0:1], off
	s_waitcnt vmcnt(0)
	v_cvt_f64_i32_e32 v[2:3], v2
.LBB6_899:
	s_cbranch_execnz .LBB6_905
.LBB6_900:
	v_cmp_lt_i16_e32 vcc, 0, v11
	s_cbranch_vccz .LBB6_902
; %bb.901:
	global_load_sbyte v2, v[0:1], off
	s_mov_b64 s[20:21], 0
	s_waitcnt vmcnt(0)
	v_cvt_f64_i32_e32 v[2:3], v2
	s_branch .LBB6_903
.LBB6_902:
	s_mov_b64 s[20:21], -1
                                        ; implicit-def: $vgpr2_vgpr3
.LBB6_903:
	s_andn2_b64 vcc, exec, s[20:21]
	s_cbranch_vccnz .LBB6_905
; %bb.904:
	global_load_ubyte v0, v[0:1], off
	s_waitcnt vmcnt(0)
	v_cvt_f64_u32_e32 v[2:3], v0
.LBB6_905:
	s_or_b64 s[0:1], s[0:1], exec
.LBB6_906:
	s_or_b64 exec, exec, s[16:17]
	s_mov_b64 s[22:23], 0
	s_mov_b64 s[20:21], 0
                                        ; implicit-def: $vgpr6
                                        ; implicit-def: $vgpr4_vgpr5
                                        ; implicit-def: $vgpr0_vgpr1
	s_and_saveexec_b64 s[16:17], s[0:1]
	s_cbranch_execz .LBB6_981
; %bb.907:
	s_waitcnt vmcnt(0)
	v_cmp_nge_f64_e64 s[0:1], v[2:3], -s[14:15]
	v_cmp_nge_f64_e32 vcc, s[14:15], v[2:3]
	s_or_b64 vcc, s[0:1], vcc
	v_cndmask_b32_e32 v0, 0, v2, vcc
	v_mul_lo_u32 v2, v10, s12
	v_cndmask_b32_e32 v1, 0, v3, vcc
	v_ashrrev_i32_e32 v3, 31, v2
	v_mov_b32_e32 v5, s9
	v_add_co_u32_e32 v4, vcc, s8, v2
	v_mov_b32_e32 v2, 0xff
	v_addc_co_u32_e32 v5, vcc, v5, v3, vcc
	v_and_b32_e32 v6, s33, v2
	v_cmp_gt_i16_e32 vcc, 11, v6
	s_cbranch_vccnz .LBB6_984
; %bb.908:
	v_cmp_lt_i16_e32 vcc, 25, v6
	s_mov_b64 s[22:23], -1
	s_mov_b64 s[0:1], s[6:7]
	s_cbranch_vccz .LBB6_941
; %bb.909:
	v_cmp_lt_i16_e32 vcc, 28, v6
	s_mov_b64 s[20:21], -1
	s_mov_b64 s[0:1], s[6:7]
	s_cbranch_vccz .LBB6_925
; %bb.910:
	v_cmp_lt_i16_e32 vcc, 43, v6
	s_mov_b64 s[0:1], s[6:7]
	s_cbranch_vccz .LBB6_921
; %bb.911:
	v_cmp_lt_i16_e32 vcc, 45, v6
	s_mov_b64 s[0:1], s[6:7]
	s_cbranch_vccz .LBB6_915
; %bb.912:
	v_cmp_eq_u16_e32 vcc, 46, v6
	s_mov_b64 s[0:1], -1
	s_cbranch_vccz .LBB6_914
; %bb.913:
	v_cvt_f32_f64_e32 v2, v[0:1]
	v_bfe_u32 v3, v2, 16, 1
	s_movk_i32 s0, 0x7fff
	v_add3_u32 v3, v2, v3, s0
	v_lshrrev_b32_e32 v3, 16, v3
	v_mov_b32_e32 v7, 0x7fc0
	v_cmp_o_f32_e32 vcc, v2, v2
	v_cndmask_b32_e32 v2, v7, v3, vcc
	global_store_dword v[4:5], v2, off
	s_mov_b64 s[0:1], 0
.LBB6_914:
	s_mov_b64 s[20:21], 0
.LBB6_915:
	s_and_b64 vcc, exec, s[20:21]
	s_cbranch_vccz .LBB6_920
; %bb.916:
	v_cmp_eq_u16_e32 vcc, 44, v6
	s_mov_b64 s[0:1], -1
	s_cbranch_vccz .LBB6_920
; %bb.917:
	v_cvt_f32_f64_e32 v2, v[0:1]
	v_bfe_u32 v3, v2, 23, 8
	s_movk_i32 s0, 0xff
	v_cmp_ne_u32_e32 vcc, s0, v3
	v_mov_b32_e32 v7, 0xff
	s_and_saveexec_b64 s[20:21], vcc
; %bb.918:
	s_mov_b32 s0, 0x3fffff
	v_lshrrev_b32_e32 v7, 23, v2
	v_and_b32_e32 v8, 0x400000, v2
	v_and_or_b32 v2, v2, s0, v3
	v_cmp_ne_u32_e32 vcc, 0, v8
	v_cmp_ne_u32_e64 s[0:1], 0, v2
	s_and_b64 s[0:1], vcc, s[0:1]
	v_cndmask_b32_e64 v2, 0, 1, s[0:1]
	v_add_u32_e32 v7, v7, v2
; %bb.919:
	s_or_b64 exec, exec, s[20:21]
	s_mov_b64 s[0:1], 0
	global_store_byte v[4:5], v7, off
.LBB6_920:
	s_mov_b64 s[20:21], 0
.LBB6_921:
	s_and_b64 vcc, exec, s[20:21]
	s_cbranch_vccz .LBB6_924
; %bb.922:
	v_cmp_eq_u16_e32 vcc, 29, v6
	s_mov_b64 s[0:1], -1
	s_cbranch_vccz .LBB6_924
; %bb.923:
	v_trunc_f64_e32 v[2:3], v[0:1]
	s_movk_i32 s0, 0xffe0
	v_ldexp_f64 v[8:9], v[2:3], s0
	v_floor_f64_e32 v[8:9], v[8:9]
	v_fmac_f64_e32 v[2:3], 0xc1f00000, v[8:9]
	v_cvt_u32_f64_e32 v11, v[8:9]
	v_cvt_u32_f64_e32 v10, v[2:3]
	global_store_dwordx2 v[4:5], v[10:11], off
	s_mov_b64 s[0:1], 0
.LBB6_924:
	s_mov_b64 s[20:21], 0
.LBB6_925:
	s_and_b64 vcc, exec, s[20:21]
	s_cbranch_vccz .LBB6_940
; %bb.926:
	v_cmp_gt_i16_e32 vcc, 27, v6
	s_mov_b64 s[20:21], -1
	s_cbranch_vccnz .LBB6_932
; %bb.927:
	v_cmp_lt_i16_e32 vcc, 27, v6
	v_cvt_u32_f64_e32 v2, v[0:1]
	s_cbranch_vccz .LBB6_929
; %bb.928:
	s_mov_b64 s[20:21], 0
	global_store_dword v[4:5], v2, off
.LBB6_929:
	s_andn2_b64 vcc, exec, s[20:21]
	s_cbranch_vccnz .LBB6_931
; %bb.930:
	global_store_short v[4:5], v2, off
.LBB6_931:
	s_mov_b64 s[20:21], 0
.LBB6_932:
	s_andn2_b64 vcc, exec, s[20:21]
	s_cbranch_vccnz .LBB6_940
; %bb.933:
	v_cvt_f32_f64_e32 v2, v[0:1]
	v_and_b32_e32 v3, 0x7fffffff, v2
	s_mov_b32 s20, 0x43800000
	v_cmp_gt_u32_e32 vcc, s20, v3
	v_mov_b32_e32 v7, 0x80
	s_and_saveexec_b64 s[20:21], vcc
	s_cbranch_execz .LBB6_939
; %bb.934:
	s_mov_b32 s22, 0x3bffffff
	v_cmp_lt_u32_e32 vcc, s22, v3
	s_mov_b64 s[22:23], 0
                                        ; implicit-def: $vgpr3
	s_and_saveexec_b64 s[24:25], vcc
	s_xor_b64 s[24:25], exec, s[24:25]
	s_cbranch_execz .LBB6_1041
; %bb.935:
	v_bfe_u32 v3, v2, 20, 1
	s_mov_b32 s26, 0x487ffff
	v_add3_u32 v3, v2, v3, s26
	s_mov_b64 s[22:23], exec
	v_lshrrev_b32_e32 v3, 20, v3
	s_or_saveexec_b64 s[24:25], s[24:25]
                                        ; implicit-def: $sgpr26
	s_xor_b64 exec, exec, s[24:25]
	s_cbranch_execnz .LBB6_1042
.LBB6_936:
	s_or_b64 exec, exec, s[24:25]
	v_mov_b32_e32 v7, s26
	s_and_saveexec_b64 s[24:25], s[22:23]
.LBB6_937:
	v_lshrrev_b32_e32 v2, 24, v2
	s_movk_i32 s22, 0x80
	v_and_or_b32 v7, v2, s22, v3
.LBB6_938:
	s_or_b64 exec, exec, s[24:25]
.LBB6_939:
	s_or_b64 exec, exec, s[20:21]
	global_store_byte v[4:5], v7, off
.LBB6_940:
	s_mov_b64 s[22:23], 0
.LBB6_941:
	s_mov_b64 s[20:21], 0
	s_and_b64 vcc, exec, s[22:23]
	s_cbranch_vccz .LBB6_985
; %bb.942:
	v_cmp_lt_i16_e32 vcc, 22, v6
	s_mov_b64 s[22:23], -1
	s_cbranch_vccz .LBB6_974
; %bb.943:
	v_cmp_gt_i16_e32 vcc, 24, v6
	s_cbranch_vccnz .LBB6_963
; %bb.944:
	v_cmp_lt_i16_e32 vcc, 24, v6
	s_cbranch_vccz .LBB6_952
; %bb.945:
	v_cvt_f32_f64_e32 v2, v[0:1]
	v_and_b32_e32 v3, 0x7fffffff, v2
	s_mov_b32 s22, 0x47800000
	v_cmp_gt_u32_e32 vcc, s22, v3
	v_mov_b32_e32 v7, 0x80
	s_and_saveexec_b64 s[22:23], vcc
	s_cbranch_execz .LBB6_951
; %bb.946:
	s_mov_b32 s24, 0x37ffffff
	v_cmp_lt_u32_e32 vcc, s24, v3
	s_mov_b64 s[24:25], 0
                                        ; implicit-def: $vgpr3
	s_and_saveexec_b64 s[26:27], vcc
	s_xor_b64 s[26:27], exec, s[26:27]
	s_cbranch_execz .LBB6_1166
; %bb.947:
	v_bfe_u32 v3, v2, 21, 1
	s_mov_b32 s28, 0x88fffff
	v_add3_u32 v3, v2, v3, s28
	s_mov_b64 s[24:25], exec
	v_lshrrev_b32_e32 v3, 21, v3
	s_or_saveexec_b64 s[26:27], s[26:27]
                                        ; implicit-def: $sgpr28
	s_xor_b64 exec, exec, s[26:27]
	s_cbranch_execnz .LBB6_1167
.LBB6_948:
	s_or_b64 exec, exec, s[26:27]
	v_mov_b32_e32 v7, s28
	s_and_saveexec_b64 s[26:27], s[24:25]
.LBB6_949:
	v_lshrrev_b32_e32 v2, 24, v2
	s_movk_i32 s24, 0x80
	v_and_or_b32 v7, v2, s24, v3
.LBB6_950:
	s_or_b64 exec, exec, s[26:27]
.LBB6_951:
	s_or_b64 exec, exec, s[22:23]
	s_mov_b64 s[22:23], 0
	global_store_byte v[4:5], v7, off
.LBB6_952:
	s_and_b64 vcc, exec, s[22:23]
	s_cbranch_vccz .LBB6_962
; %bb.953:
	v_cvt_f32_f64_e32 v2, v[0:1]
	v_and_b32_e32 v7, 0x7fffffff, v2
	s_mov_b32 s22, 0x43f00000
	v_cmp_gt_u32_e32 vcc, s22, v7
                                        ; implicit-def: $vgpr3
	s_and_saveexec_b64 s[22:23], vcc
	s_xor_b64 s[22:23], exec, s[22:23]
	s_cbranch_execz .LBB6_959
; %bb.954:
	s_mov_b32 s24, 0x3c7fffff
	v_cmp_lt_u32_e32 vcc, s24, v7
                                        ; implicit-def: $vgpr3
	s_and_saveexec_b64 s[24:25], vcc
	s_xor_b64 s[24:25], exec, s[24:25]
; %bb.955:
	v_bfe_u32 v3, v2, 20, 1
	s_mov_b32 s26, 0x407ffff
	v_add3_u32 v3, v2, v3, s26
	v_lshrrev_b32_e32 v7, 20, v3
	v_and_b32_e32 v3, 0xff00000, v3
	s_mov_b32 s26, 0x7f00000
	v_mov_b32_e32 v8, 0x7e
	v_cmp_ne_u32_e32 vcc, s26, v3
	v_cndmask_b32_e32 v3, v8, v7, vcc
; %bb.956:
	s_andn2_saveexec_b64 s[24:25], s[24:25]
; %bb.957:
	s_mov_b32 s26, 0x46800000
	v_add_f32_e64 v3, |v2|, s26
; %bb.958:
	s_or_b64 exec, exec, s[24:25]
                                        ; implicit-def: $vgpr7
.LBB6_959:
	s_andn2_saveexec_b64 s[22:23], s[22:23]
; %bb.960:
	s_mov_b32 s24, 0x7f800000
	v_mov_b32_e32 v3, 0x7e
	v_mov_b32_e32 v8, 0x7f
	v_cmp_lt_u32_e32 vcc, s24, v7
	v_cndmask_b32_e32 v3, v3, v8, vcc
; %bb.961:
	s_or_b64 exec, exec, s[22:23]
	v_lshrrev_b32_e32 v2, 24, v2
	s_movk_i32 s22, 0x80
	v_and_or_b32 v2, v2, s22, v3
	global_store_byte v[4:5], v2, off
.LBB6_962:
	s_mov_b64 s[22:23], 0
.LBB6_963:
	s_andn2_b64 vcc, exec, s[22:23]
	s_cbranch_vccnz .LBB6_973
; %bb.964:
	v_cvt_f32_f64_e32 v2, v[0:1]
	v_and_b32_e32 v7, 0x7fffffff, v2
	s_mov_b32 s22, 0x47800000
	v_cmp_gt_u32_e32 vcc, s22, v7
                                        ; implicit-def: $vgpr3
	s_and_saveexec_b64 s[22:23], vcc
	s_xor_b64 s[22:23], exec, s[22:23]
	s_cbranch_execz .LBB6_970
; %bb.965:
	s_mov_b32 s24, 0x387fffff
	v_cmp_lt_u32_e32 vcc, s24, v7
                                        ; implicit-def: $vgpr3
	s_and_saveexec_b64 s[24:25], vcc
	s_xor_b64 s[24:25], exec, s[24:25]
; %bb.966:
	v_bfe_u32 v3, v2, 21, 1
	s_mov_b32 s26, 0x80fffff
	v_add3_u32 v3, v2, v3, s26
	v_lshrrev_b32_e32 v3, 21, v3
; %bb.967:
	s_andn2_saveexec_b64 s[24:25], s[24:25]
; %bb.968:
	s_mov_b32 s26, 0x43000000
	v_add_f32_e64 v3, |v2|, s26
; %bb.969:
	s_or_b64 exec, exec, s[24:25]
                                        ; implicit-def: $vgpr7
.LBB6_970:
	s_andn2_saveexec_b64 s[22:23], s[22:23]
; %bb.971:
	s_mov_b32 s24, 0x7f800000
	v_mov_b32_e32 v3, 0x7c
	v_mov_b32_e32 v8, 0x7f
	v_cmp_lt_u32_e32 vcc, s24, v7
	v_cndmask_b32_e32 v3, v3, v8, vcc
; %bb.972:
	s_or_b64 exec, exec, s[22:23]
	v_lshrrev_b32_e32 v2, 24, v2
	s_movk_i32 s22, 0x80
	v_and_or_b32 v2, v2, s22, v3
	global_store_byte v[4:5], v2, off
.LBB6_973:
	s_mov_b64 s[22:23], 0
.LBB6_974:
	s_andn2_b64 vcc, exec, s[22:23]
	s_mov_b64 s[22:23], 0
	s_cbranch_vccnz .LBB6_986
; %bb.975:
	v_cmp_lt_i16_e32 vcc, 14, v6
	s_mov_b64 s[24:25], -1
	s_cbranch_vccz .LBB6_979
; %bb.976:
	v_cmp_eq_u16_e32 vcc, 15, v6
	s_mov_b64 s[0:1], -1
	s_cbranch_vccz .LBB6_978
; %bb.977:
	v_cvt_f32_f64_e32 v2, v[0:1]
	v_bfe_u32 v3, v2, 16, 1
	s_movk_i32 s0, 0x7fff
	v_add3_u32 v3, v2, v3, s0
	v_lshrrev_b32_e32 v3, 16, v3
	v_mov_b32_e32 v7, 0x7fc0
	v_cmp_o_f32_e32 vcc, v2, v2
	v_cndmask_b32_e32 v2, v7, v3, vcc
	global_store_short v[4:5], v2, off
	s_mov_b64 s[0:1], 0
.LBB6_978:
	s_mov_b64 s[24:25], 0
.LBB6_979:
	s_and_b64 vcc, exec, s[24:25]
	s_cbranch_vccz .LBB6_986
; %bb.980:
	v_cmp_ne_u16_e32 vcc, 11, v6
	s_andn2_b64 s[0:1], s[0:1], exec
	s_and_b64 s[24:25], vcc, exec
	s_mov_b64 s[22:23], -1
	s_or_b64 s[0:1], s[0:1], s[24:25]
	s_branch .LBB6_986
.LBB6_981:
	s_or_b64 exec, exec, s[16:17]
	s_and_saveexec_b64 s[0:1], s[6:7]
	s_cbranch_execnz .LBB6_987
.LBB6_982:
	s_or_b64 exec, exec, s[0:1]
	s_and_saveexec_b64 s[0:1], s[22:23]
	s_xor_b64 s[0:1], exec, s[0:1]
	s_cbranch_execz .LBB6_988
.LBB6_983:
	v_cmp_neq_f64_e32 vcc, 0, v[0:1]
	s_waitcnt vmcnt(0)
	v_cndmask_b32_e64 v2, 0, 1, vcc
	global_store_byte v[4:5], v2, off
	s_or_b64 exec, exec, s[0:1]
	s_and_saveexec_b64 s[0:1], s[20:21]
	s_xor_b64 s[0:1], exec, s[0:1]
	s_cbranch_execz .LBB6_1026
	s_branch .LBB6_989
.LBB6_984:
	s_mov_b64 s[20:21], -1
	s_mov_b64 s[0:1], s[6:7]
	s_branch .LBB6_986
.LBB6_985:
	s_mov_b64 s[22:23], 0
.LBB6_986:
	s_andn2_b64 s[6:7], s[6:7], exec
	s_and_b64 s[0:1], s[0:1], exec
	s_and_b64 s[20:21], s[20:21], exec
	;; [unrolled: 1-line block ×3, first 2 shown]
	s_or_b64 s[6:7], s[6:7], s[0:1]
	s_or_b64 exec, exec, s[16:17]
	s_and_saveexec_b64 s[0:1], s[6:7]
	s_cbranch_execz .LBB6_982
.LBB6_987:
	s_or_b64 s[18:19], s[18:19], exec
	s_andn2_b64 s[22:23], s[22:23], exec
	s_trap 2
	s_or_b64 exec, exec, s[0:1]
	s_and_saveexec_b64 s[0:1], s[22:23]
	s_xor_b64 s[0:1], exec, s[0:1]
	s_cbranch_execnz .LBB6_983
.LBB6_988:
	s_or_b64 exec, exec, s[0:1]
	s_and_saveexec_b64 s[0:1], s[20:21]
	s_xor_b64 s[0:1], exec, s[0:1]
	s_cbranch_execz .LBB6_1026
.LBB6_989:
	v_cmp_gt_i16_e32 vcc, 5, v6
	s_mov_b64 s[6:7], -1
	s_cbranch_vccnz .LBB6_1010
; %bb.990:
	v_cmp_gt_i16_e32 vcc, 8, v6
	s_cbranch_vccnz .LBB6_1000
; %bb.991:
	v_cmp_gt_i16_e32 vcc, 9, v6
	s_cbranch_vccnz .LBB6_997
; %bb.992:
	v_cmp_lt_i16_e32 vcc, 9, v6
	s_cbranch_vccz .LBB6_994
; %bb.993:
	s_waitcnt vmcnt(0)
	v_mov_b32_e32 v2, 0
	v_mov_b32_e32 v3, v2
	s_mov_b64 s[6:7], 0
	global_store_dwordx4 v[4:5], v[0:3], off
.LBB6_994:
	s_andn2_b64 vcc, exec, s[6:7]
	s_cbranch_vccnz .LBB6_996
; %bb.995:
	s_waitcnt vmcnt(0)
	v_cvt_f32_f64_e32 v2, v[0:1]
	v_mov_b32_e32 v3, 0
	global_store_dwordx2 v[4:5], v[2:3], off
.LBB6_996:
	s_mov_b64 s[6:7], 0
.LBB6_997:
	s_andn2_b64 vcc, exec, s[6:7]
	s_cbranch_vccnz .LBB6_999
; %bb.998:
	s_waitcnt vmcnt(0)
	v_cvt_f32_f64_e32 v2, v[0:1]
	v_cvt_f16_f32_e32 v2, v2
	global_store_dword v[4:5], v2, off
.LBB6_999:
	s_mov_b64 s[6:7], 0
.LBB6_1000:
	s_andn2_b64 vcc, exec, s[6:7]
	s_cbranch_vccnz .LBB6_1009
; %bb.1001:
	v_cmp_gt_i16_e32 vcc, 6, v6
	s_mov_b64 s[6:7], -1
	s_cbranch_vccnz .LBB6_1007
; %bb.1002:
	v_cmp_lt_i16_e32 vcc, 6, v6
	s_cbranch_vccz .LBB6_1004
; %bb.1003:
	s_mov_b64 s[6:7], 0
	global_store_dwordx2 v[4:5], v[0:1], off
.LBB6_1004:
	s_andn2_b64 vcc, exec, s[6:7]
	s_cbranch_vccnz .LBB6_1006
; %bb.1005:
	s_waitcnt vmcnt(0)
	v_cvt_f32_f64_e32 v2, v[0:1]
	global_store_dword v[4:5], v2, off
.LBB6_1006:
	s_mov_b64 s[6:7], 0
.LBB6_1007:
	s_andn2_b64 vcc, exec, s[6:7]
	s_cbranch_vccnz .LBB6_1009
; %bb.1008:
	s_waitcnt vmcnt(0)
	v_cvt_f32_f64_e32 v2, v[0:1]
	v_cvt_f16_f32_e32 v2, v2
	global_store_short v[4:5], v2, off
.LBB6_1009:
	s_mov_b64 s[6:7], 0
.LBB6_1010:
	s_andn2_b64 vcc, exec, s[6:7]
	s_cbranch_vccnz .LBB6_1026
; %bb.1011:
	v_cmp_gt_i16_e32 vcc, 2, v6
	s_mov_b64 s[6:7], -1
	s_cbranch_vccnz .LBB6_1021
; %bb.1012:
	v_cmp_gt_i16_e32 vcc, 3, v6
	s_cbranch_vccnz .LBB6_1018
; %bb.1013:
	v_cmp_lt_i16_e32 vcc, 3, v6
	s_cbranch_vccz .LBB6_1015
; %bb.1014:
	s_waitcnt vmcnt(0)
	v_trunc_f64_e32 v[2:3], v[0:1]
	s_movk_i32 s6, 0xffe0
	v_ldexp_f64 v[8:9], v[2:3], s6
	v_floor_f64_e32 v[8:9], v[8:9]
	v_fmac_f64_e32 v[2:3], 0xc1f00000, v[8:9]
	v_cvt_i32_f64_e32 v11, v[8:9]
	v_cvt_u32_f64_e32 v10, v[2:3]
	s_mov_b64 s[6:7], 0
	global_store_dwordx2 v[4:5], v[10:11], off
.LBB6_1015:
	s_andn2_b64 vcc, exec, s[6:7]
	s_cbranch_vccnz .LBB6_1017
; %bb.1016:
	s_waitcnt vmcnt(0)
	v_cvt_i32_f64_e32 v2, v[0:1]
	global_store_dword v[4:5], v2, off
.LBB6_1017:
	s_mov_b64 s[6:7], 0
.LBB6_1018:
	s_andn2_b64 vcc, exec, s[6:7]
	s_cbranch_vccnz .LBB6_1020
; %bb.1019:
	s_waitcnt vmcnt(0)
	v_cvt_i32_f64_e32 v2, v[0:1]
	global_store_short v[4:5], v2, off
.LBB6_1020:
	s_mov_b64 s[6:7], 0
.LBB6_1021:
	s_andn2_b64 vcc, exec, s[6:7]
	s_cbranch_vccnz .LBB6_1026
; %bb.1022:
	v_cmp_lt_i16_e32 vcc, 0, v6
	s_mov_b64 s[6:7], -1
	s_cbranch_vccz .LBB6_1024
; %bb.1023:
	s_waitcnt vmcnt(0)
	v_cvt_i32_f64_e32 v2, v[0:1]
	s_mov_b64 s[6:7], 0
	global_store_byte v[4:5], v2, off
.LBB6_1024:
	s_andn2_b64 vcc, exec, s[6:7]
	s_cbranch_vccnz .LBB6_1026
; %bb.1025:
	v_trunc_f64_e32 v[0:1], v[0:1]
	s_movk_i32 s6, 0xffe0
	s_waitcnt vmcnt(0)
	v_ldexp_f64 v[2:3], v[0:1], s6
	v_floor_f64_e32 v[2:3], v[2:3]
	v_fmac_f64_e32 v[0:1], 0xc1f00000, v[2:3]
	v_cvt_u32_f64_e32 v0, v[0:1]
	global_store_byte v[4:5], v0, off
.LBB6_1026:
	s_or_b64 exec, exec, s[0:1]
	s_and_b64 s[6:7], s[18:19], exec
                                        ; implicit-def: $vgpr10
                                        ; implicit-def: $vgpr11
.LBB6_1027:
	s_or_saveexec_b64 s[4:5], s[4:5]
	s_mov_b64 s[0:1], 0
                                        ; implicit-def: $vgpr6
                                        ; implicit-def: $vgpr4_vgpr5
                                        ; implicit-def: $vgpr0_vgpr1
	s_xor_b64 exec, exec, s[4:5]
	s_cbranch_execz .LBB6_1995
; %bb.1028:
	v_mul_lo_u32 v4, s13, v10
	v_ashrrev_i32_e32 v0, 31, v4
	v_mov_b32_e32 v1, s11
	s_waitcnt vmcnt(0)
	v_add_co_u32_e32 v2, vcc, s10, v4
	v_addc_co_u32_e32 v3, vcc, v1, v0, vcc
	v_cmp_gt_i16_e64 s[0:1], 11, v11
	s_and_b64 vcc, exec, s[0:1]
	s_cbranch_vccnz .LBB6_1035
; %bb.1029:
	v_cmp_lt_i16_e32 vcc, 25, v11
	s_mov_b64 s[18:19], 0
	s_cbranch_vccz .LBB6_1037
; %bb.1030:
	v_cmp_lt_i16_e32 vcc, 28, v11
	s_cbranch_vccz .LBB6_1038
; %bb.1031:
	v_cmp_lt_i16_e32 vcc, 43, v11
	;; [unrolled: 3-line block ×3, first 2 shown]
	s_cbranch_vccz .LBB6_1040
; %bb.1033:
	v_cmp_eq_u16_e32 vcc, 46, v11
	s_mov_b64 s[16:17], 0
	s_cbranch_vccz .LBB6_1043
; %bb.1034:
	global_load_dword v0, v[2:3], off
	s_mov_b64 s[20:21], -1
	s_waitcnt vmcnt(0)
	v_lshlrev_b32_e32 v0, 16, v0
	v_cvt_f64_f32_e32 v[0:1], v0
	s_branch .LBB6_1044
.LBB6_1035:
	s_mov_b64 s[20:21], 0
                                        ; implicit-def: $vgpr0_vgpr1
	s_mov_b64 s[16:17], s[6:7]
	s_cbranch_execnz .LBB6_1107
.LBB6_1036:
	s_andn2_b64 vcc, exec, s[20:21]
                                        ; implicit-def: $vgpr2_vgpr3
	s_cbranch_vccz .LBB6_1152
	s_branch .LBB6_1993
.LBB6_1037:
	s_mov_b64 s[20:21], 0
                                        ; implicit-def: $vgpr0_vgpr1
	s_cbranch_execnz .LBB6_1072
	s_branch .LBB6_1103
.LBB6_1038:
	s_mov_b64 s[16:17], -1
	s_mov_b64 s[20:21], 0
                                        ; implicit-def: $vgpr0_vgpr1
	s_branch .LBB6_1053
.LBB6_1039:
	s_mov_b64 s[20:21], 0
                                        ; implicit-def: $vgpr0_vgpr1
	s_cbranch_execnz .LBB6_1049
	s_branch .LBB6_1052
.LBB6_1040:
	s_mov_b64 s[16:17], -1
	s_mov_b64 s[20:21], 0
                                        ; implicit-def: $vgpr0_vgpr1
	s_branch .LBB6_1044
.LBB6_1041:
	s_or_saveexec_b64 s[24:25], s[24:25]
                                        ; implicit-def: $sgpr26
	s_xor_b64 exec, exec, s[24:25]
	s_cbranch_execz .LBB6_936
.LBB6_1042:
	s_mov_b32 s26, 0x46000000
	v_add_f32_e64 v3, |v2|, s26
	v_and_b32_e32 v3, 0xff, v3
	v_cmp_ne_u32_e32 vcc, 0, v3
	s_andn2_b64 s[22:23], s[22:23], exec
	s_and_b64 s[28:29], vcc, exec
	s_mov_b32 s26, 0
	s_or_b64 s[22:23], s[22:23], s[28:29]
	s_or_b64 exec, exec, s[24:25]
	v_mov_b32_e32 v7, s26
	s_and_saveexec_b64 s[24:25], s[22:23]
	s_cbranch_execnz .LBB6_937
	s_branch .LBB6_938
.LBB6_1043:
	s_mov_b64 s[2:3], -1
                                        ; implicit-def: $vgpr0_vgpr1
	s_mov_b64 s[20:21], 0
.LBB6_1044:
	s_and_b64 vcc, exec, s[16:17]
	s_cbranch_vccz .LBB6_1047
; %bb.1045:
	v_cmp_eq_u16_e32 vcc, 44, v11
	s_cbranch_vccz .LBB6_1048
; %bb.1046:
	global_load_ubyte v5, v[2:3], off
	s_movk_i32 s16, 0xff
	v_bfrev_b32_e32 v6, 4
	v_mov_b32_e32 v7, 0x7ff80000
	v_bfrev_b32_e32 v8, 28
	s_mov_b64 s[2:3], 0
	s_mov_b64 s[20:21], -1
	s_waitcnt vmcnt(0)
	v_lshlrev_b32_e32 v0, 23, v5
	v_cvt_f64_f32_e32 v[0:1], v0
	v_cmp_ne_u32_e32 vcc, s16, v5
	v_cndmask_b32_e32 v0, v6, v0, vcc
	v_cndmask_b32_e32 v1, v7, v1, vcc
	v_cmp_ne_u32_e32 vcc, 0, v5
	v_cndmask_b32_e32 v1, v8, v1, vcc
	v_cndmask_b32_e32 v0, 0, v0, vcc
.LBB6_1047:
	s_branch .LBB6_1052
.LBB6_1048:
	s_mov_b64 s[2:3], -1
                                        ; implicit-def: $vgpr0_vgpr1
	s_branch .LBB6_1052
.LBB6_1049:
	v_cmp_eq_u16_e32 vcc, 29, v11
	s_cbranch_vccz .LBB6_1051
; %bb.1050:
	global_load_dwordx2 v[0:1], v[2:3], off
	s_mov_b64 s[2:3], 0
	s_mov_b64 s[20:21], -1
	s_mov_b64 s[16:17], 0
	s_waitcnt vmcnt(0)
	v_cvt_f64_u32_e32 v[6:7], v1
	v_cvt_f64_u32_e32 v[0:1], v0
	v_ldexp_f64 v[6:7], v[6:7], 32
	v_add_f64 v[0:1], v[6:7], v[0:1]
	s_branch .LBB6_1053
.LBB6_1051:
	s_mov_b64 s[2:3], -1
                                        ; implicit-def: $vgpr0_vgpr1
.LBB6_1052:
	s_mov_b64 s[16:17], 0
.LBB6_1053:
	s_and_b64 vcc, exec, s[16:17]
	s_cbranch_vccz .LBB6_1071
; %bb.1054:
	v_cmp_gt_i16_e32 vcc, 27, v11
	s_cbranch_vccnz .LBB6_1057
; %bb.1055:
	v_cmp_lt_i16_e32 vcc, 27, v11
	s_cbranch_vccz .LBB6_1058
; %bb.1056:
	global_load_dword v0, v[2:3], off
	s_mov_b64 s[16:17], 0
	s_waitcnt vmcnt(0)
	v_cvt_f64_u32_e32 v[0:1], v0
	s_branch .LBB6_1059
.LBB6_1057:
	s_mov_b64 s[16:17], -1
                                        ; implicit-def: $vgpr0_vgpr1
	s_branch .LBB6_1062
.LBB6_1058:
	s_mov_b64 s[16:17], -1
                                        ; implicit-def: $vgpr0_vgpr1
.LBB6_1059:
	s_andn2_b64 vcc, exec, s[16:17]
	s_cbranch_vccnz .LBB6_1061
; %bb.1060:
	global_load_ushort v0, v[2:3], off
	s_waitcnt vmcnt(0)
	v_cvt_f64_u32_e32 v[0:1], v0
.LBB6_1061:
	s_mov_b64 s[16:17], 0
.LBB6_1062:
	s_andn2_b64 vcc, exec, s[16:17]
	s_cbranch_vccnz .LBB6_1070
; %bb.1063:
	global_load_ubyte v5, v[2:3], off
	s_movk_i32 s16, 0x7f
                                        ; implicit-def: $sgpr20_sgpr21
	s_waitcnt vmcnt(0)
	v_cmp_lt_i16_e32 vcc, s16, v5
	s_mov_b64 s[16:17], 0
	s_and_saveexec_b64 s[22:23], vcc
	s_xor_b64 s[22:23], exec, s[22:23]
	s_cbranch_execz .LBB6_1083
; %bb.1064:
	s_movk_i32 s16, 0x80
	v_cmp_eq_u16_e32 vcc, s16, v5
	s_mov_b64 s[24:25], -1
                                        ; implicit-def: $sgpr20_sgpr21
	s_and_saveexec_b64 s[16:17], vcc
; %bb.1065:
	s_mov_b32 s21, 0x7ff80000
	s_brev_b32 s20, 4
	s_xor_b64 s[24:25], exec, -1
; %bb.1066:
	s_or_b64 exec, exec, s[16:17]
	s_and_b64 s[16:17], s[24:25], exec
	s_or_saveexec_b64 s[22:23], s[22:23]
	v_pk_mov_b32 v[0:1], s[20:21], s[20:21] op_sel:[0,1]
	s_xor_b64 exec, exec, s[22:23]
	s_cbranch_execnz .LBB6_1084
.LBB6_1067:
	s_or_b64 exec, exec, s[22:23]
	s_and_saveexec_b64 s[20:21], s[16:17]
	s_cbranch_execz .LBB6_1069
.LBB6_1068:
	v_and_b32_e32 v1, 0xffff, v5
	v_lshlrev_b32_e32 v0, 24, v5
	v_and_b32_e32 v5, 7, v1
	v_ffbh_u32_e32 v7, v5
	v_min_u32_e32 v7, 32, v7
	v_subrev_u32_e32 v8, 28, v7
	v_bfe_u32 v6, v1, 3, 4
	v_lshlrev_b32_e32 v1, v8, v1
	v_sub_u32_e32 v7, 29, v7
	v_and_b32_e32 v1, 7, v1
	v_cmp_eq_u32_e32 vcc, 0, v6
	v_cndmask_b32_e32 v6, v6, v7, vcc
	v_cndmask_b32_e32 v1, v5, v1, vcc
	v_mov_b32_e32 v5, 0x3b800000
	v_lshlrev_b32_e32 v1, 20, v1
	v_and_b32_e32 v0, 0x80000000, v0
	v_lshl_add_u32 v5, v6, 23, v5
	v_or3_b32 v0, v0, v5, v1
	v_cvt_f64_f32_e32 v[0:1], v0
.LBB6_1069:
	s_or_b64 exec, exec, s[20:21]
.LBB6_1070:
	s_mov_b64 s[20:21], -1
.LBB6_1071:
	s_branch .LBB6_1103
.LBB6_1072:
	v_cmp_lt_i16_e32 vcc, 22, v11
	s_cbranch_vccz .LBB6_1082
; %bb.1073:
	v_cmp_gt_i16_e32 vcc, 24, v11
	s_cbranch_vccnz .LBB6_1085
; %bb.1074:
	v_cmp_lt_i16_e32 vcc, 24, v11
	s_cbranch_vccz .LBB6_1086
; %bb.1075:
	global_load_ubyte v5, v[2:3], off
	s_movk_i32 s16, 0x7f
                                        ; implicit-def: $sgpr18_sgpr19
	s_waitcnt vmcnt(0)
	v_cmp_lt_i16_e32 vcc, s16, v5
	s_mov_b64 s[16:17], 0
	s_and_saveexec_b64 s[20:21], vcc
	s_xor_b64 s[20:21], exec, s[20:21]
	s_cbranch_execz .LBB6_1097
; %bb.1076:
	s_movk_i32 s16, 0x80
	v_cmp_eq_u16_e32 vcc, s16, v5
	s_mov_b64 s[22:23], -1
                                        ; implicit-def: $sgpr18_sgpr19
	s_and_saveexec_b64 s[16:17], vcc
; %bb.1077:
	s_mov_b32 s19, 0x7ff80000
	s_brev_b32 s18, 4
	s_xor_b64 s[22:23], exec, -1
; %bb.1078:
	s_or_b64 exec, exec, s[16:17]
	s_and_b64 s[16:17], s[22:23], exec
	s_or_saveexec_b64 s[20:21], s[20:21]
	v_pk_mov_b32 v[0:1], s[18:19], s[18:19] op_sel:[0,1]
	s_xor_b64 exec, exec, s[20:21]
	s_cbranch_execnz .LBB6_1098
.LBB6_1079:
	s_or_b64 exec, exec, s[20:21]
	s_and_saveexec_b64 s[18:19], s[16:17]
	s_cbranch_execz .LBB6_1081
.LBB6_1080:
	v_and_b32_e32 v1, 0xffff, v5
	v_lshlrev_b32_e32 v0, 24, v5
	v_and_b32_e32 v5, 3, v1
	v_ffbh_u32_e32 v7, v5
	v_min_u32_e32 v7, 32, v7
	v_subrev_u32_e32 v8, 29, v7
	v_bfe_u32 v6, v1, 2, 5
	v_lshlrev_b32_e32 v1, v8, v1
	v_sub_u32_e32 v7, 30, v7
	v_and_b32_e32 v1, 3, v1
	v_cmp_eq_u32_e32 vcc, 0, v6
	v_cndmask_b32_e32 v6, v6, v7, vcc
	v_cndmask_b32_e32 v1, v5, v1, vcc
	v_mov_b32_e32 v5, 0x37800000
	v_lshlrev_b32_e32 v1, 21, v1
	v_and_b32_e32 v0, 0x80000000, v0
	v_lshl_add_u32 v5, v6, 23, v5
	v_or3_b32 v0, v0, v5, v1
	v_cvt_f64_f32_e32 v[0:1], v0
.LBB6_1081:
	s_or_b64 exec, exec, s[18:19]
	s_mov_b64 s[16:17], 0
	s_branch .LBB6_1087
.LBB6_1082:
                                        ; implicit-def: $vgpr0_vgpr1
	s_mov_b64 s[18:19], 0
	s_branch .LBB6_1093
.LBB6_1083:
	s_or_saveexec_b64 s[22:23], s[22:23]
	v_pk_mov_b32 v[0:1], s[20:21], s[20:21] op_sel:[0,1]
	s_xor_b64 exec, exec, s[22:23]
	s_cbranch_execz .LBB6_1067
.LBB6_1084:
	v_cmp_ne_u16_e32 vcc, 0, v5
	s_andn2_b64 s[16:17], s[16:17], exec
	s_and_b64 s[20:21], vcc, exec
	v_pk_mov_b32 v[0:1], 0, 0
	s_or_b64 s[16:17], s[16:17], s[20:21]
	s_or_b64 exec, exec, s[22:23]
	s_and_saveexec_b64 s[20:21], s[16:17]
	s_cbranch_execnz .LBB6_1068
	s_branch .LBB6_1069
.LBB6_1085:
	s_mov_b64 s[16:17], -1
                                        ; implicit-def: $vgpr0_vgpr1
	s_branch .LBB6_1090
.LBB6_1086:
	s_mov_b64 s[16:17], -1
                                        ; implicit-def: $vgpr0_vgpr1
.LBB6_1087:
	s_and_b64 vcc, exec, s[16:17]
	s_cbranch_vccz .LBB6_1089
; %bb.1088:
	global_load_ubyte v0, v[2:3], off
	s_mov_b32 s16, 0x7f800000
	s_waitcnt vmcnt(0)
	v_lshlrev_b32_e32 v0, 24, v0
	v_and_b32_e32 v1, 0x7f000000, v0
	v_ffbh_u32_e32 v5, v1
	v_min_u32_e32 v5, 32, v5
	v_sub_u32_e64 v5, v5, 4 clamp
	v_lshlrev_b32_e32 v7, v5, v1
	v_lshlrev_b32_e32 v5, 23, v5
	v_lshrrev_b32_e32 v7, 4, v7
	v_add_u32_e32 v6, 0x1000000, v1
	v_sub_u32_e32 v5, v7, v5
	v_ashrrev_i32_e32 v6, 8, v6
	v_add_u32_e32 v5, 0x3c000000, v5
	v_and_or_b32 v5, v6, s16, v5
	v_cmp_ne_u32_e32 vcc, 0, v1
	v_cndmask_b32_e32 v1, 0, v5, vcc
	s_brev_b32 s16, 1
	v_and_or_b32 v0, v0, s16, v1
	v_cvt_f64_f32_e32 v[0:1], v0
.LBB6_1089:
	s_mov_b64 s[16:17], 0
.LBB6_1090:
	s_andn2_b64 vcc, exec, s[16:17]
	s_cbranch_vccnz .LBB6_1092
; %bb.1091:
	global_load_ubyte v0, v[2:3], off
	s_movk_i32 s16, 0x7f00
	s_brev_b32 s17, 16
	s_waitcnt vmcnt(0)
	v_lshlrev_b16_e32 v1, 8, v0
	v_lshlrev_b32_e32 v0, 25, v0
	v_lshrrev_b32_e32 v5, 4, v0
	v_and_or_b32 v6, v1, s16, 0.5
	v_or_b32_e32 v5, 0x70000000, v5
	v_add_f32_e32 v6, -0.5, v6
	v_mul_f32_e32 v5, 0x7800000, v5
	v_cmp_gt_u32_e32 vcc, s17, v0
	v_bfe_i32 v1, v1, 0, 16
	v_cndmask_b32_e32 v0, v5, v6, vcc
	s_brev_b32 s16, 1
	v_and_or_b32 v0, v1, s16, v0
	v_cvt_f64_f32_e32 v[0:1], v0
.LBB6_1092:
	s_mov_b64 s[20:21], -1
	s_mov_b64 s[18:19], 0
	s_cbranch_execnz .LBB6_1103
.LBB6_1093:
	v_cmp_lt_i16_e32 vcc, 14, v11
	s_cbranch_vccz .LBB6_1096
; %bb.1094:
	v_cmp_eq_u16_e32 vcc, 15, v11
	s_cbranch_vccz .LBB6_1099
; %bb.1095:
	global_load_ushort v0, v[2:3], off
	s_mov_b64 s[2:3], 0
	s_mov_b64 s[20:21], -1
	s_waitcnt vmcnt(0)
	v_lshlrev_b32_e32 v0, 16, v0
	v_cvt_f64_f32_e32 v[0:1], v0
	s_branch .LBB6_1100
.LBB6_1096:
	s_mov_b64 s[16:17], -1
                                        ; implicit-def: $vgpr0_vgpr1
	s_branch .LBB6_1101
.LBB6_1097:
	s_or_saveexec_b64 s[20:21], s[20:21]
	v_pk_mov_b32 v[0:1], s[18:19], s[18:19] op_sel:[0,1]
	s_xor_b64 exec, exec, s[20:21]
	s_cbranch_execz .LBB6_1079
.LBB6_1098:
	v_cmp_ne_u16_e32 vcc, 0, v5
	s_andn2_b64 s[16:17], s[16:17], exec
	s_and_b64 s[18:19], vcc, exec
	v_pk_mov_b32 v[0:1], 0, 0
	s_or_b64 s[16:17], s[16:17], s[18:19]
	s_or_b64 exec, exec, s[20:21]
	s_and_saveexec_b64 s[18:19], s[16:17]
	s_cbranch_execnz .LBB6_1080
	s_branch .LBB6_1081
.LBB6_1099:
	s_mov_b64 s[2:3], -1
                                        ; implicit-def: $vgpr0_vgpr1
.LBB6_1100:
	s_mov_b64 s[16:17], 0
.LBB6_1101:
	s_and_b64 vcc, exec, s[16:17]
	s_cbranch_vccz .LBB6_1103
; %bb.1102:
	v_cmp_ne_u16_e64 s[2:3], 11, v11
	s_mov_b64 s[18:19], -1
                                        ; implicit-def: $vgpr0_vgpr1
.LBB6_1103:
	s_and_b64 vcc, exec, s[2:3]
	s_mov_b64 s[16:17], s[6:7]
	s_cbranch_vccnz .LBB6_1164
; %bb.1104:
	s_andn2_b64 vcc, exec, s[18:19]
	s_cbranch_vccnz .LBB6_1106
.LBB6_1105:
	global_load_ubyte v1, v[2:3], off
	v_mov_b32_e32 v5, 0x3ff00000
	v_mov_b32_e32 v0, 0
	s_mov_b64 s[20:21], -1
	s_waitcnt vmcnt(0)
	v_cmp_ne_u16_e32 vcc, 0, v1
	v_cndmask_b32_e32 v1, 0, v5, vcc
.LBB6_1106:
	s_branch .LBB6_1036
.LBB6_1107:
	v_cmp_gt_i16_e32 vcc, 5, v11
	s_cbranch_vccnz .LBB6_1112
; %bb.1108:
	v_cmp_gt_i16_e32 vcc, 8, v11
	s_cbranch_vccnz .LBB6_1113
; %bb.1109:
	;; [unrolled: 3-line block ×3, first 2 shown]
	v_cmp_lt_i16_e32 vcc, 9, v11
	s_cbranch_vccz .LBB6_1115
; %bb.1111:
	global_load_dwordx2 v[0:1], v[2:3], off
	s_mov_b64 s[2:3], 0
	s_branch .LBB6_1116
.LBB6_1112:
                                        ; implicit-def: $vgpr0_vgpr1
	s_branch .LBB6_1133
.LBB6_1113:
                                        ; implicit-def: $vgpr0_vgpr1
	s_branch .LBB6_1122
.LBB6_1114:
	s_mov_b64 s[2:3], -1
                                        ; implicit-def: $vgpr0_vgpr1
	s_branch .LBB6_1119
.LBB6_1115:
	s_mov_b64 s[2:3], -1
                                        ; implicit-def: $vgpr0_vgpr1
.LBB6_1116:
	s_andn2_b64 vcc, exec, s[2:3]
	s_cbranch_vccnz .LBB6_1118
; %bb.1117:
	global_load_dword v0, v[2:3], off
	s_waitcnt vmcnt(0)
	v_cvt_f64_f32_e32 v[0:1], v0
.LBB6_1118:
	s_mov_b64 s[2:3], 0
.LBB6_1119:
	s_andn2_b64 vcc, exec, s[2:3]
	s_cbranch_vccnz .LBB6_1121
; %bb.1120:
	global_load_dword v0, v[2:3], off
	s_waitcnt vmcnt(0)
	v_cvt_f32_f16_e32 v0, v0
	v_cvt_f64_f32_e32 v[0:1], v0
.LBB6_1121:
	s_cbranch_execnz .LBB6_1132
.LBB6_1122:
	v_cmp_gt_i16_e32 vcc, 6, v11
	s_cbranch_vccnz .LBB6_1125
; %bb.1123:
	v_cmp_lt_i16_e32 vcc, 6, v11
	s_cbranch_vccz .LBB6_1126
; %bb.1124:
	global_load_dwordx2 v[0:1], v[2:3], off
	s_mov_b64 s[2:3], 0
	s_branch .LBB6_1127
.LBB6_1125:
	s_mov_b64 s[2:3], -1
                                        ; implicit-def: $vgpr0_vgpr1
	s_branch .LBB6_1130
.LBB6_1126:
	s_mov_b64 s[2:3], -1
                                        ; implicit-def: $vgpr0_vgpr1
.LBB6_1127:
	s_andn2_b64 vcc, exec, s[2:3]
	s_cbranch_vccnz .LBB6_1129
; %bb.1128:
	global_load_dword v0, v[2:3], off
	s_waitcnt vmcnt(0)
	v_cvt_f64_f32_e32 v[0:1], v0
.LBB6_1129:
	s_mov_b64 s[2:3], 0
.LBB6_1130:
	s_andn2_b64 vcc, exec, s[2:3]
	s_cbranch_vccnz .LBB6_1132
; %bb.1131:
	global_load_ushort v0, v[2:3], off
	s_waitcnt vmcnt(0)
	v_cvt_f32_f16_e32 v0, v0
	v_cvt_f64_f32_e32 v[0:1], v0
.LBB6_1132:
	s_cbranch_execnz .LBB6_1151
.LBB6_1133:
	v_cmp_gt_i16_e32 vcc, 2, v11
	s_cbranch_vccnz .LBB6_1137
; %bb.1134:
	v_cmp_gt_i16_e32 vcc, 3, v11
	s_cbranch_vccnz .LBB6_1138
; %bb.1135:
	v_cmp_lt_i16_e32 vcc, 3, v11
	s_cbranch_vccz .LBB6_1139
; %bb.1136:
	global_load_dwordx2 v[0:1], v[2:3], off
	s_mov_b64 s[2:3], 0
	s_waitcnt vmcnt(0)
	v_cvt_f64_i32_e32 v[6:7], v1
	v_cvt_f64_u32_e32 v[0:1], v0
	v_ldexp_f64 v[6:7], v[6:7], 32
	v_add_f64 v[0:1], v[6:7], v[0:1]
	s_branch .LBB6_1140
.LBB6_1137:
                                        ; implicit-def: $vgpr0_vgpr1
	s_branch .LBB6_1146
.LBB6_1138:
	s_mov_b64 s[2:3], -1
                                        ; implicit-def: $vgpr0_vgpr1
	s_branch .LBB6_1143
.LBB6_1139:
	s_mov_b64 s[2:3], -1
                                        ; implicit-def: $vgpr0_vgpr1
.LBB6_1140:
	s_andn2_b64 vcc, exec, s[2:3]
	s_cbranch_vccnz .LBB6_1142
; %bb.1141:
	global_load_dword v0, v[2:3], off
	s_waitcnt vmcnt(0)
	v_cvt_f64_i32_e32 v[0:1], v0
.LBB6_1142:
	s_mov_b64 s[2:3], 0
.LBB6_1143:
	s_andn2_b64 vcc, exec, s[2:3]
	s_cbranch_vccnz .LBB6_1145
; %bb.1144:
	global_load_sshort v0, v[2:3], off
	s_waitcnt vmcnt(0)
	v_cvt_f64_i32_e32 v[0:1], v0
.LBB6_1145:
	s_cbranch_execnz .LBB6_1151
.LBB6_1146:
	v_cmp_lt_i16_e32 vcc, 0, v11
	s_cbranch_vccz .LBB6_1148
; %bb.1147:
	global_load_sbyte v0, v[2:3], off
	s_mov_b64 s[2:3], 0
	s_waitcnt vmcnt(0)
	v_cvt_f64_i32_e32 v[0:1], v0
	s_branch .LBB6_1149
.LBB6_1148:
	s_mov_b64 s[2:3], -1
                                        ; implicit-def: $vgpr0_vgpr1
.LBB6_1149:
	s_andn2_b64 vcc, exec, s[2:3]
	s_cbranch_vccnz .LBB6_1151
; %bb.1150:
	global_load_ubyte v0, v[2:3], off
	s_waitcnt vmcnt(0)
	v_cvt_f64_u32_e32 v[0:1], v0
.LBB6_1151:
                                        ; implicit-def: $vgpr2_vgpr3
.LBB6_1152:
	s_lshl_b32 s13, s13, 7
	v_add_u32_e32 v6, s13, v4
	v_ashrrev_i32_e32 v3, 31, v6
	v_mov_b32_e32 v4, s11
	v_add_co_u32_e32 v2, vcc, s10, v6
	v_addc_co_u32_e32 v3, vcc, v4, v3, vcc
	s_and_b64 vcc, exec, s[0:1]
	s_cbranch_vccnz .LBB6_1159
; %bb.1153:
	v_cmp_lt_i16_e32 vcc, 25, v11
	s_mov_b64 s[18:19], 0
	s_cbranch_vccz .LBB6_1161
; %bb.1154:
	v_cmp_lt_i16_e32 vcc, 28, v11
	s_cbranch_vccz .LBB6_1162
; %bb.1155:
	v_cmp_lt_i16_e32 vcc, 43, v11
	;; [unrolled: 3-line block ×3, first 2 shown]
	s_cbranch_vccz .LBB6_1165
; %bb.1157:
	v_cmp_eq_u16_e32 vcc, 46, v11
	s_mov_b64 s[22:23], 0
	s_cbranch_vccz .LBB6_1168
; %bb.1158:
	global_load_dword v4, v[2:3], off
	s_mov_b64 s[2:3], 0
	s_mov_b64 s[20:21], -1
	s_waitcnt vmcnt(0)
	v_lshlrev_b32_e32 v4, 16, v4
	v_cvt_f64_f32_e32 v[4:5], v4
	s_branch .LBB6_1169
.LBB6_1159:
	s_mov_b64 s[20:21], 0
                                        ; implicit-def: $vgpr4_vgpr5
	s_cbranch_execnz .LBB6_1234
.LBB6_1160:
	s_andn2_b64 vcc, exec, s[20:21]
	s_cbranch_vccnz .LBB6_1993
	s_branch .LBB6_1281
.LBB6_1161:
	s_mov_b64 s[20:21], 0
	s_mov_b64 s[2:3], 0
                                        ; implicit-def: $vgpr4_vgpr5
	s_cbranch_execnz .LBB6_1198
	s_branch .LBB6_1230
.LBB6_1162:
	s_mov_b64 s[22:23], -1
	s_mov_b64 s[20:21], 0
	s_mov_b64 s[2:3], 0
                                        ; implicit-def: $vgpr4_vgpr5
	s_branch .LBB6_1179
.LBB6_1163:
	s_mov_b64 s[22:23], -1
	s_mov_b64 s[20:21], 0
	s_mov_b64 s[2:3], 0
                                        ; implicit-def: $vgpr4_vgpr5
	s_branch .LBB6_1174
.LBB6_1164:
	s_or_b64 s[16:17], s[6:7], exec
	s_trap 2
                                        ; implicit-def: $vgpr0_vgpr1
	s_cbranch_execz .LBB6_1105
	s_branch .LBB6_1106
.LBB6_1165:
	s_mov_b64 s[22:23], -1
	s_mov_b64 s[20:21], 0
	s_mov_b64 s[2:3], 0
                                        ; implicit-def: $vgpr4_vgpr5
	s_branch .LBB6_1169
.LBB6_1166:
	s_or_saveexec_b64 s[26:27], s[26:27]
                                        ; implicit-def: $sgpr28
	s_xor_b64 exec, exec, s[26:27]
	s_cbranch_execz .LBB6_948
.LBB6_1167:
	s_mov_b32 s28, 0x42800000
	v_add_f32_e64 v3, |v2|, s28
	v_and_b32_e32 v3, 0xff, v3
	v_cmp_ne_u32_e32 vcc, 0, v3
	s_andn2_b64 s[24:25], s[24:25], exec
	s_and_b64 s[30:31], vcc, exec
	s_mov_b32 s28, 0
	s_or_b64 s[24:25], s[24:25], s[30:31]
	s_or_b64 exec, exec, s[26:27]
	v_mov_b32_e32 v7, s28
	s_and_saveexec_b64 s[26:27], s[24:25]
	s_cbranch_execnz .LBB6_949
	s_branch .LBB6_950
.LBB6_1168:
	s_mov_b64 s[2:3], -1
                                        ; implicit-def: $vgpr4_vgpr5
	s_mov_b64 s[20:21], 0
.LBB6_1169:
	s_and_b64 vcc, exec, s[22:23]
	s_cbranch_vccz .LBB6_1173
; %bb.1170:
	v_cmp_eq_u16_e32 vcc, 44, v11
	s_cbranch_vccz .LBB6_1172
; %bb.1171:
	global_load_ubyte v7, v[2:3], off
	s_movk_i32 s20, 0xff
	v_bfrev_b32_e32 v8, 4
	v_mov_b32_e32 v9, 0x7ff80000
	v_bfrev_b32_e32 v12, 28
	s_mov_b64 s[2:3], 0
	s_waitcnt vmcnt(0)
	v_lshlrev_b32_e32 v4, 23, v7
	v_cvt_f64_f32_e32 v[4:5], v4
	v_cmp_ne_u32_e32 vcc, s20, v7
	v_cndmask_b32_e32 v4, v8, v4, vcc
	v_cndmask_b32_e32 v5, v9, v5, vcc
	v_cmp_ne_u32_e32 vcc, 0, v7
	v_cndmask_b32_e32 v5, v12, v5, vcc
	v_cndmask_b32_e32 v4, 0, v4, vcc
	s_mov_b64 s[20:21], -1
	s_branch .LBB6_1173
.LBB6_1172:
	s_mov_b64 s[2:3], -1
                                        ; implicit-def: $vgpr4_vgpr5
.LBB6_1173:
	s_mov_b64 s[22:23], 0
.LBB6_1174:
	s_and_b64 vcc, exec, s[22:23]
	s_cbranch_vccz .LBB6_1178
; %bb.1175:
	v_cmp_eq_u16_e32 vcc, 29, v11
	s_cbranch_vccz .LBB6_1177
; %bb.1176:
	global_load_dwordx2 v[4:5], v[2:3], off
	s_mov_b64 s[2:3], 0
	s_mov_b64 s[20:21], -1
	s_mov_b64 s[22:23], 0
	s_waitcnt vmcnt(0)
	v_cvt_f64_u32_e32 v[8:9], v5
	v_cvt_f64_u32_e32 v[4:5], v4
	v_ldexp_f64 v[8:9], v[8:9], 32
	v_add_f64 v[4:5], v[8:9], v[4:5]
	s_branch .LBB6_1179
.LBB6_1177:
	s_mov_b64 s[2:3], -1
                                        ; implicit-def: $vgpr4_vgpr5
.LBB6_1178:
	s_mov_b64 s[22:23], 0
.LBB6_1179:
	s_and_b64 vcc, exec, s[22:23]
	s_cbranch_vccz .LBB6_1197
; %bb.1180:
	v_cmp_gt_i16_e32 vcc, 27, v11
	s_cbranch_vccnz .LBB6_1183
; %bb.1181:
	v_cmp_lt_i16_e32 vcc, 27, v11
	s_cbranch_vccz .LBB6_1184
; %bb.1182:
	global_load_dword v4, v[2:3], off
	s_mov_b64 s[20:21], 0
	s_waitcnt vmcnt(0)
	v_cvt_f64_u32_e32 v[4:5], v4
	s_branch .LBB6_1185
.LBB6_1183:
	s_mov_b64 s[20:21], -1
                                        ; implicit-def: $vgpr4_vgpr5
	s_branch .LBB6_1188
.LBB6_1184:
	s_mov_b64 s[20:21], -1
                                        ; implicit-def: $vgpr4_vgpr5
.LBB6_1185:
	s_andn2_b64 vcc, exec, s[20:21]
	s_cbranch_vccnz .LBB6_1187
; %bb.1186:
	global_load_ushort v4, v[2:3], off
	s_waitcnt vmcnt(0)
	v_cvt_f64_u32_e32 v[4:5], v4
.LBB6_1187:
	s_mov_b64 s[20:21], 0
.LBB6_1188:
	s_andn2_b64 vcc, exec, s[20:21]
	s_cbranch_vccnz .LBB6_1196
; %bb.1189:
	global_load_ubyte v7, v[2:3], off
	s_movk_i32 s20, 0x7f
                                        ; implicit-def: $sgpr22_sgpr23
	s_waitcnt vmcnt(0)
	v_cmp_lt_i16_e32 vcc, s20, v7
	s_mov_b64 s[20:21], 0
	s_and_saveexec_b64 s[24:25], vcc
	s_xor_b64 s[24:25], exec, s[24:25]
	s_cbranch_execz .LBB6_1209
; %bb.1190:
	s_movk_i32 s20, 0x80
	v_cmp_eq_u16_e32 vcc, s20, v7
	s_mov_b64 s[26:27], -1
                                        ; implicit-def: $sgpr22_sgpr23
	s_and_saveexec_b64 s[20:21], vcc
; %bb.1191:
	s_mov_b32 s23, 0x7ff80000
	s_brev_b32 s22, 4
	s_xor_b64 s[26:27], exec, -1
; %bb.1192:
	s_or_b64 exec, exec, s[20:21]
	s_and_b64 s[20:21], s[26:27], exec
	s_or_saveexec_b64 s[24:25], s[24:25]
	v_pk_mov_b32 v[4:5], s[22:23], s[22:23] op_sel:[0,1]
	s_xor_b64 exec, exec, s[24:25]
	s_cbranch_execnz .LBB6_1210
.LBB6_1193:
	s_or_b64 exec, exec, s[24:25]
	s_and_saveexec_b64 s[22:23], s[20:21]
	s_cbranch_execz .LBB6_1195
.LBB6_1194:
	v_and_b32_e32 v5, 0xffff, v7
	v_lshlrev_b32_e32 v4, 24, v7
	v_and_b32_e32 v7, 7, v5
	v_ffbh_u32_e32 v9, v7
	v_min_u32_e32 v9, 32, v9
	v_subrev_u32_e32 v12, 28, v9
	v_bfe_u32 v8, v5, 3, 4
	v_lshlrev_b32_e32 v5, v12, v5
	v_sub_u32_e32 v9, 29, v9
	v_and_b32_e32 v5, 7, v5
	v_cmp_eq_u32_e32 vcc, 0, v8
	v_cndmask_b32_e32 v8, v8, v9, vcc
	v_cndmask_b32_e32 v5, v7, v5, vcc
	v_mov_b32_e32 v7, 0x3b800000
	v_lshlrev_b32_e32 v5, 20, v5
	v_and_b32_e32 v4, 0x80000000, v4
	v_lshl_add_u32 v7, v8, 23, v7
	v_or3_b32 v4, v4, v7, v5
	v_cvt_f64_f32_e32 v[4:5], v4
.LBB6_1195:
	s_or_b64 exec, exec, s[22:23]
.LBB6_1196:
	s_mov_b64 s[20:21], -1
.LBB6_1197:
	s_branch .LBB6_1230
.LBB6_1198:
	v_cmp_lt_i16_e32 vcc, 22, v11
	s_cbranch_vccz .LBB6_1208
; %bb.1199:
	v_cmp_gt_i16_e32 vcc, 24, v11
	s_cbranch_vccnz .LBB6_1211
; %bb.1200:
	v_cmp_lt_i16_e32 vcc, 24, v11
	s_cbranch_vccz .LBB6_1212
; %bb.1201:
	global_load_ubyte v7, v[2:3], off
	s_movk_i32 s18, 0x7f
                                        ; implicit-def: $sgpr20_sgpr21
	s_waitcnt vmcnt(0)
	v_cmp_lt_i16_e32 vcc, s18, v7
	s_mov_b64 s[18:19], 0
	s_and_saveexec_b64 s[22:23], vcc
	s_xor_b64 s[22:23], exec, s[22:23]
	s_cbranch_execz .LBB6_1224
; %bb.1202:
	s_movk_i32 s18, 0x80
	v_cmp_eq_u16_e32 vcc, s18, v7
	s_mov_b64 s[24:25], -1
                                        ; implicit-def: $sgpr20_sgpr21
	s_and_saveexec_b64 s[18:19], vcc
; %bb.1203:
	s_mov_b32 s21, 0x7ff80000
	s_brev_b32 s20, 4
	s_xor_b64 s[24:25], exec, -1
; %bb.1204:
	s_or_b64 exec, exec, s[18:19]
	s_and_b64 s[18:19], s[24:25], exec
	s_or_saveexec_b64 s[22:23], s[22:23]
	v_pk_mov_b32 v[4:5], s[20:21], s[20:21] op_sel:[0,1]
	s_xor_b64 exec, exec, s[22:23]
	s_cbranch_execnz .LBB6_1225
.LBB6_1205:
	s_or_b64 exec, exec, s[22:23]
	s_and_saveexec_b64 s[20:21], s[18:19]
	s_cbranch_execz .LBB6_1207
.LBB6_1206:
	v_and_b32_e32 v5, 0xffff, v7
	v_lshlrev_b32_e32 v4, 24, v7
	v_and_b32_e32 v7, 3, v5
	v_ffbh_u32_e32 v9, v7
	v_min_u32_e32 v9, 32, v9
	v_subrev_u32_e32 v12, 29, v9
	v_bfe_u32 v8, v5, 2, 5
	v_lshlrev_b32_e32 v5, v12, v5
	v_sub_u32_e32 v9, 30, v9
	v_and_b32_e32 v5, 3, v5
	v_cmp_eq_u32_e32 vcc, 0, v8
	v_cndmask_b32_e32 v8, v8, v9, vcc
	v_cndmask_b32_e32 v5, v7, v5, vcc
	v_mov_b32_e32 v7, 0x37800000
	v_lshlrev_b32_e32 v5, 21, v5
	v_and_b32_e32 v4, 0x80000000, v4
	v_lshl_add_u32 v7, v8, 23, v7
	v_or3_b32 v4, v4, v7, v5
	v_cvt_f64_f32_e32 v[4:5], v4
.LBB6_1207:
	s_or_b64 exec, exec, s[20:21]
	s_mov_b64 s[18:19], 0
	s_branch .LBB6_1213
.LBB6_1208:
	s_mov_b64 s[18:19], -1
                                        ; implicit-def: $vgpr4_vgpr5
	s_branch .LBB6_1219
.LBB6_1209:
	s_or_saveexec_b64 s[24:25], s[24:25]
	v_pk_mov_b32 v[4:5], s[22:23], s[22:23] op_sel:[0,1]
	s_xor_b64 exec, exec, s[24:25]
	s_cbranch_execz .LBB6_1193
.LBB6_1210:
	v_cmp_ne_u16_e32 vcc, 0, v7
	s_andn2_b64 s[20:21], s[20:21], exec
	s_and_b64 s[22:23], vcc, exec
	v_pk_mov_b32 v[4:5], 0, 0
	s_or_b64 s[20:21], s[20:21], s[22:23]
	s_or_b64 exec, exec, s[24:25]
	s_and_saveexec_b64 s[22:23], s[20:21]
	s_cbranch_execnz .LBB6_1194
	s_branch .LBB6_1195
.LBB6_1211:
	s_mov_b64 s[18:19], -1
                                        ; implicit-def: $vgpr4_vgpr5
	s_branch .LBB6_1216
.LBB6_1212:
	s_mov_b64 s[18:19], -1
                                        ; implicit-def: $vgpr4_vgpr5
.LBB6_1213:
	s_and_b64 vcc, exec, s[18:19]
	s_cbranch_vccz .LBB6_1215
; %bb.1214:
	global_load_ubyte v4, v[2:3], off
	s_mov_b32 s18, 0x7f800000
	s_waitcnt vmcnt(0)
	v_lshlrev_b32_e32 v4, 24, v4
	v_and_b32_e32 v5, 0x7f000000, v4
	v_ffbh_u32_e32 v7, v5
	v_min_u32_e32 v7, 32, v7
	v_sub_u32_e64 v7, v7, 4 clamp
	v_lshlrev_b32_e32 v9, v7, v5
	v_lshlrev_b32_e32 v7, 23, v7
	v_lshrrev_b32_e32 v9, 4, v9
	v_add_u32_e32 v8, 0x1000000, v5
	v_sub_u32_e32 v7, v9, v7
	v_ashrrev_i32_e32 v8, 8, v8
	v_add_u32_e32 v7, 0x3c000000, v7
	v_and_or_b32 v7, v8, s18, v7
	v_cmp_ne_u32_e32 vcc, 0, v5
	v_cndmask_b32_e32 v5, 0, v7, vcc
	s_brev_b32 s18, 1
	v_and_or_b32 v4, v4, s18, v5
	v_cvt_f64_f32_e32 v[4:5], v4
.LBB6_1215:
	s_mov_b64 s[18:19], 0
.LBB6_1216:
	s_andn2_b64 vcc, exec, s[18:19]
	s_cbranch_vccnz .LBB6_1218
; %bb.1217:
	global_load_ubyte v4, v[2:3], off
	s_movk_i32 s18, 0x7f00
	s_brev_b32 s19, 16
	s_waitcnt vmcnt(0)
	v_lshlrev_b16_e32 v5, 8, v4
	v_lshlrev_b32_e32 v4, 25, v4
	v_lshrrev_b32_e32 v7, 4, v4
	v_and_or_b32 v8, v5, s18, 0.5
	v_or_b32_e32 v7, 0x70000000, v7
	v_add_f32_e32 v8, -0.5, v8
	v_mul_f32_e32 v7, 0x7800000, v7
	v_cmp_gt_u32_e32 vcc, s19, v4
	v_bfe_i32 v5, v5, 0, 16
	v_cndmask_b32_e32 v4, v7, v8, vcc
	s_brev_b32 s18, 1
	v_and_or_b32 v4, v5, s18, v4
	v_cvt_f64_f32_e32 v[4:5], v4
.LBB6_1218:
	s_mov_b64 s[18:19], 0
	s_mov_b64 s[20:21], -1
.LBB6_1219:
	s_andn2_b64 vcc, exec, s[18:19]
	s_mov_b64 s[18:19], 0
	s_cbranch_vccnz .LBB6_1230
; %bb.1220:
	v_cmp_lt_i16_e32 vcc, 14, v11
	s_cbranch_vccz .LBB6_1223
; %bb.1221:
	v_cmp_eq_u16_e32 vcc, 15, v11
	s_cbranch_vccz .LBB6_1226
; %bb.1222:
	global_load_ushort v4, v[2:3], off
	s_mov_b64 s[2:3], 0
	s_mov_b64 s[20:21], -1
	s_waitcnt vmcnt(0)
	v_lshlrev_b32_e32 v4, 16, v4
	v_cvt_f64_f32_e32 v[4:5], v4
	s_branch .LBB6_1227
.LBB6_1223:
	s_mov_b64 s[22:23], -1
                                        ; implicit-def: $vgpr4_vgpr5
	s_branch .LBB6_1228
.LBB6_1224:
	s_or_saveexec_b64 s[22:23], s[22:23]
	v_pk_mov_b32 v[4:5], s[20:21], s[20:21] op_sel:[0,1]
	s_xor_b64 exec, exec, s[22:23]
	s_cbranch_execz .LBB6_1205
.LBB6_1225:
	v_cmp_ne_u16_e32 vcc, 0, v7
	s_andn2_b64 s[18:19], s[18:19], exec
	s_and_b64 s[20:21], vcc, exec
	v_pk_mov_b32 v[4:5], 0, 0
	s_or_b64 s[18:19], s[18:19], s[20:21]
	s_or_b64 exec, exec, s[22:23]
	s_and_saveexec_b64 s[20:21], s[18:19]
	s_cbranch_execnz .LBB6_1206
	s_branch .LBB6_1207
.LBB6_1226:
	s_mov_b64 s[2:3], -1
                                        ; implicit-def: $vgpr4_vgpr5
.LBB6_1227:
	s_mov_b64 s[22:23], 0
.LBB6_1228:
	s_and_b64 vcc, exec, s[22:23]
	s_cbranch_vccz .LBB6_1230
; %bb.1229:
	v_cmp_ne_u16_e64 s[2:3], 11, v11
	s_mov_b64 s[18:19], -1
                                        ; implicit-def: $vgpr4_vgpr5
.LBB6_1230:
	s_and_b64 vcc, exec, s[2:3]
	s_cbranch_vccnz .LBB6_1293
; %bb.1231:
	s_andn2_b64 vcc, exec, s[18:19]
	s_cbranch_vccnz .LBB6_1233
.LBB6_1232:
	global_load_ubyte v5, v[2:3], off
	v_mov_b32_e32 v7, 0x3ff00000
	v_mov_b32_e32 v4, 0
	s_mov_b64 s[20:21], -1
	s_waitcnt vmcnt(0)
	v_cmp_ne_u16_e32 vcc, 0, v5
	v_cndmask_b32_e32 v5, 0, v7, vcc
.LBB6_1233:
	s_branch .LBB6_1160
.LBB6_1234:
	v_cmp_gt_i16_e32 vcc, 5, v11
	s_cbranch_vccnz .LBB6_1239
; %bb.1235:
	v_cmp_gt_i16_e32 vcc, 8, v11
	s_cbranch_vccnz .LBB6_1240
; %bb.1236:
	v_cmp_gt_i16_e32 vcc, 9, v11
	s_cbranch_vccnz .LBB6_1241
; %bb.1237:
	v_cmp_lt_i16_e32 vcc, 9, v11
	s_cbranch_vccz .LBB6_1242
; %bb.1238:
	global_load_dwordx2 v[4:5], v[2:3], off
	s_mov_b64 s[2:3], 0
	s_branch .LBB6_1243
.LBB6_1239:
                                        ; implicit-def: $vgpr4_vgpr5
	s_branch .LBB6_1261
.LBB6_1240:
	s_mov_b64 s[2:3], -1
                                        ; implicit-def: $vgpr4_vgpr5
	s_branch .LBB6_1249
.LBB6_1241:
	s_mov_b64 s[2:3], -1
                                        ; implicit-def: $vgpr4_vgpr5
	s_branch .LBB6_1246
.LBB6_1242:
	s_mov_b64 s[2:3], -1
                                        ; implicit-def: $vgpr4_vgpr5
.LBB6_1243:
	s_andn2_b64 vcc, exec, s[2:3]
	s_cbranch_vccnz .LBB6_1245
; %bb.1244:
	global_load_dword v4, v[2:3], off
	s_waitcnt vmcnt(0)
	v_cvt_f64_f32_e32 v[4:5], v4
.LBB6_1245:
	s_mov_b64 s[2:3], 0
.LBB6_1246:
	s_andn2_b64 vcc, exec, s[2:3]
	s_cbranch_vccnz .LBB6_1248
; %bb.1247:
	global_load_dword v4, v[2:3], off
	s_waitcnt vmcnt(0)
	v_cvt_f32_f16_e32 v4, v4
	v_cvt_f64_f32_e32 v[4:5], v4
.LBB6_1248:
	s_mov_b64 s[2:3], 0
.LBB6_1249:
	s_andn2_b64 vcc, exec, s[2:3]
	s_cbranch_vccnz .LBB6_1260
; %bb.1250:
	v_cmp_gt_i16_e32 vcc, 6, v11
	s_cbranch_vccnz .LBB6_1253
; %bb.1251:
	v_cmp_lt_i16_e32 vcc, 6, v11
	s_cbranch_vccz .LBB6_1254
; %bb.1252:
	global_load_dwordx2 v[4:5], v[2:3], off
	s_mov_b64 s[2:3], 0
	s_branch .LBB6_1255
.LBB6_1253:
	s_mov_b64 s[2:3], -1
                                        ; implicit-def: $vgpr4_vgpr5
	s_branch .LBB6_1258
.LBB6_1254:
	s_mov_b64 s[2:3], -1
                                        ; implicit-def: $vgpr4_vgpr5
.LBB6_1255:
	s_andn2_b64 vcc, exec, s[2:3]
	s_cbranch_vccnz .LBB6_1257
; %bb.1256:
	global_load_dword v4, v[2:3], off
	s_waitcnt vmcnt(0)
	v_cvt_f64_f32_e32 v[4:5], v4
.LBB6_1257:
	s_mov_b64 s[2:3], 0
.LBB6_1258:
	s_andn2_b64 vcc, exec, s[2:3]
	s_cbranch_vccnz .LBB6_1260
; %bb.1259:
	global_load_ushort v4, v[2:3], off
	s_waitcnt vmcnt(0)
	v_cvt_f32_f16_e32 v4, v4
	v_cvt_f64_f32_e32 v[4:5], v4
.LBB6_1260:
	s_cbranch_execnz .LBB6_1280
.LBB6_1261:
	v_cmp_gt_i16_e32 vcc, 2, v11
	s_cbranch_vccnz .LBB6_1265
; %bb.1262:
	v_cmp_gt_i16_e32 vcc, 3, v11
	s_cbranch_vccnz .LBB6_1266
; %bb.1263:
	v_cmp_lt_i16_e32 vcc, 3, v11
	s_cbranch_vccz .LBB6_1267
; %bb.1264:
	global_load_dwordx2 v[4:5], v[2:3], off
	s_mov_b64 s[2:3], 0
	s_waitcnt vmcnt(0)
	v_cvt_f64_i32_e32 v[8:9], v5
	v_cvt_f64_u32_e32 v[4:5], v4
	v_ldexp_f64 v[8:9], v[8:9], 32
	v_add_f64 v[4:5], v[8:9], v[4:5]
	s_branch .LBB6_1268
.LBB6_1265:
	s_mov_b64 s[2:3], -1
                                        ; implicit-def: $vgpr4_vgpr5
	s_branch .LBB6_1274
.LBB6_1266:
	s_mov_b64 s[2:3], -1
                                        ; implicit-def: $vgpr4_vgpr5
	s_branch .LBB6_1271
.LBB6_1267:
	s_mov_b64 s[2:3], -1
                                        ; implicit-def: $vgpr4_vgpr5
.LBB6_1268:
	s_andn2_b64 vcc, exec, s[2:3]
	s_cbranch_vccnz .LBB6_1270
; %bb.1269:
	global_load_dword v4, v[2:3], off
	s_waitcnt vmcnt(0)
	v_cvt_f64_i32_e32 v[4:5], v4
.LBB6_1270:
	s_mov_b64 s[2:3], 0
.LBB6_1271:
	s_andn2_b64 vcc, exec, s[2:3]
	s_cbranch_vccnz .LBB6_1273
; %bb.1272:
	global_load_sshort v4, v[2:3], off
	s_waitcnt vmcnt(0)
	v_cvt_f64_i32_e32 v[4:5], v4
.LBB6_1273:
	s_mov_b64 s[2:3], 0
.LBB6_1274:
	s_andn2_b64 vcc, exec, s[2:3]
	s_cbranch_vccnz .LBB6_1280
; %bb.1275:
	v_cmp_lt_i16_e32 vcc, 0, v11
	s_cbranch_vccz .LBB6_1277
; %bb.1276:
	global_load_sbyte v4, v[2:3], off
	s_mov_b64 s[2:3], 0
	s_waitcnt vmcnt(0)
	v_cvt_f64_i32_e32 v[4:5], v4
	s_branch .LBB6_1278
.LBB6_1277:
	s_mov_b64 s[2:3], -1
                                        ; implicit-def: $vgpr4_vgpr5
.LBB6_1278:
	s_andn2_b64 vcc, exec, s[2:3]
	s_cbranch_vccnz .LBB6_1280
; %bb.1279:
	global_load_ubyte v2, v[2:3], off
	s_waitcnt vmcnt(0)
	v_cvt_f64_u32_e32 v[4:5], v2
.LBB6_1280:
.LBB6_1281:
	v_add_u32_e32 v8, s13, v6
	v_ashrrev_i32_e32 v3, 31, v8
	v_mov_b32_e32 v6, s11
	v_add_co_u32_e32 v2, vcc, s10, v8
	v_addc_co_u32_e32 v3, vcc, v6, v3, vcc
	s_and_b64 vcc, exec, s[0:1]
	s_cbranch_vccnz .LBB6_1288
; %bb.1282:
	v_cmp_lt_i16_e32 vcc, 25, v11
	s_mov_b64 s[18:19], 0
	s_cbranch_vccz .LBB6_1290
; %bb.1283:
	v_cmp_lt_i16_e32 vcc, 28, v11
	s_cbranch_vccz .LBB6_1291
; %bb.1284:
	v_cmp_lt_i16_e32 vcc, 43, v11
	;; [unrolled: 3-line block ×3, first 2 shown]
	s_cbranch_vccz .LBB6_1294
; %bb.1286:
	v_cmp_eq_u16_e32 vcc, 46, v11
	s_mov_b64 s[22:23], 0
	s_cbranch_vccz .LBB6_1295
; %bb.1287:
	global_load_dword v6, v[2:3], off
	s_mov_b64 s[2:3], 0
	s_mov_b64 s[20:21], -1
	s_waitcnt vmcnt(0)
	v_lshlrev_b32_e32 v6, 16, v6
	v_cvt_f64_f32_e32 v[6:7], v6
	s_branch .LBB6_1296
.LBB6_1288:
	s_mov_b64 s[20:21], 0
                                        ; implicit-def: $vgpr6_vgpr7
	s_cbranch_execnz .LBB6_1362
.LBB6_1289:
	s_andn2_b64 vcc, exec, s[20:21]
	s_cbranch_vccnz .LBB6_1993
	s_branch .LBB6_1410
.LBB6_1290:
	s_mov_b64 s[22:23], -1
	s_mov_b64 s[20:21], 0
	s_mov_b64 s[2:3], 0
                                        ; implicit-def: $vgpr6_vgpr7
	s_branch .LBB6_1325
.LBB6_1291:
	s_mov_b64 s[22:23], -1
	s_mov_b64 s[20:21], 0
	s_mov_b64 s[2:3], 0
                                        ; implicit-def: $vgpr6_vgpr7
	s_branch .LBB6_1306
.LBB6_1292:
	s_mov_b64 s[22:23], -1
	s_mov_b64 s[20:21], 0
	s_mov_b64 s[2:3], 0
                                        ; implicit-def: $vgpr6_vgpr7
	s_branch .LBB6_1301
.LBB6_1293:
	s_trap 2
	s_or_b64 s[16:17], s[16:17], exec
                                        ; implicit-def: $vgpr4_vgpr5
	s_cbranch_execz .LBB6_1232
	s_branch .LBB6_1233
.LBB6_1294:
	s_mov_b64 s[22:23], -1
	s_mov_b64 s[20:21], 0
	s_mov_b64 s[2:3], 0
                                        ; implicit-def: $vgpr6_vgpr7
	s_branch .LBB6_1296
.LBB6_1295:
	s_mov_b64 s[2:3], -1
                                        ; implicit-def: $vgpr6_vgpr7
	s_mov_b64 s[20:21], 0
.LBB6_1296:
	s_and_b64 vcc, exec, s[22:23]
	s_cbranch_vccz .LBB6_1300
; %bb.1297:
	v_cmp_eq_u16_e32 vcc, 44, v11
	s_cbranch_vccz .LBB6_1299
; %bb.1298:
	global_load_ubyte v9, v[2:3], off
	s_movk_i32 s20, 0xff
	v_bfrev_b32_e32 v12, 4
	v_mov_b32_e32 v13, 0x7ff80000
	v_bfrev_b32_e32 v14, 28
	s_mov_b64 s[2:3], 0
	s_waitcnt vmcnt(0)
	v_lshlrev_b32_e32 v6, 23, v9
	v_cvt_f64_f32_e32 v[6:7], v6
	v_cmp_ne_u32_e32 vcc, s20, v9
	v_cndmask_b32_e32 v6, v12, v6, vcc
	v_cndmask_b32_e32 v7, v13, v7, vcc
	v_cmp_ne_u32_e32 vcc, 0, v9
	v_cndmask_b32_e32 v7, v14, v7, vcc
	v_cndmask_b32_e32 v6, 0, v6, vcc
	s_mov_b64 s[20:21], -1
	s_branch .LBB6_1300
.LBB6_1299:
	s_mov_b64 s[2:3], -1
                                        ; implicit-def: $vgpr6_vgpr7
.LBB6_1300:
	s_mov_b64 s[22:23], 0
.LBB6_1301:
	s_and_b64 vcc, exec, s[22:23]
	s_cbranch_vccz .LBB6_1305
; %bb.1302:
	v_cmp_eq_u16_e32 vcc, 29, v11
	s_cbranch_vccz .LBB6_1304
; %bb.1303:
	global_load_dwordx2 v[6:7], v[2:3], off
	s_mov_b64 s[2:3], 0
	s_mov_b64 s[20:21], -1
	s_mov_b64 s[22:23], 0
	s_waitcnt vmcnt(0)
	v_cvt_f64_u32_e32 v[12:13], v7
	v_cvt_f64_u32_e32 v[6:7], v6
	v_ldexp_f64 v[12:13], v[12:13], 32
	v_add_f64 v[6:7], v[12:13], v[6:7]
	s_branch .LBB6_1306
.LBB6_1304:
	s_mov_b64 s[2:3], -1
                                        ; implicit-def: $vgpr6_vgpr7
.LBB6_1305:
	s_mov_b64 s[22:23], 0
.LBB6_1306:
	s_and_b64 vcc, exec, s[22:23]
	s_cbranch_vccz .LBB6_1324
; %bb.1307:
	v_cmp_gt_i16_e32 vcc, 27, v11
	s_cbranch_vccnz .LBB6_1310
; %bb.1308:
	v_cmp_lt_i16_e32 vcc, 27, v11
	s_cbranch_vccz .LBB6_1311
; %bb.1309:
	global_load_dword v6, v[2:3], off
	s_mov_b64 s[20:21], 0
	s_waitcnt vmcnt(0)
	v_cvt_f64_u32_e32 v[6:7], v6
	s_branch .LBB6_1312
.LBB6_1310:
	s_mov_b64 s[20:21], -1
                                        ; implicit-def: $vgpr6_vgpr7
	s_branch .LBB6_1315
.LBB6_1311:
	s_mov_b64 s[20:21], -1
                                        ; implicit-def: $vgpr6_vgpr7
.LBB6_1312:
	s_andn2_b64 vcc, exec, s[20:21]
	s_cbranch_vccnz .LBB6_1314
; %bb.1313:
	global_load_ushort v6, v[2:3], off
	s_waitcnt vmcnt(0)
	v_cvt_f64_u32_e32 v[6:7], v6
.LBB6_1314:
	s_mov_b64 s[20:21], 0
.LBB6_1315:
	s_andn2_b64 vcc, exec, s[20:21]
	s_cbranch_vccnz .LBB6_1323
; %bb.1316:
	global_load_ubyte v9, v[2:3], off
	s_movk_i32 s20, 0x7f
                                        ; implicit-def: $sgpr22_sgpr23
	s_waitcnt vmcnt(0)
	v_cmp_lt_i16_e32 vcc, s20, v9
	s_mov_b64 s[20:21], 0
	s_and_saveexec_b64 s[24:25], vcc
	s_xor_b64 s[24:25], exec, s[24:25]
	s_cbranch_execz .LBB6_1337
; %bb.1317:
	s_movk_i32 s20, 0x80
	v_cmp_eq_u16_e32 vcc, s20, v9
	s_mov_b64 s[26:27], -1
                                        ; implicit-def: $sgpr22_sgpr23
	s_and_saveexec_b64 s[20:21], vcc
; %bb.1318:
	s_mov_b32 s23, 0x7ff80000
	s_brev_b32 s22, 4
	s_xor_b64 s[26:27], exec, -1
; %bb.1319:
	s_or_b64 exec, exec, s[20:21]
	s_and_b64 s[20:21], s[26:27], exec
	s_or_saveexec_b64 s[24:25], s[24:25]
	v_pk_mov_b32 v[6:7], s[22:23], s[22:23] op_sel:[0,1]
	s_xor_b64 exec, exec, s[24:25]
	s_cbranch_execnz .LBB6_1338
.LBB6_1320:
	s_or_b64 exec, exec, s[24:25]
	s_and_saveexec_b64 s[22:23], s[20:21]
	s_cbranch_execz .LBB6_1322
.LBB6_1321:
	v_and_b32_e32 v7, 0xffff, v9
	v_lshlrev_b32_e32 v6, 24, v9
	v_and_b32_e32 v9, 7, v7
	v_ffbh_u32_e32 v13, v9
	v_min_u32_e32 v13, 32, v13
	v_subrev_u32_e32 v14, 28, v13
	v_bfe_u32 v12, v7, 3, 4
	v_lshlrev_b32_e32 v7, v14, v7
	v_sub_u32_e32 v13, 29, v13
	v_and_b32_e32 v7, 7, v7
	v_cmp_eq_u32_e32 vcc, 0, v12
	v_cndmask_b32_e32 v12, v12, v13, vcc
	v_cndmask_b32_e32 v7, v9, v7, vcc
	v_mov_b32_e32 v9, 0x3b800000
	v_lshlrev_b32_e32 v7, 20, v7
	v_and_b32_e32 v6, 0x80000000, v6
	v_lshl_add_u32 v9, v12, 23, v9
	v_or3_b32 v6, v6, v9, v7
	v_cvt_f64_f32_e32 v[6:7], v6
.LBB6_1322:
	s_or_b64 exec, exec, s[22:23]
.LBB6_1323:
	s_mov_b64 s[20:21], -1
.LBB6_1324:
	s_mov_b64 s[22:23], 0
.LBB6_1325:
	s_and_b64 vcc, exec, s[22:23]
	s_cbranch_vccz .LBB6_1358
; %bb.1326:
	v_cmp_lt_i16_e32 vcc, 22, v11
	s_cbranch_vccz .LBB6_1336
; %bb.1327:
	v_cmp_gt_i16_e32 vcc, 24, v11
	s_cbranch_vccnz .LBB6_1339
; %bb.1328:
	v_cmp_lt_i16_e32 vcc, 24, v11
	s_cbranch_vccz .LBB6_1340
; %bb.1329:
	global_load_ubyte v9, v[2:3], off
	s_movk_i32 s18, 0x7f
                                        ; implicit-def: $sgpr20_sgpr21
	s_waitcnt vmcnt(0)
	v_cmp_lt_i16_e32 vcc, s18, v9
	s_mov_b64 s[18:19], 0
	s_and_saveexec_b64 s[22:23], vcc
	s_xor_b64 s[22:23], exec, s[22:23]
	s_cbranch_execz .LBB6_1352
; %bb.1330:
	s_movk_i32 s18, 0x80
	v_cmp_eq_u16_e32 vcc, s18, v9
	s_mov_b64 s[24:25], -1
                                        ; implicit-def: $sgpr20_sgpr21
	s_and_saveexec_b64 s[18:19], vcc
; %bb.1331:
	s_mov_b32 s21, 0x7ff80000
	s_brev_b32 s20, 4
	s_xor_b64 s[24:25], exec, -1
; %bb.1332:
	s_or_b64 exec, exec, s[18:19]
	s_and_b64 s[18:19], s[24:25], exec
	s_or_saveexec_b64 s[22:23], s[22:23]
	v_pk_mov_b32 v[6:7], s[20:21], s[20:21] op_sel:[0,1]
	s_xor_b64 exec, exec, s[22:23]
	s_cbranch_execnz .LBB6_1353
.LBB6_1333:
	s_or_b64 exec, exec, s[22:23]
	s_and_saveexec_b64 s[20:21], s[18:19]
	s_cbranch_execz .LBB6_1335
.LBB6_1334:
	v_and_b32_e32 v7, 0xffff, v9
	v_lshlrev_b32_e32 v6, 24, v9
	v_and_b32_e32 v9, 3, v7
	v_ffbh_u32_e32 v13, v9
	v_min_u32_e32 v13, 32, v13
	v_subrev_u32_e32 v14, 29, v13
	v_bfe_u32 v12, v7, 2, 5
	v_lshlrev_b32_e32 v7, v14, v7
	v_sub_u32_e32 v13, 30, v13
	v_and_b32_e32 v7, 3, v7
	v_cmp_eq_u32_e32 vcc, 0, v12
	v_cndmask_b32_e32 v12, v12, v13, vcc
	v_cndmask_b32_e32 v7, v9, v7, vcc
	v_mov_b32_e32 v9, 0x37800000
	v_lshlrev_b32_e32 v7, 21, v7
	v_and_b32_e32 v6, 0x80000000, v6
	v_lshl_add_u32 v9, v12, 23, v9
	v_or3_b32 v6, v6, v9, v7
	v_cvt_f64_f32_e32 v[6:7], v6
.LBB6_1335:
	s_or_b64 exec, exec, s[20:21]
	s_mov_b64 s[18:19], 0
	s_branch .LBB6_1341
.LBB6_1336:
	s_mov_b64 s[18:19], -1
                                        ; implicit-def: $vgpr6_vgpr7
	s_branch .LBB6_1347
.LBB6_1337:
	s_or_saveexec_b64 s[24:25], s[24:25]
	v_pk_mov_b32 v[6:7], s[22:23], s[22:23] op_sel:[0,1]
	s_xor_b64 exec, exec, s[24:25]
	s_cbranch_execz .LBB6_1320
.LBB6_1338:
	v_cmp_ne_u16_e32 vcc, 0, v9
	s_andn2_b64 s[20:21], s[20:21], exec
	s_and_b64 s[22:23], vcc, exec
	v_pk_mov_b32 v[6:7], 0, 0
	s_or_b64 s[20:21], s[20:21], s[22:23]
	s_or_b64 exec, exec, s[24:25]
	s_and_saveexec_b64 s[22:23], s[20:21]
	s_cbranch_execnz .LBB6_1321
	s_branch .LBB6_1322
.LBB6_1339:
	s_mov_b64 s[18:19], -1
                                        ; implicit-def: $vgpr6_vgpr7
	s_branch .LBB6_1344
.LBB6_1340:
	s_mov_b64 s[18:19], -1
                                        ; implicit-def: $vgpr6_vgpr7
.LBB6_1341:
	s_and_b64 vcc, exec, s[18:19]
	s_cbranch_vccz .LBB6_1343
; %bb.1342:
	global_load_ubyte v6, v[2:3], off
	s_mov_b32 s18, 0x7f800000
	s_waitcnt vmcnt(0)
	v_lshlrev_b32_e32 v6, 24, v6
	v_and_b32_e32 v7, 0x7f000000, v6
	v_ffbh_u32_e32 v9, v7
	v_min_u32_e32 v9, 32, v9
	v_sub_u32_e64 v9, v9, 4 clamp
	v_lshlrev_b32_e32 v13, v9, v7
	v_lshlrev_b32_e32 v9, 23, v9
	v_lshrrev_b32_e32 v13, 4, v13
	v_add_u32_e32 v12, 0x1000000, v7
	v_sub_u32_e32 v9, v13, v9
	v_ashrrev_i32_e32 v12, 8, v12
	v_add_u32_e32 v9, 0x3c000000, v9
	v_and_or_b32 v9, v12, s18, v9
	v_cmp_ne_u32_e32 vcc, 0, v7
	v_cndmask_b32_e32 v7, 0, v9, vcc
	s_brev_b32 s18, 1
	v_and_or_b32 v6, v6, s18, v7
	v_cvt_f64_f32_e32 v[6:7], v6
.LBB6_1343:
	s_mov_b64 s[18:19], 0
.LBB6_1344:
	s_andn2_b64 vcc, exec, s[18:19]
	s_cbranch_vccnz .LBB6_1346
; %bb.1345:
	global_load_ubyte v6, v[2:3], off
	s_movk_i32 s18, 0x7f00
	s_brev_b32 s19, 16
	s_waitcnt vmcnt(0)
	v_lshlrev_b16_e32 v7, 8, v6
	v_lshlrev_b32_e32 v6, 25, v6
	v_lshrrev_b32_e32 v9, 4, v6
	v_and_or_b32 v12, v7, s18, 0.5
	v_or_b32_e32 v9, 0x70000000, v9
	v_add_f32_e32 v12, -0.5, v12
	v_mul_f32_e32 v9, 0x7800000, v9
	v_cmp_gt_u32_e32 vcc, s19, v6
	v_bfe_i32 v7, v7, 0, 16
	v_cndmask_b32_e32 v6, v9, v12, vcc
	s_brev_b32 s18, 1
	v_and_or_b32 v6, v7, s18, v6
	v_cvt_f64_f32_e32 v[6:7], v6
.LBB6_1346:
	s_mov_b64 s[18:19], 0
	s_mov_b64 s[20:21], -1
.LBB6_1347:
	s_andn2_b64 vcc, exec, s[18:19]
	s_mov_b64 s[18:19], 0
	s_cbranch_vccnz .LBB6_1358
; %bb.1348:
	v_cmp_lt_i16_e32 vcc, 14, v11
	s_cbranch_vccz .LBB6_1351
; %bb.1349:
	v_cmp_eq_u16_e32 vcc, 15, v11
	s_cbranch_vccz .LBB6_1354
; %bb.1350:
	global_load_ushort v6, v[2:3], off
	s_mov_b64 s[2:3], 0
	s_mov_b64 s[20:21], -1
	s_waitcnt vmcnt(0)
	v_lshlrev_b32_e32 v6, 16, v6
	v_cvt_f64_f32_e32 v[6:7], v6
	s_branch .LBB6_1355
.LBB6_1351:
	s_mov_b64 s[22:23], -1
                                        ; implicit-def: $vgpr6_vgpr7
	s_branch .LBB6_1356
.LBB6_1352:
	s_or_saveexec_b64 s[22:23], s[22:23]
	v_pk_mov_b32 v[6:7], s[20:21], s[20:21] op_sel:[0,1]
	s_xor_b64 exec, exec, s[22:23]
	s_cbranch_execz .LBB6_1333
.LBB6_1353:
	v_cmp_ne_u16_e32 vcc, 0, v9
	s_andn2_b64 s[18:19], s[18:19], exec
	s_and_b64 s[20:21], vcc, exec
	v_pk_mov_b32 v[6:7], 0, 0
	s_or_b64 s[18:19], s[18:19], s[20:21]
	s_or_b64 exec, exec, s[22:23]
	s_and_saveexec_b64 s[20:21], s[18:19]
	s_cbranch_execnz .LBB6_1334
	s_branch .LBB6_1335
.LBB6_1354:
	s_mov_b64 s[2:3], -1
                                        ; implicit-def: $vgpr6_vgpr7
.LBB6_1355:
	s_mov_b64 s[22:23], 0
.LBB6_1356:
	s_and_b64 vcc, exec, s[22:23]
	s_cbranch_vccz .LBB6_1358
; %bb.1357:
	v_cmp_ne_u16_e64 s[2:3], 11, v11
	s_mov_b64 s[18:19], -1
                                        ; implicit-def: $vgpr6_vgpr7
.LBB6_1358:
	s_and_b64 vcc, exec, s[2:3]
	s_cbranch_vccnz .LBB6_1421
; %bb.1359:
	s_andn2_b64 vcc, exec, s[18:19]
	s_cbranch_vccnz .LBB6_1361
.LBB6_1360:
	global_load_ubyte v7, v[2:3], off
	v_mov_b32_e32 v9, 0x3ff00000
	v_mov_b32_e32 v6, 0
	s_mov_b64 s[20:21], -1
	s_waitcnt vmcnt(0)
	v_cmp_ne_u16_e32 vcc, 0, v7
	v_cndmask_b32_e32 v7, 0, v9, vcc
.LBB6_1361:
	s_branch .LBB6_1289
.LBB6_1362:
	v_cmp_gt_i16_e32 vcc, 5, v11
	s_cbranch_vccnz .LBB6_1367
; %bb.1363:
	v_cmp_gt_i16_e32 vcc, 8, v11
	s_cbranch_vccnz .LBB6_1368
; %bb.1364:
	;; [unrolled: 3-line block ×3, first 2 shown]
	v_cmp_lt_i16_e32 vcc, 9, v11
	s_cbranch_vccz .LBB6_1370
; %bb.1366:
	global_load_dwordx2 v[6:7], v[2:3], off
	s_mov_b64 s[2:3], 0
	s_branch .LBB6_1371
.LBB6_1367:
	s_mov_b64 s[2:3], -1
                                        ; implicit-def: $vgpr6_vgpr7
	s_branch .LBB6_1389
.LBB6_1368:
	s_mov_b64 s[2:3], -1
                                        ; implicit-def: $vgpr6_vgpr7
	s_branch .LBB6_1377
.LBB6_1369:
	s_mov_b64 s[2:3], -1
                                        ; implicit-def: $vgpr6_vgpr7
	s_branch .LBB6_1374
.LBB6_1370:
	s_mov_b64 s[2:3], -1
                                        ; implicit-def: $vgpr6_vgpr7
.LBB6_1371:
	s_andn2_b64 vcc, exec, s[2:3]
	s_cbranch_vccnz .LBB6_1373
; %bb.1372:
	global_load_dword v6, v[2:3], off
	s_waitcnt vmcnt(0)
	v_cvt_f64_f32_e32 v[6:7], v6
.LBB6_1373:
	s_mov_b64 s[2:3], 0
.LBB6_1374:
	s_andn2_b64 vcc, exec, s[2:3]
	s_cbranch_vccnz .LBB6_1376
; %bb.1375:
	global_load_dword v6, v[2:3], off
	s_waitcnt vmcnt(0)
	v_cvt_f32_f16_e32 v6, v6
	v_cvt_f64_f32_e32 v[6:7], v6
.LBB6_1376:
	s_mov_b64 s[2:3], 0
.LBB6_1377:
	s_andn2_b64 vcc, exec, s[2:3]
	s_cbranch_vccnz .LBB6_1388
; %bb.1378:
	v_cmp_gt_i16_e32 vcc, 6, v11
	s_cbranch_vccnz .LBB6_1381
; %bb.1379:
	v_cmp_lt_i16_e32 vcc, 6, v11
	s_cbranch_vccz .LBB6_1382
; %bb.1380:
	global_load_dwordx2 v[6:7], v[2:3], off
	s_mov_b64 s[2:3], 0
	s_branch .LBB6_1383
.LBB6_1381:
	s_mov_b64 s[2:3], -1
                                        ; implicit-def: $vgpr6_vgpr7
	s_branch .LBB6_1386
.LBB6_1382:
	s_mov_b64 s[2:3], -1
                                        ; implicit-def: $vgpr6_vgpr7
.LBB6_1383:
	s_andn2_b64 vcc, exec, s[2:3]
	s_cbranch_vccnz .LBB6_1385
; %bb.1384:
	global_load_dword v6, v[2:3], off
	s_waitcnt vmcnt(0)
	v_cvt_f64_f32_e32 v[6:7], v6
.LBB6_1385:
	s_mov_b64 s[2:3], 0
.LBB6_1386:
	s_andn2_b64 vcc, exec, s[2:3]
	s_cbranch_vccnz .LBB6_1388
; %bb.1387:
	global_load_ushort v6, v[2:3], off
	s_waitcnt vmcnt(0)
	v_cvt_f32_f16_e32 v6, v6
	v_cvt_f64_f32_e32 v[6:7], v6
.LBB6_1388:
	s_mov_b64 s[2:3], 0
.LBB6_1389:
	s_andn2_b64 vcc, exec, s[2:3]
	s_cbranch_vccnz .LBB6_1409
; %bb.1390:
	v_cmp_gt_i16_e32 vcc, 2, v11
	s_cbranch_vccnz .LBB6_1394
; %bb.1391:
	v_cmp_gt_i16_e32 vcc, 3, v11
	s_cbranch_vccnz .LBB6_1395
; %bb.1392:
	v_cmp_lt_i16_e32 vcc, 3, v11
	s_cbranch_vccz .LBB6_1396
; %bb.1393:
	global_load_dwordx2 v[6:7], v[2:3], off
	s_mov_b64 s[2:3], 0
	s_waitcnt vmcnt(0)
	v_cvt_f64_i32_e32 v[12:13], v7
	v_cvt_f64_u32_e32 v[6:7], v6
	v_ldexp_f64 v[12:13], v[12:13], 32
	v_add_f64 v[6:7], v[12:13], v[6:7]
	s_branch .LBB6_1397
.LBB6_1394:
	s_mov_b64 s[2:3], -1
                                        ; implicit-def: $vgpr6_vgpr7
	s_branch .LBB6_1403
.LBB6_1395:
	s_mov_b64 s[2:3], -1
                                        ; implicit-def: $vgpr6_vgpr7
	s_branch .LBB6_1400
.LBB6_1396:
	s_mov_b64 s[2:3], -1
                                        ; implicit-def: $vgpr6_vgpr7
.LBB6_1397:
	s_andn2_b64 vcc, exec, s[2:3]
	s_cbranch_vccnz .LBB6_1399
; %bb.1398:
	global_load_dword v6, v[2:3], off
	s_waitcnt vmcnt(0)
	v_cvt_f64_i32_e32 v[6:7], v6
.LBB6_1399:
	s_mov_b64 s[2:3], 0
.LBB6_1400:
	s_andn2_b64 vcc, exec, s[2:3]
	s_cbranch_vccnz .LBB6_1402
; %bb.1401:
	global_load_sshort v6, v[2:3], off
	s_waitcnt vmcnt(0)
	v_cvt_f64_i32_e32 v[6:7], v6
.LBB6_1402:
	s_mov_b64 s[2:3], 0
.LBB6_1403:
	s_andn2_b64 vcc, exec, s[2:3]
	s_cbranch_vccnz .LBB6_1409
; %bb.1404:
	v_cmp_lt_i16_e32 vcc, 0, v11
	s_cbranch_vccz .LBB6_1406
; %bb.1405:
	global_load_sbyte v6, v[2:3], off
	s_mov_b64 s[2:3], 0
	s_waitcnt vmcnt(0)
	v_cvt_f64_i32_e32 v[6:7], v6
	s_branch .LBB6_1407
.LBB6_1406:
	s_mov_b64 s[2:3], -1
                                        ; implicit-def: $vgpr6_vgpr7
.LBB6_1407:
	s_andn2_b64 vcc, exec, s[2:3]
	s_cbranch_vccnz .LBB6_1409
; %bb.1408:
	global_load_ubyte v2, v[2:3], off
	s_waitcnt vmcnt(0)
	v_cvt_f64_u32_e32 v[6:7], v2
.LBB6_1409:
.LBB6_1410:
	v_add_u32_e32 v2, s13, v8
	v_ashrrev_i32_e32 v3, 31, v2
	v_mov_b32_e32 v8, s11
	v_add_co_u32_e32 v2, vcc, s10, v2
	v_addc_co_u32_e32 v3, vcc, v8, v3, vcc
	s_and_b64 vcc, exec, s[0:1]
	s_cbranch_vccnz .LBB6_1417
; %bb.1411:
	v_cmp_lt_i16_e32 vcc, 25, v11
	s_mov_b64 s[2:3], 0
	s_cbranch_vccz .LBB6_1418
; %bb.1412:
	v_cmp_lt_i16_e32 vcc, 28, v11
	s_cbranch_vccz .LBB6_1419
; %bb.1413:
	v_cmp_lt_i16_e32 vcc, 43, v11
	;; [unrolled: 3-line block ×3, first 2 shown]
	s_cbranch_vccz .LBB6_1422
; %bb.1415:
	v_cmp_eq_u16_e32 vcc, 46, v11
	s_mov_b64 s[18:19], 0
	s_cbranch_vccz .LBB6_1423
; %bb.1416:
	global_load_dword v8, v[2:3], off
	s_mov_b64 s[0:1], 0
	s_mov_b64 s[10:11], -1
	s_waitcnt vmcnt(0)
	v_lshlrev_b32_e32 v8, 16, v8
	v_cvt_f64_f32_e32 v[8:9], v8
	s_branch .LBB6_1424
.LBB6_1417:
	s_mov_b64 s[0:1], -1
	s_mov_b64 s[10:11], 0
                                        ; implicit-def: $vgpr8_vgpr9
	s_branch .LBB6_1490
.LBB6_1418:
	s_mov_b64 s[18:19], -1
	s_mov_b64 s[10:11], 0
	s_mov_b64 s[0:1], 0
                                        ; implicit-def: $vgpr8_vgpr9
	s_branch .LBB6_1453
.LBB6_1419:
	s_mov_b64 s[18:19], -1
	s_mov_b64 s[10:11], 0
	s_mov_b64 s[0:1], 0
                                        ; implicit-def: $vgpr8_vgpr9
	s_branch .LBB6_1434
.LBB6_1420:
	s_mov_b64 s[18:19], -1
	s_mov_b64 s[10:11], 0
	s_mov_b64 s[0:1], 0
                                        ; implicit-def: $vgpr8_vgpr9
	s_branch .LBB6_1429
.LBB6_1421:
	s_trap 2
	s_or_b64 s[16:17], s[16:17], exec
                                        ; implicit-def: $vgpr6_vgpr7
	s_cbranch_execz .LBB6_1360
	s_branch .LBB6_1361
.LBB6_1422:
	s_mov_b64 s[18:19], -1
	s_mov_b64 s[10:11], 0
	s_mov_b64 s[0:1], 0
                                        ; implicit-def: $vgpr8_vgpr9
	s_branch .LBB6_1424
.LBB6_1423:
	s_mov_b64 s[0:1], -1
                                        ; implicit-def: $vgpr8_vgpr9
	s_mov_b64 s[10:11], 0
.LBB6_1424:
	s_and_b64 vcc, exec, s[18:19]
	s_cbranch_vccz .LBB6_1428
; %bb.1425:
	v_cmp_eq_u16_e32 vcc, 44, v11
	s_cbranch_vccz .LBB6_1427
; %bb.1426:
	global_load_ubyte v12, v[2:3], off
	s_movk_i32 s10, 0xff
	v_bfrev_b32_e32 v13, 4
	v_mov_b32_e32 v14, 0x7ff80000
	v_bfrev_b32_e32 v15, 28
	s_mov_b64 s[0:1], 0
	s_waitcnt vmcnt(0)
	v_lshlrev_b32_e32 v8, 23, v12
	v_cvt_f64_f32_e32 v[8:9], v8
	v_cmp_ne_u32_e32 vcc, s10, v12
	v_cndmask_b32_e32 v8, v13, v8, vcc
	v_cndmask_b32_e32 v9, v14, v9, vcc
	v_cmp_ne_u32_e32 vcc, 0, v12
	v_cndmask_b32_e32 v9, v15, v9, vcc
	v_cndmask_b32_e32 v8, 0, v8, vcc
	s_mov_b64 s[10:11], -1
	s_branch .LBB6_1428
.LBB6_1427:
	s_mov_b64 s[0:1], -1
                                        ; implicit-def: $vgpr8_vgpr9
.LBB6_1428:
	s_mov_b64 s[18:19], 0
.LBB6_1429:
	s_and_b64 vcc, exec, s[18:19]
	s_cbranch_vccz .LBB6_1433
; %bb.1430:
	v_cmp_eq_u16_e32 vcc, 29, v11
	s_cbranch_vccz .LBB6_1432
; %bb.1431:
	global_load_dwordx2 v[8:9], v[2:3], off
	s_mov_b64 s[0:1], 0
	s_mov_b64 s[10:11], -1
	s_mov_b64 s[18:19], 0
	s_waitcnt vmcnt(0)
	v_cvt_f64_u32_e32 v[12:13], v9
	v_cvt_f64_u32_e32 v[8:9], v8
	v_ldexp_f64 v[12:13], v[12:13], 32
	v_add_f64 v[8:9], v[12:13], v[8:9]
	s_branch .LBB6_1434
.LBB6_1432:
	s_mov_b64 s[0:1], -1
                                        ; implicit-def: $vgpr8_vgpr9
.LBB6_1433:
	s_mov_b64 s[18:19], 0
.LBB6_1434:
	s_and_b64 vcc, exec, s[18:19]
	s_cbranch_vccz .LBB6_1452
; %bb.1435:
	v_cmp_gt_i16_e32 vcc, 27, v11
	s_cbranch_vccnz .LBB6_1438
; %bb.1436:
	v_cmp_lt_i16_e32 vcc, 27, v11
	s_cbranch_vccz .LBB6_1439
; %bb.1437:
	global_load_dword v8, v[2:3], off
	s_mov_b64 s[10:11], 0
	s_waitcnt vmcnt(0)
	v_cvt_f64_u32_e32 v[8:9], v8
	s_branch .LBB6_1440
.LBB6_1438:
	s_mov_b64 s[10:11], -1
                                        ; implicit-def: $vgpr8_vgpr9
	s_branch .LBB6_1443
.LBB6_1439:
	s_mov_b64 s[10:11], -1
                                        ; implicit-def: $vgpr8_vgpr9
.LBB6_1440:
	s_andn2_b64 vcc, exec, s[10:11]
	s_cbranch_vccnz .LBB6_1442
; %bb.1441:
	global_load_ushort v8, v[2:3], off
	s_waitcnt vmcnt(0)
	v_cvt_f64_u32_e32 v[8:9], v8
.LBB6_1442:
	s_mov_b64 s[10:11], 0
.LBB6_1443:
	s_andn2_b64 vcc, exec, s[10:11]
	s_cbranch_vccnz .LBB6_1451
; %bb.1444:
	global_load_ubyte v12, v[2:3], off
	s_movk_i32 s10, 0x7f
                                        ; implicit-def: $sgpr18_sgpr19
	s_waitcnt vmcnt(0)
	v_cmp_lt_i16_e32 vcc, s10, v12
	s_mov_b64 s[10:11], 0
	s_and_saveexec_b64 s[20:21], vcc
	s_xor_b64 s[20:21], exec, s[20:21]
	s_cbranch_execz .LBB6_1465
; %bb.1445:
	s_movk_i32 s10, 0x80
	v_cmp_eq_u16_e32 vcc, s10, v12
	s_mov_b64 s[22:23], -1
                                        ; implicit-def: $sgpr18_sgpr19
	s_and_saveexec_b64 s[10:11], vcc
; %bb.1446:
	s_mov_b32 s19, 0x7ff80000
	s_brev_b32 s18, 4
	s_xor_b64 s[22:23], exec, -1
; %bb.1447:
	s_or_b64 exec, exec, s[10:11]
	s_and_b64 s[10:11], s[22:23], exec
	s_or_saveexec_b64 s[20:21], s[20:21]
	v_pk_mov_b32 v[8:9], s[18:19], s[18:19] op_sel:[0,1]
	s_xor_b64 exec, exec, s[20:21]
	s_cbranch_execnz .LBB6_1466
.LBB6_1448:
	s_or_b64 exec, exec, s[20:21]
	s_and_saveexec_b64 s[18:19], s[10:11]
	s_cbranch_execz .LBB6_1450
.LBB6_1449:
	v_and_b32_e32 v9, 0xffff, v12
	v_lshlrev_b32_e32 v8, 24, v12
	v_and_b32_e32 v12, 7, v9
	v_ffbh_u32_e32 v14, v12
	v_min_u32_e32 v14, 32, v14
	v_subrev_u32_e32 v15, 28, v14
	v_bfe_u32 v13, v9, 3, 4
	v_lshlrev_b32_e32 v9, v15, v9
	v_sub_u32_e32 v14, 29, v14
	v_and_b32_e32 v9, 7, v9
	v_cmp_eq_u32_e32 vcc, 0, v13
	v_cndmask_b32_e32 v13, v13, v14, vcc
	v_cndmask_b32_e32 v9, v12, v9, vcc
	v_mov_b32_e32 v12, 0x3b800000
	v_lshlrev_b32_e32 v9, 20, v9
	v_and_b32_e32 v8, 0x80000000, v8
	v_lshl_add_u32 v12, v13, 23, v12
	v_or3_b32 v8, v8, v12, v9
	v_cvt_f64_f32_e32 v[8:9], v8
.LBB6_1450:
	s_or_b64 exec, exec, s[18:19]
.LBB6_1451:
	s_mov_b64 s[10:11], -1
.LBB6_1452:
	s_mov_b64 s[18:19], 0
.LBB6_1453:
	s_and_b64 vcc, exec, s[18:19]
	s_cbranch_vccz .LBB6_1486
; %bb.1454:
	v_cmp_lt_i16_e32 vcc, 22, v11
	s_cbranch_vccz .LBB6_1464
; %bb.1455:
	v_cmp_gt_i16_e32 vcc, 24, v11
	s_cbranch_vccnz .LBB6_1467
; %bb.1456:
	v_cmp_lt_i16_e32 vcc, 24, v11
	s_cbranch_vccz .LBB6_1468
; %bb.1457:
	global_load_ubyte v12, v[2:3], off
	s_movk_i32 s2, 0x7f
                                        ; implicit-def: $sgpr10_sgpr11
	s_waitcnt vmcnt(0)
	v_cmp_lt_i16_e32 vcc, s2, v12
	s_mov_b64 s[2:3], 0
	s_and_saveexec_b64 s[18:19], vcc
	s_xor_b64 s[18:19], exec, s[18:19]
	s_cbranch_execz .LBB6_1480
; %bb.1458:
	s_movk_i32 s2, 0x80
	v_cmp_eq_u16_e32 vcc, s2, v12
	s_mov_b64 s[20:21], -1
                                        ; implicit-def: $sgpr10_sgpr11
	s_and_saveexec_b64 s[2:3], vcc
; %bb.1459:
	s_mov_b32 s11, 0x7ff80000
	s_brev_b32 s10, 4
	s_xor_b64 s[20:21], exec, -1
; %bb.1460:
	s_or_b64 exec, exec, s[2:3]
	s_and_b64 s[2:3], s[20:21], exec
	s_or_saveexec_b64 s[18:19], s[18:19]
	v_pk_mov_b32 v[8:9], s[10:11], s[10:11] op_sel:[0,1]
	s_xor_b64 exec, exec, s[18:19]
	s_cbranch_execnz .LBB6_1481
.LBB6_1461:
	s_or_b64 exec, exec, s[18:19]
	s_and_saveexec_b64 s[10:11], s[2:3]
	s_cbranch_execz .LBB6_1463
.LBB6_1462:
	v_and_b32_e32 v9, 0xffff, v12
	v_lshlrev_b32_e32 v8, 24, v12
	v_and_b32_e32 v12, 3, v9
	v_ffbh_u32_e32 v14, v12
	v_min_u32_e32 v14, 32, v14
	v_subrev_u32_e32 v15, 29, v14
	v_bfe_u32 v13, v9, 2, 5
	v_lshlrev_b32_e32 v9, v15, v9
	v_sub_u32_e32 v14, 30, v14
	v_and_b32_e32 v9, 3, v9
	v_cmp_eq_u32_e32 vcc, 0, v13
	v_cndmask_b32_e32 v13, v13, v14, vcc
	v_cndmask_b32_e32 v9, v12, v9, vcc
	v_mov_b32_e32 v12, 0x37800000
	v_lshlrev_b32_e32 v9, 21, v9
	v_and_b32_e32 v8, 0x80000000, v8
	v_lshl_add_u32 v12, v13, 23, v12
	v_or3_b32 v8, v8, v12, v9
	v_cvt_f64_f32_e32 v[8:9], v8
.LBB6_1463:
	s_or_b64 exec, exec, s[10:11]
	s_mov_b64 s[2:3], 0
	s_branch .LBB6_1469
.LBB6_1464:
	s_mov_b64 s[2:3], -1
                                        ; implicit-def: $vgpr8_vgpr9
	s_branch .LBB6_1475
.LBB6_1465:
	s_or_saveexec_b64 s[20:21], s[20:21]
	v_pk_mov_b32 v[8:9], s[18:19], s[18:19] op_sel:[0,1]
	s_xor_b64 exec, exec, s[20:21]
	s_cbranch_execz .LBB6_1448
.LBB6_1466:
	v_cmp_ne_u16_e32 vcc, 0, v12
	s_andn2_b64 s[10:11], s[10:11], exec
	s_and_b64 s[18:19], vcc, exec
	v_pk_mov_b32 v[8:9], 0, 0
	s_or_b64 s[10:11], s[10:11], s[18:19]
	s_or_b64 exec, exec, s[20:21]
	s_and_saveexec_b64 s[18:19], s[10:11]
	s_cbranch_execnz .LBB6_1449
	s_branch .LBB6_1450
.LBB6_1467:
	s_mov_b64 s[2:3], -1
                                        ; implicit-def: $vgpr8_vgpr9
	s_branch .LBB6_1472
.LBB6_1468:
	s_mov_b64 s[2:3], -1
                                        ; implicit-def: $vgpr8_vgpr9
.LBB6_1469:
	s_and_b64 vcc, exec, s[2:3]
	s_cbranch_vccz .LBB6_1471
; %bb.1470:
	global_load_ubyte v8, v[2:3], off
	s_mov_b32 s2, 0x7f800000
	s_waitcnt vmcnt(0)
	v_lshlrev_b32_e32 v8, 24, v8
	v_and_b32_e32 v9, 0x7f000000, v8
	v_ffbh_u32_e32 v12, v9
	v_min_u32_e32 v12, 32, v12
	v_sub_u32_e64 v12, v12, 4 clamp
	v_lshlrev_b32_e32 v14, v12, v9
	v_lshlrev_b32_e32 v12, 23, v12
	v_lshrrev_b32_e32 v14, 4, v14
	v_add_u32_e32 v13, 0x1000000, v9
	v_sub_u32_e32 v12, v14, v12
	v_ashrrev_i32_e32 v13, 8, v13
	v_add_u32_e32 v12, 0x3c000000, v12
	v_and_or_b32 v12, v13, s2, v12
	v_cmp_ne_u32_e32 vcc, 0, v9
	v_cndmask_b32_e32 v9, 0, v12, vcc
	s_brev_b32 s2, 1
	v_and_or_b32 v8, v8, s2, v9
	v_cvt_f64_f32_e32 v[8:9], v8
.LBB6_1471:
	s_mov_b64 s[2:3], 0
.LBB6_1472:
	s_andn2_b64 vcc, exec, s[2:3]
	s_cbranch_vccnz .LBB6_1474
; %bb.1473:
	global_load_ubyte v8, v[2:3], off
	s_movk_i32 s2, 0x7f00
	s_brev_b32 s3, 16
	s_waitcnt vmcnt(0)
	v_lshlrev_b16_e32 v9, 8, v8
	v_lshlrev_b32_e32 v8, 25, v8
	v_lshrrev_b32_e32 v12, 4, v8
	v_and_or_b32 v13, v9, s2, 0.5
	v_or_b32_e32 v12, 0x70000000, v12
	v_add_f32_e32 v13, -0.5, v13
	v_mul_f32_e32 v12, 0x7800000, v12
	v_cmp_gt_u32_e32 vcc, s3, v8
	v_bfe_i32 v9, v9, 0, 16
	v_cndmask_b32_e32 v8, v12, v13, vcc
	s_brev_b32 s2, 1
	v_and_or_b32 v8, v9, s2, v8
	v_cvt_f64_f32_e32 v[8:9], v8
.LBB6_1474:
	s_mov_b64 s[2:3], 0
	s_mov_b64 s[10:11], -1
.LBB6_1475:
	s_andn2_b64 vcc, exec, s[2:3]
	s_mov_b64 s[2:3], 0
	s_cbranch_vccnz .LBB6_1486
; %bb.1476:
	v_cmp_lt_i16_e32 vcc, 14, v11
	s_cbranch_vccz .LBB6_1479
; %bb.1477:
	v_cmp_eq_u16_e32 vcc, 15, v11
	s_cbranch_vccz .LBB6_1482
; %bb.1478:
	global_load_ushort v8, v[2:3], off
	s_mov_b64 s[0:1], 0
	s_mov_b64 s[10:11], -1
	s_waitcnt vmcnt(0)
	v_lshlrev_b32_e32 v8, 16, v8
	v_cvt_f64_f32_e32 v[8:9], v8
	s_branch .LBB6_1483
.LBB6_1479:
	s_mov_b64 s[18:19], -1
                                        ; implicit-def: $vgpr8_vgpr9
	s_branch .LBB6_1484
.LBB6_1480:
	s_or_saveexec_b64 s[18:19], s[18:19]
	v_pk_mov_b32 v[8:9], s[10:11], s[10:11] op_sel:[0,1]
	s_xor_b64 exec, exec, s[18:19]
	s_cbranch_execz .LBB6_1461
.LBB6_1481:
	v_cmp_ne_u16_e32 vcc, 0, v12
	s_andn2_b64 s[2:3], s[2:3], exec
	s_and_b64 s[10:11], vcc, exec
	v_pk_mov_b32 v[8:9], 0, 0
	s_or_b64 s[2:3], s[2:3], s[10:11]
	s_or_b64 exec, exec, s[18:19]
	s_and_saveexec_b64 s[10:11], s[2:3]
	s_cbranch_execnz .LBB6_1462
	s_branch .LBB6_1463
.LBB6_1482:
	s_mov_b64 s[0:1], -1
                                        ; implicit-def: $vgpr8_vgpr9
.LBB6_1483:
	s_mov_b64 s[18:19], 0
.LBB6_1484:
	s_and_b64 vcc, exec, s[18:19]
	s_cbranch_vccz .LBB6_1486
; %bb.1485:
	v_cmp_ne_u16_e64 s[0:1], 11, v11
	s_mov_b64 s[2:3], -1
                                        ; implicit-def: $vgpr8_vgpr9
.LBB6_1486:
	s_and_b64 vcc, exec, s[0:1]
	s_cbranch_vccnz .LBB6_1550
; %bb.1487:
	s_andn2_b64 vcc, exec, s[2:3]
	s_cbranch_vccnz .LBB6_1489
.LBB6_1488:
	global_load_ubyte v9, v[2:3], off
	v_mov_b32_e32 v12, 0x3ff00000
	v_mov_b32_e32 v8, 0
	s_mov_b64 s[10:11], -1
	s_waitcnt vmcnt(0)
	v_cmp_ne_u16_e32 vcc, 0, v9
	v_cndmask_b32_e32 v9, 0, v12, vcc
.LBB6_1489:
	s_mov_b64 s[0:1], 0
.LBB6_1490:
	s_and_b64 vcc, exec, s[0:1]
	s_cbranch_vccz .LBB6_1539
; %bb.1491:
	v_cmp_gt_i16_e32 vcc, 5, v11
	s_cbranch_vccnz .LBB6_1496
; %bb.1492:
	v_cmp_gt_i16_e32 vcc, 8, v11
	s_cbranch_vccnz .LBB6_1497
	;; [unrolled: 3-line block ×3, first 2 shown]
; %bb.1494:
	v_cmp_lt_i16_e32 vcc, 9, v11
	s_cbranch_vccz .LBB6_1499
; %bb.1495:
	global_load_dwordx2 v[8:9], v[2:3], off
	s_mov_b64 s[0:1], 0
	s_branch .LBB6_1500
.LBB6_1496:
	s_mov_b64 s[0:1], -1
                                        ; implicit-def: $vgpr8_vgpr9
	s_branch .LBB6_1518
.LBB6_1497:
	s_mov_b64 s[0:1], -1
                                        ; implicit-def: $vgpr8_vgpr9
	s_branch .LBB6_1506
.LBB6_1498:
	s_mov_b64 s[0:1], -1
                                        ; implicit-def: $vgpr8_vgpr9
	s_branch .LBB6_1503
.LBB6_1499:
	s_mov_b64 s[0:1], -1
                                        ; implicit-def: $vgpr8_vgpr9
.LBB6_1500:
	s_andn2_b64 vcc, exec, s[0:1]
	s_cbranch_vccnz .LBB6_1502
; %bb.1501:
	global_load_dword v8, v[2:3], off
	s_waitcnt vmcnt(0)
	v_cvt_f64_f32_e32 v[8:9], v8
.LBB6_1502:
	s_mov_b64 s[0:1], 0
.LBB6_1503:
	s_andn2_b64 vcc, exec, s[0:1]
	s_cbranch_vccnz .LBB6_1505
; %bb.1504:
	global_load_dword v8, v[2:3], off
	s_waitcnt vmcnt(0)
	v_cvt_f32_f16_e32 v8, v8
	v_cvt_f64_f32_e32 v[8:9], v8
.LBB6_1505:
	s_mov_b64 s[0:1], 0
.LBB6_1506:
	s_andn2_b64 vcc, exec, s[0:1]
	s_cbranch_vccnz .LBB6_1517
; %bb.1507:
	v_cmp_gt_i16_e32 vcc, 6, v11
	s_cbranch_vccnz .LBB6_1510
; %bb.1508:
	v_cmp_lt_i16_e32 vcc, 6, v11
	s_cbranch_vccz .LBB6_1511
; %bb.1509:
	global_load_dwordx2 v[8:9], v[2:3], off
	s_mov_b64 s[0:1], 0
	s_branch .LBB6_1512
.LBB6_1510:
	s_mov_b64 s[0:1], -1
                                        ; implicit-def: $vgpr8_vgpr9
	s_branch .LBB6_1515
.LBB6_1511:
	s_mov_b64 s[0:1], -1
                                        ; implicit-def: $vgpr8_vgpr9
.LBB6_1512:
	s_andn2_b64 vcc, exec, s[0:1]
	s_cbranch_vccnz .LBB6_1514
; %bb.1513:
	global_load_dword v8, v[2:3], off
	s_waitcnt vmcnt(0)
	v_cvt_f64_f32_e32 v[8:9], v8
.LBB6_1514:
	s_mov_b64 s[0:1], 0
.LBB6_1515:
	s_andn2_b64 vcc, exec, s[0:1]
	s_cbranch_vccnz .LBB6_1517
; %bb.1516:
	global_load_ushort v8, v[2:3], off
	s_waitcnt vmcnt(0)
	v_cvt_f32_f16_e32 v8, v8
	v_cvt_f64_f32_e32 v[8:9], v8
.LBB6_1517:
	s_mov_b64 s[0:1], 0
.LBB6_1518:
	s_andn2_b64 vcc, exec, s[0:1]
	s_cbranch_vccnz .LBB6_1538
; %bb.1519:
	v_cmp_gt_i16_e32 vcc, 2, v11
	s_cbranch_vccnz .LBB6_1523
; %bb.1520:
	v_cmp_gt_i16_e32 vcc, 3, v11
	s_cbranch_vccnz .LBB6_1524
; %bb.1521:
	v_cmp_lt_i16_e32 vcc, 3, v11
	s_cbranch_vccz .LBB6_1525
; %bb.1522:
	global_load_dwordx2 v[8:9], v[2:3], off
	s_mov_b64 s[0:1], 0
	s_waitcnt vmcnt(0)
	v_cvt_f64_i32_e32 v[12:13], v9
	v_cvt_f64_u32_e32 v[8:9], v8
	v_ldexp_f64 v[12:13], v[12:13], 32
	v_add_f64 v[8:9], v[12:13], v[8:9]
	s_branch .LBB6_1526
.LBB6_1523:
	s_mov_b64 s[0:1], -1
                                        ; implicit-def: $vgpr8_vgpr9
	s_branch .LBB6_1532
.LBB6_1524:
	s_mov_b64 s[0:1], -1
                                        ; implicit-def: $vgpr8_vgpr9
	s_branch .LBB6_1529
.LBB6_1525:
	s_mov_b64 s[0:1], -1
                                        ; implicit-def: $vgpr8_vgpr9
.LBB6_1526:
	s_andn2_b64 vcc, exec, s[0:1]
	s_cbranch_vccnz .LBB6_1528
; %bb.1527:
	global_load_dword v8, v[2:3], off
	s_waitcnt vmcnt(0)
	v_cvt_f64_i32_e32 v[8:9], v8
.LBB6_1528:
	s_mov_b64 s[0:1], 0
.LBB6_1529:
	s_andn2_b64 vcc, exec, s[0:1]
	s_cbranch_vccnz .LBB6_1531
; %bb.1530:
	global_load_sshort v8, v[2:3], off
	s_waitcnt vmcnt(0)
	v_cvt_f64_i32_e32 v[8:9], v8
.LBB6_1531:
	s_mov_b64 s[0:1], 0
.LBB6_1532:
	s_andn2_b64 vcc, exec, s[0:1]
	s_cbranch_vccnz .LBB6_1538
; %bb.1533:
	v_cmp_lt_i16_e32 vcc, 0, v11
	s_cbranch_vccz .LBB6_1535
; %bb.1534:
	global_load_sbyte v8, v[2:3], off
	s_mov_b64 s[0:1], 0
	s_waitcnt vmcnt(0)
	v_cvt_f64_i32_e32 v[8:9], v8
	s_branch .LBB6_1536
.LBB6_1535:
	s_mov_b64 s[0:1], -1
                                        ; implicit-def: $vgpr8_vgpr9
.LBB6_1536:
	s_andn2_b64 vcc, exec, s[0:1]
	s_cbranch_vccnz .LBB6_1538
; %bb.1537:
	global_load_ubyte v2, v[2:3], off
	s_waitcnt vmcnt(0)
	v_cvt_f64_u32_e32 v[8:9], v2
.LBB6_1538:
	s_mov_b64 s[10:11], -1
.LBB6_1539:
	s_andn2_b64 vcc, exec, s[10:11]
	s_cbranch_vccnz .LBB6_1993
; %bb.1540:
	s_waitcnt vmcnt(0)
	v_cmp_nge_f64_e64 s[0:1], v[0:1], -s[14:15]
	v_cmp_nge_f64_e32 vcc, s[14:15], v[0:1]
	s_or_b64 vcc, s[0:1], vcc
	v_mul_lo_u32 v12, s12, v10
	v_cndmask_b32_e32 v1, 0, v1, vcc
	v_cndmask_b32_e32 v0, 0, v0, vcc
	v_ashrrev_i32_e32 v2, 31, v12
	v_mov_b32_e32 v3, s9
	v_add_co_u32_e32 v10, vcc, s8, v12
	v_addc_co_u32_e32 v11, vcc, v3, v2, vcc
	v_mov_b32_e32 v2, 11
	v_cmp_lt_i16_sdwa s[0:1], s33, v2 src0_sel:BYTE_0 src1_sel:DWORD
	s_and_b64 vcc, exec, s[0:1]
	s_cbranch_vccnz .LBB6_1547
; %bb.1541:
	v_mov_b32_e32 v2, 25
	v_cmp_gt_i16_sdwa s[0:1], s33, v2 src0_sel:BYTE_0 src1_sel:DWORD
	s_mov_b64 s[18:19], -1
	s_mov_b64 s[2:3], 0
	s_and_b64 vcc, exec, s[0:1]
	s_mov_b64 s[10:11], 0
	s_mov_b64 s[0:1], 0
	s_cbranch_vccz .LBB6_1579
; %bb.1542:
	v_mov_b32_e32 v2, 28
	v_cmp_gt_i16_sdwa s[0:1], s33, v2 src0_sel:BYTE_0 src1_sel:DWORD
	s_and_b64 vcc, exec, s[0:1]
	s_cbranch_vccz .LBB6_1548
; %bb.1543:
	v_mov_b32_e32 v2, 43
	v_cmp_gt_i16_sdwa s[0:1], s33, v2 src0_sel:BYTE_0 src1_sel:DWORD
	s_and_b64 vcc, exec, s[0:1]
	;; [unrolled: 5-line block ×3, first 2 shown]
	s_cbranch_vccz .LBB6_1551
; %bb.1545:
	v_mov_b32_e32 v2, 46
	v_cmp_eq_u16_sdwa s[10:11], s33, v2 src0_sel:BYTE_0 src1_sel:DWORD
	s_mov_b64 s[0:1], -1
	s_mov_b64 s[18:19], 0
	s_and_b64 vcc, exec, s[10:11]
	s_mov_b64 s[10:11], 0
	s_cbranch_vccz .LBB6_1552
; %bb.1546:
	v_cvt_f32_f64_e32 v2, v[0:1]
	v_bfe_u32 v3, v2, 16, 1
	s_movk_i32 s0, 0x7fff
	v_add3_u32 v3, v2, v3, s0
	v_lshrrev_b32_e32 v3, 16, v3
	v_mov_b32_e32 v13, 0x7fc0
	v_cmp_o_f32_e32 vcc, v2, v2
	v_cndmask_b32_e32 v2, v13, v3, vcc
	global_store_dword v[10:11], v2, off
	s_mov_b64 s[0:1], 0
	s_mov_b64 s[10:11], -1
	s_branch .LBB6_1552
.LBB6_1547:
	s_mov_b64 s[0:1], -1
	s_mov_b64 s[10:11], 0
	s_branch .LBB6_1623
.LBB6_1548:
	s_mov_b64 s[0:1], 0
	s_branch .LBB6_1562
.LBB6_1549:
	s_mov_b64 s[0:1], 0
	s_branch .LBB6_1558
.LBB6_1550:
	s_trap 2
	s_or_b64 s[16:17], s[16:17], exec
                                        ; implicit-def: $vgpr8_vgpr9
	s_cbranch_execz .LBB6_1488
	s_branch .LBB6_1489
.LBB6_1551:
	s_mov_b64 s[0:1], 0
.LBB6_1552:
	s_and_b64 vcc, exec, s[18:19]
	s_cbranch_vccz .LBB6_1557
; %bb.1553:
	v_mov_b32_e32 v2, 44
	v_cmp_eq_u16_sdwa s[18:19], s33, v2 src0_sel:BYTE_0 src1_sel:DWORD
	s_mov_b64 s[0:1], -1
	s_and_b64 vcc, exec, s[18:19]
	s_cbranch_vccz .LBB6_1557
; %bb.1554:
	v_cvt_f32_f64_e32 v2, v[0:1]
	v_bfe_u32 v3, v2, 23, 8
	s_movk_i32 s0, 0xff
	v_cmp_ne_u32_e32 vcc, s0, v3
	v_mov_b32_e32 v13, 0xff
	s_and_saveexec_b64 s[10:11], vcc
; %bb.1555:
	s_mov_b32 s0, 0x3fffff
	v_lshrrev_b32_e32 v13, 23, v2
	v_and_b32_e32 v14, 0x400000, v2
	v_and_or_b32 v2, v2, s0, v3
	v_cmp_ne_u32_e32 vcc, 0, v14
	v_cmp_ne_u32_e64 s[0:1], 0, v2
	s_and_b64 s[0:1], vcc, s[0:1]
	v_cndmask_b32_e64 v2, 0, 1, s[0:1]
	v_add_u32_e32 v13, v13, v2
; %bb.1556:
	s_or_b64 exec, exec, s[10:11]
	s_mov_b64 s[0:1], 0
	s_mov_b64 s[10:11], -1
	global_store_byte v[10:11], v13, off
.LBB6_1557:
	s_mov_b64 s[18:19], 0
.LBB6_1558:
	s_and_b64 vcc, exec, s[18:19]
	s_cbranch_vccz .LBB6_1561
; %bb.1559:
	v_mov_b32_e32 v2, 29
	v_cmp_eq_u16_sdwa s[18:19], s33, v2 src0_sel:BYTE_0 src1_sel:DWORD
	s_mov_b64 s[0:1], -1
	s_and_b64 vcc, exec, s[18:19]
	s_cbranch_vccz .LBB6_1561
; %bb.1560:
	v_trunc_f64_e32 v[2:3], v[0:1]
	s_movk_i32 s0, 0xffe0
	v_ldexp_f64 v[14:15], v[2:3], s0
	v_floor_f64_e32 v[14:15], v[14:15]
	v_fmac_f64_e32 v[2:3], 0xc1f00000, v[14:15]
	v_cvt_u32_f64_e32 v17, v[14:15]
	v_cvt_u32_f64_e32 v16, v[2:3]
	global_store_dwordx2 v[10:11], v[16:17], off
	s_mov_b64 s[0:1], 0
	s_mov_b64 s[10:11], -1
.LBB6_1561:
	s_mov_b64 s[18:19], 0
.LBB6_1562:
	s_and_b64 vcc, exec, s[18:19]
	s_cbranch_vccz .LBB6_1578
; %bb.1563:
	v_mov_b32_e32 v2, 27
	v_cmp_lt_i16_sdwa s[18:19], s33, v2 src0_sel:BYTE_0 src1_sel:DWORD
	s_mov_b64 s[10:11], -1
	s_and_b64 vcc, exec, s[18:19]
	s_cbranch_vccnz .LBB6_1569
; %bb.1564:
	v_cmp_gt_i16_sdwa s[18:19], s33, v2 src0_sel:BYTE_0 src1_sel:DWORD
	s_and_b64 vcc, exec, s[18:19]
	v_cvt_u32_f64_e32 v2, v[0:1]
	s_cbranch_vccz .LBB6_1566
; %bb.1565:
	s_mov_b64 s[10:11], 0
	global_store_dword v[10:11], v2, off
.LBB6_1566:
	s_andn2_b64 vcc, exec, s[10:11]
	s_cbranch_vccnz .LBB6_1568
; %bb.1567:
	global_store_short v[10:11], v2, off
.LBB6_1568:
	s_mov_b64 s[10:11], 0
.LBB6_1569:
	s_andn2_b64 vcc, exec, s[10:11]
	s_cbranch_vccnz .LBB6_1577
; %bb.1570:
	v_cvt_f32_f64_e32 v2, v[0:1]
	v_and_b32_e32 v3, 0x7fffffff, v2
	s_mov_b32 s10, 0x43800000
	v_cmp_gt_u32_e32 vcc, s10, v3
	v_mov_b32_e32 v13, 0x80
	s_and_saveexec_b64 s[10:11], vcc
	s_cbranch_execz .LBB6_1576
; %bb.1571:
	s_mov_b32 s13, 0x3bffffff
	v_cmp_lt_u32_e32 vcc, s13, v3
	s_mov_b64 s[18:19], 0
                                        ; implicit-def: $vgpr3
	s_and_saveexec_b64 s[20:21], vcc
	s_xor_b64 s[20:21], exec, s[20:21]
	s_cbranch_execz .LBB6_1672
; %bb.1572:
	v_bfe_u32 v3, v2, 20, 1
	s_mov_b32 s13, 0x487ffff
	v_add3_u32 v3, v2, v3, s13
	s_mov_b64 s[18:19], exec
	v_lshrrev_b32_e32 v3, 20, v3
	s_or_saveexec_b64 s[20:21], s[20:21]
                                        ; implicit-def: $sgpr13
	s_xor_b64 exec, exec, s[20:21]
	s_cbranch_execnz .LBB6_1673
.LBB6_1573:
	s_or_b64 exec, exec, s[20:21]
	v_mov_b32_e32 v13, s13
	s_and_saveexec_b64 s[20:21], s[18:19]
.LBB6_1574:
	v_lshrrev_b32_e32 v2, 24, v2
	s_movk_i32 s13, 0x80
	v_and_or_b32 v13, v2, s13, v3
.LBB6_1575:
	s_or_b64 exec, exec, s[20:21]
.LBB6_1576:
	s_or_b64 exec, exec, s[10:11]
	global_store_byte v[10:11], v13, off
.LBB6_1577:
	s_mov_b64 s[10:11], -1
.LBB6_1578:
	s_mov_b64 s[18:19], 0
.LBB6_1579:
	s_and_b64 vcc, exec, s[18:19]
	s_cbranch_vccz .LBB6_1619
; %bb.1580:
	v_mov_b32_e32 v2, 22
	v_cmp_gt_i16_sdwa s[18:19], s33, v2 src0_sel:BYTE_0 src1_sel:DWORD
	s_mov_b64 s[2:3], -1
	s_and_b64 vcc, exec, s[18:19]
	s_cbranch_vccz .LBB6_1612
; %bb.1581:
	v_mov_b32_e32 v2, 24
	v_cmp_lt_i16_sdwa s[10:11], s33, v2 src0_sel:BYTE_0 src1_sel:DWORD
	s_and_b64 vcc, exec, s[10:11]
	s_cbranch_vccnz .LBB6_1601
; %bb.1582:
	v_cmp_gt_i16_sdwa s[10:11], s33, v2 src0_sel:BYTE_0 src1_sel:DWORD
	s_and_b64 vcc, exec, s[10:11]
	s_cbranch_vccz .LBB6_1590
; %bb.1583:
	v_cvt_f32_f64_e32 v2, v[0:1]
	v_and_b32_e32 v3, 0x7fffffff, v2
	s_mov_b32 s2, 0x47800000
	v_cmp_gt_u32_e32 vcc, s2, v3
	v_mov_b32_e32 v13, 0x80
	s_and_saveexec_b64 s[2:3], vcc
	s_cbranch_execz .LBB6_1589
; %bb.1584:
	s_mov_b32 s10, 0x37ffffff
	v_cmp_lt_u32_e32 vcc, s10, v3
	s_mov_b64 s[10:11], 0
                                        ; implicit-def: $vgpr3
	s_and_saveexec_b64 s[18:19], vcc
	s_xor_b64 s[18:19], exec, s[18:19]
	s_cbranch_execz .LBB6_1676
; %bb.1585:
	v_bfe_u32 v3, v2, 21, 1
	s_mov_b32 s13, 0x88fffff
	v_add3_u32 v3, v2, v3, s13
	s_mov_b64 s[10:11], exec
	v_lshrrev_b32_e32 v3, 21, v3
	s_or_saveexec_b64 s[18:19], s[18:19]
                                        ; implicit-def: $sgpr13
	s_xor_b64 exec, exec, s[18:19]
	s_cbranch_execnz .LBB6_1677
.LBB6_1586:
	s_or_b64 exec, exec, s[18:19]
	v_mov_b32_e32 v13, s13
	s_and_saveexec_b64 s[18:19], s[10:11]
.LBB6_1587:
	v_lshrrev_b32_e32 v2, 24, v2
	s_movk_i32 s10, 0x80
	v_and_or_b32 v13, v2, s10, v3
.LBB6_1588:
	s_or_b64 exec, exec, s[18:19]
.LBB6_1589:
	s_or_b64 exec, exec, s[2:3]
	s_mov_b64 s[2:3], 0
	global_store_byte v[10:11], v13, off
.LBB6_1590:
	s_and_b64 vcc, exec, s[2:3]
	s_cbranch_vccz .LBB6_1600
; %bb.1591:
	v_cvt_f32_f64_e32 v2, v[0:1]
	v_and_b32_e32 v13, 0x7fffffff, v2
	s_mov_b32 s2, 0x43f00000
	v_cmp_gt_u32_e32 vcc, s2, v13
                                        ; implicit-def: $vgpr3
	s_and_saveexec_b64 s[2:3], vcc
	s_xor_b64 s[2:3], exec, s[2:3]
	s_cbranch_execz .LBB6_1597
; %bb.1592:
	s_mov_b32 s10, 0x3c7fffff
	v_cmp_lt_u32_e32 vcc, s10, v13
                                        ; implicit-def: $vgpr3
	s_and_saveexec_b64 s[10:11], vcc
	s_xor_b64 s[10:11], exec, s[10:11]
; %bb.1593:
	v_bfe_u32 v3, v2, 20, 1
	s_mov_b32 s13, 0x407ffff
	v_add3_u32 v3, v2, v3, s13
	v_lshrrev_b32_e32 v13, 20, v3
	v_and_b32_e32 v3, 0xff00000, v3
	s_mov_b32 s13, 0x7f00000
	v_mov_b32_e32 v14, 0x7e
	v_cmp_ne_u32_e32 vcc, s13, v3
	v_cndmask_b32_e32 v3, v14, v13, vcc
; %bb.1594:
	s_andn2_saveexec_b64 s[10:11], s[10:11]
; %bb.1595:
	s_mov_b32 s13, 0x46800000
	v_add_f32_e64 v3, |v2|, s13
; %bb.1596:
	s_or_b64 exec, exec, s[10:11]
                                        ; implicit-def: $vgpr13
.LBB6_1597:
	s_andn2_saveexec_b64 s[2:3], s[2:3]
; %bb.1598:
	s_mov_b32 s10, 0x7f800000
	v_mov_b32_e32 v3, 0x7e
	v_mov_b32_e32 v14, 0x7f
	v_cmp_lt_u32_e32 vcc, s10, v13
	v_cndmask_b32_e32 v3, v3, v14, vcc
; %bb.1599:
	s_or_b64 exec, exec, s[2:3]
	v_lshrrev_b32_e32 v2, 24, v2
	s_movk_i32 s2, 0x80
	v_and_or_b32 v2, v2, s2, v3
	global_store_byte v[10:11], v2, off
.LBB6_1600:
	s_mov_b64 s[2:3], 0
.LBB6_1601:
	s_andn2_b64 vcc, exec, s[2:3]
	s_cbranch_vccnz .LBB6_1611
; %bb.1602:
	v_cvt_f32_f64_e32 v2, v[0:1]
	v_and_b32_e32 v13, 0x7fffffff, v2
	s_mov_b32 s2, 0x47800000
	v_cmp_gt_u32_e32 vcc, s2, v13
                                        ; implicit-def: $vgpr3
	s_and_saveexec_b64 s[2:3], vcc
	s_xor_b64 s[2:3], exec, s[2:3]
	s_cbranch_execz .LBB6_1608
; %bb.1603:
	s_mov_b32 s10, 0x387fffff
	v_cmp_lt_u32_e32 vcc, s10, v13
                                        ; implicit-def: $vgpr3
	s_and_saveexec_b64 s[10:11], vcc
	s_xor_b64 s[10:11], exec, s[10:11]
; %bb.1604:
	v_bfe_u32 v3, v2, 21, 1
	s_mov_b32 s13, 0x80fffff
	v_add3_u32 v3, v2, v3, s13
	v_lshrrev_b32_e32 v3, 21, v3
; %bb.1605:
	s_andn2_saveexec_b64 s[10:11], s[10:11]
; %bb.1606:
	s_mov_b32 s13, 0x43000000
	v_add_f32_e64 v3, |v2|, s13
; %bb.1607:
	s_or_b64 exec, exec, s[10:11]
                                        ; implicit-def: $vgpr13
.LBB6_1608:
	s_andn2_saveexec_b64 s[2:3], s[2:3]
; %bb.1609:
	s_mov_b32 s10, 0x7f800000
	v_mov_b32_e32 v3, 0x7c
	v_mov_b32_e32 v14, 0x7f
	v_cmp_lt_u32_e32 vcc, s10, v13
	v_cndmask_b32_e32 v3, v3, v14, vcc
; %bb.1610:
	s_or_b64 exec, exec, s[2:3]
	v_lshrrev_b32_e32 v2, 24, v2
	s_movk_i32 s2, 0x80
	v_and_or_b32 v2, v2, s2, v3
	global_store_byte v[10:11], v2, off
.LBB6_1611:
	s_mov_b64 s[2:3], 0
	s_mov_b64 s[10:11], -1
.LBB6_1612:
	s_andn2_b64 vcc, exec, s[2:3]
	s_mov_b64 s[2:3], 0
	s_cbranch_vccnz .LBB6_1619
; %bb.1613:
	v_mov_b32_e32 v2, 14
	v_cmp_gt_i16_sdwa s[2:3], s33, v2 src0_sel:BYTE_0 src1_sel:DWORD
	s_mov_b64 s[18:19], -1
	s_and_b64 vcc, exec, s[2:3]
	s_cbranch_vccz .LBB6_1617
; %bb.1614:
	v_mov_b32_e32 v2, 15
	v_cmp_eq_u16_sdwa s[2:3], s33, v2 src0_sel:BYTE_0 src1_sel:DWORD
	s_mov_b64 s[0:1], -1
	s_and_b64 vcc, exec, s[2:3]
	s_cbranch_vccz .LBB6_1616
; %bb.1615:
	v_cvt_f32_f64_e32 v2, v[0:1]
	v_bfe_u32 v3, v2, 16, 1
	s_movk_i32 s0, 0x7fff
	v_add3_u32 v3, v2, v3, s0
	v_lshrrev_b32_e32 v3, 16, v3
	v_mov_b32_e32 v13, 0x7fc0
	v_cmp_o_f32_e32 vcc, v2, v2
	v_cndmask_b32_e32 v2, v13, v3, vcc
	global_store_short v[10:11], v2, off
	s_mov_b64 s[0:1], 0
	s_mov_b64 s[10:11], -1
.LBB6_1616:
	s_mov_b64 s[18:19], 0
.LBB6_1617:
	s_mov_b64 s[2:3], 0
	s_and_b64 vcc, exec, s[18:19]
	s_cbranch_vccz .LBB6_1619
; %bb.1618:
	v_mov_b32_e32 v2, 11
	v_cmp_ne_u16_sdwa s[0:1], s33, v2 src0_sel:BYTE_0 src1_sel:DWORD
	s_mov_b64 s[2:3], -1
.LBB6_1619:
	s_and_b64 vcc, exec, s[0:1]
	s_cbranch_vccnz .LBB6_1675
; %bb.1620:
	s_andn2_b64 vcc, exec, s[2:3]
	s_cbranch_vccnz .LBB6_1622
.LBB6_1621:
	v_cmp_neq_f64_e32 vcc, 0, v[0:1]
	v_cndmask_b32_e64 v2, 0, 1, vcc
	s_mov_b64 s[10:11], -1
	global_store_byte v[10:11], v2, off
.LBB6_1622:
	s_mov_b64 s[0:1], 0
.LBB6_1623:
	s_and_b64 vcc, exec, s[0:1]
	s_cbranch_vccz .LBB6_1662
; %bb.1624:
	v_mov_b32_e32 v2, 5
	v_cmp_lt_i16_sdwa s[2:3], s33, v2 src0_sel:BYTE_0 src1_sel:DWORD
	s_mov_b64 s[0:1], -1
	s_and_b64 vcc, exec, s[2:3]
	s_cbranch_vccnz .LBB6_1645
; %bb.1625:
	v_mov_b32_e32 v2, 8
	v_cmp_lt_i16_sdwa s[2:3], s33, v2 src0_sel:BYTE_0 src1_sel:DWORD
	s_and_b64 vcc, exec, s[2:3]
	s_cbranch_vccnz .LBB6_1635
; %bb.1626:
	v_mov_b32_e32 v2, 9
	v_cmp_lt_i16_sdwa s[2:3], s33, v2 src0_sel:BYTE_0 src1_sel:DWORD
	s_and_b64 vcc, exec, s[2:3]
	s_cbranch_vccnz .LBB6_1632
; %bb.1627:
	v_cmp_gt_i16_sdwa s[2:3], s33, v2 src0_sel:BYTE_0 src1_sel:DWORD
	s_and_b64 vcc, exec, s[2:3]
	s_cbranch_vccz .LBB6_1629
; %bb.1628:
	v_mov_b32_e32 v2, 0
	v_mov_b32_e32 v3, v2
	global_store_dwordx4 v[10:11], v[0:3], off
	s_mov_b64 s[0:1], 0
.LBB6_1629:
	s_andn2_b64 vcc, exec, s[0:1]
	s_cbranch_vccnz .LBB6_1631
; %bb.1630:
	v_cvt_f32_f64_e32 v2, v[0:1]
	v_mov_b32_e32 v3, 0
	global_store_dwordx2 v[10:11], v[2:3], off
.LBB6_1631:
	s_mov_b64 s[0:1], 0
.LBB6_1632:
	s_andn2_b64 vcc, exec, s[0:1]
	s_cbranch_vccnz .LBB6_1634
; %bb.1633:
	v_cvt_f32_f64_e32 v2, v[0:1]
	v_cvt_f16_f32_e32 v2, v2
	global_store_dword v[10:11], v2, off
.LBB6_1634:
	s_mov_b64 s[0:1], 0
.LBB6_1635:
	s_andn2_b64 vcc, exec, s[0:1]
	s_cbranch_vccnz .LBB6_1644
; %bb.1636:
	v_mov_b32_e32 v2, 6
	v_cmp_lt_i16_sdwa s[2:3], s33, v2 src0_sel:BYTE_0 src1_sel:DWORD
	s_mov_b64 s[0:1], -1
	s_and_b64 vcc, exec, s[2:3]
	s_cbranch_vccnz .LBB6_1642
; %bb.1637:
	v_cmp_gt_i16_sdwa s[2:3], s33, v2 src0_sel:BYTE_0 src1_sel:DWORD
	s_and_b64 vcc, exec, s[2:3]
	s_cbranch_vccz .LBB6_1639
; %bb.1638:
	global_store_dwordx2 v[10:11], v[0:1], off
	s_mov_b64 s[0:1], 0
.LBB6_1639:
	s_andn2_b64 vcc, exec, s[0:1]
	s_cbranch_vccnz .LBB6_1641
; %bb.1640:
	v_cvt_f32_f64_e32 v2, v[0:1]
	global_store_dword v[10:11], v2, off
.LBB6_1641:
	s_mov_b64 s[0:1], 0
.LBB6_1642:
	s_andn2_b64 vcc, exec, s[0:1]
	s_cbranch_vccnz .LBB6_1644
; %bb.1643:
	v_cvt_f32_f64_e32 v2, v[0:1]
	v_cvt_f16_f32_e32 v2, v2
	global_store_short v[10:11], v2, off
.LBB6_1644:
	s_mov_b64 s[0:1], 0
.LBB6_1645:
	s_andn2_b64 vcc, exec, s[0:1]
	s_cbranch_vccnz .LBB6_1661
; %bb.1646:
	v_mov_b32_e32 v2, 2
	v_cmp_lt_i16_sdwa s[2:3], s33, v2 src0_sel:BYTE_0 src1_sel:DWORD
	s_mov_b64 s[0:1], -1
	s_and_b64 vcc, exec, s[2:3]
	s_cbranch_vccnz .LBB6_1656
; %bb.1647:
	v_mov_b32_e32 v2, 3
	v_cmp_lt_i16_sdwa s[2:3], s33, v2 src0_sel:BYTE_0 src1_sel:DWORD
	s_and_b64 vcc, exec, s[2:3]
	s_cbranch_vccnz .LBB6_1653
; %bb.1648:
	v_cmp_gt_i16_sdwa s[2:3], s33, v2 src0_sel:BYTE_0 src1_sel:DWORD
	s_and_b64 vcc, exec, s[2:3]
	s_cbranch_vccz .LBB6_1650
; %bb.1649:
	v_trunc_f64_e32 v[2:3], v[0:1]
	s_movk_i32 s0, 0xffe0
	v_ldexp_f64 v[14:15], v[2:3], s0
	v_floor_f64_e32 v[14:15], v[14:15]
	v_fmac_f64_e32 v[2:3], 0xc1f00000, v[14:15]
	v_cvt_i32_f64_e32 v17, v[14:15]
	v_cvt_u32_f64_e32 v16, v[2:3]
	global_store_dwordx2 v[10:11], v[16:17], off
	s_mov_b64 s[0:1], 0
.LBB6_1650:
	s_andn2_b64 vcc, exec, s[0:1]
	s_cbranch_vccnz .LBB6_1652
; %bb.1651:
	v_cvt_i32_f64_e32 v2, v[0:1]
	global_store_dword v[10:11], v2, off
.LBB6_1652:
	s_mov_b64 s[0:1], 0
.LBB6_1653:
	s_andn2_b64 vcc, exec, s[0:1]
	s_cbranch_vccnz .LBB6_1655
; %bb.1654:
	v_cvt_i32_f64_e32 v2, v[0:1]
	global_store_short v[10:11], v2, off
.LBB6_1655:
	s_mov_b64 s[0:1], 0
.LBB6_1656:
	s_andn2_b64 vcc, exec, s[0:1]
	s_cbranch_vccnz .LBB6_1661
; %bb.1657:
	v_mov_b32_e32 v2, 0
	v_cmp_gt_i16_sdwa s[2:3], s33, v2 src0_sel:BYTE_0 src1_sel:DWORD
	s_mov_b64 s[0:1], -1
	s_and_b64 vcc, exec, s[2:3]
	s_cbranch_vccz .LBB6_1659
; %bb.1658:
	v_cvt_i32_f64_e32 v2, v[0:1]
	global_store_byte v[10:11], v2, off
	s_mov_b64 s[0:1], 0
.LBB6_1659:
	s_andn2_b64 vcc, exec, s[0:1]
	s_cbranch_vccnz .LBB6_1661
; %bb.1660:
	v_trunc_f64_e32 v[0:1], v[0:1]
	s_movk_i32 s0, 0xffe0
	v_ldexp_f64 v[2:3], v[0:1], s0
	v_floor_f64_e32 v[2:3], v[2:3]
	v_fmac_f64_e32 v[0:1], 0xc1f00000, v[2:3]
	v_cvt_u32_f64_e32 v0, v[0:1]
	global_store_byte v[10:11], v0, off
.LBB6_1661:
	s_mov_b64 s[10:11], -1
.LBB6_1662:
	s_andn2_b64 vcc, exec, s[10:11]
	s_cbranch_vccnz .LBB6_1993
; %bb.1663:
	v_cmp_nge_f64_e64 s[0:1], v[4:5], -s[14:15]
	v_cmp_nge_f64_e32 vcc, s[14:15], v[4:5]
	s_lshl_b32 s20, s12, 7
	s_or_b64 vcc, s[0:1], vcc
	v_add_u32_e32 v10, s20, v12
	v_cndmask_b32_e32 v1, 0, v5, vcc
	v_cndmask_b32_e32 v0, 0, v4, vcc
	v_ashrrev_i32_e32 v2, 31, v10
	v_mov_b32_e32 v3, s9
	v_add_co_u32_e32 v4, vcc, s8, v10
	v_addc_co_u32_e32 v5, vcc, v3, v2, vcc
	v_mov_b32_e32 v2, 11
	v_cmp_lt_i16_sdwa s[0:1], s33, v2 src0_sel:BYTE_0 src1_sel:DWORD
	s_and_b64 vcc, exec, s[0:1]
	s_cbranch_vccnz .LBB6_1670
; %bb.1664:
	v_mov_b32_e32 v2, 25
	v_cmp_gt_i16_sdwa s[0:1], s33, v2 src0_sel:BYTE_0 src1_sel:DWORD
	s_mov_b64 s[12:13], -1
	s_mov_b64 s[2:3], 0
	s_and_b64 vcc, exec, s[0:1]
	s_mov_b64 s[10:11], 0
	s_mov_b64 s[0:1], 0
	s_cbranch_vccz .LBB6_1706
; %bb.1665:
	v_mov_b32_e32 v2, 28
	v_cmp_gt_i16_sdwa s[0:1], s33, v2 src0_sel:BYTE_0 src1_sel:DWORD
	s_and_b64 vcc, exec, s[0:1]
	s_cbranch_vccz .LBB6_1671
; %bb.1666:
	v_mov_b32_e32 v2, 43
	v_cmp_gt_i16_sdwa s[0:1], s33, v2 src0_sel:BYTE_0 src1_sel:DWORD
	s_and_b64 vcc, exec, s[0:1]
	;; [unrolled: 5-line block ×3, first 2 shown]
	s_cbranch_vccz .LBB6_1678
; %bb.1668:
	v_mov_b32_e32 v2, 46
	v_cmp_eq_u16_sdwa s[10:11], s33, v2 src0_sel:BYTE_0 src1_sel:DWORD
	s_mov_b64 s[0:1], -1
	s_mov_b64 s[12:13], 0
	s_and_b64 vcc, exec, s[10:11]
	s_mov_b64 s[10:11], 0
	s_cbranch_vccz .LBB6_1679
; %bb.1669:
	v_cvt_f32_f64_e32 v2, v[0:1]
	v_bfe_u32 v3, v2, 16, 1
	s_movk_i32 s0, 0x7fff
	v_add3_u32 v3, v2, v3, s0
	v_lshrrev_b32_e32 v3, 16, v3
	v_mov_b32_e32 v11, 0x7fc0
	v_cmp_o_f32_e32 vcc, v2, v2
	v_cndmask_b32_e32 v2, v11, v3, vcc
	global_store_dword v[4:5], v2, off
	s_mov_b64 s[0:1], 0
	s_mov_b64 s[10:11], -1
	s_branch .LBB6_1679
.LBB6_1670:
	s_mov_b64 s[0:1], -1
	s_mov_b64 s[10:11], 0
	s_branch .LBB6_1750
.LBB6_1671:
	s_mov_b64 s[0:1], 0
	s_branch .LBB6_1689
.LBB6_1672:
	s_or_saveexec_b64 s[20:21], s[20:21]
                                        ; implicit-def: $sgpr13
	s_xor_b64 exec, exec, s[20:21]
	s_cbranch_execz .LBB6_1573
.LBB6_1673:
	s_mov_b32 s13, 0x46000000
	v_add_f32_e64 v3, |v2|, s13
	v_and_b32_e32 v3, 0xff, v3
	v_cmp_ne_u32_e32 vcc, 0, v3
	s_andn2_b64 s[18:19], s[18:19], exec
	s_and_b64 s[22:23], vcc, exec
	s_mov_b32 s13, 0
	s_or_b64 s[18:19], s[18:19], s[22:23]
	s_or_b64 exec, exec, s[20:21]
	v_mov_b32_e32 v13, s13
	s_and_saveexec_b64 s[20:21], s[18:19]
	s_cbranch_execnz .LBB6_1574
	s_branch .LBB6_1575
.LBB6_1674:
	s_mov_b64 s[0:1], 0
	s_branch .LBB6_1685
.LBB6_1675:
	s_trap 2
	s_or_b64 s[16:17], s[16:17], exec
	s_cbranch_execz .LBB6_1621
	s_branch .LBB6_1622
.LBB6_1676:
	s_or_saveexec_b64 s[18:19], s[18:19]
                                        ; implicit-def: $sgpr13
	s_xor_b64 exec, exec, s[18:19]
	s_cbranch_execz .LBB6_1586
.LBB6_1677:
	s_mov_b32 s13, 0x42800000
	v_add_f32_e64 v3, |v2|, s13
	v_and_b32_e32 v3, 0xff, v3
	v_cmp_ne_u32_e32 vcc, 0, v3
	s_andn2_b64 s[10:11], s[10:11], exec
	s_and_b64 s[20:21], vcc, exec
	s_mov_b32 s13, 0
	s_or_b64 s[10:11], s[10:11], s[20:21]
	s_or_b64 exec, exec, s[18:19]
	v_mov_b32_e32 v13, s13
	s_and_saveexec_b64 s[18:19], s[10:11]
	s_cbranch_execnz .LBB6_1587
	s_branch .LBB6_1588
.LBB6_1678:
	s_mov_b64 s[0:1], 0
.LBB6_1679:
	s_and_b64 vcc, exec, s[12:13]
	s_cbranch_vccz .LBB6_1684
; %bb.1680:
	v_mov_b32_e32 v2, 44
	v_cmp_eq_u16_sdwa s[12:13], s33, v2 src0_sel:BYTE_0 src1_sel:DWORD
	s_mov_b64 s[0:1], -1
	s_and_b64 vcc, exec, s[12:13]
	s_cbranch_vccz .LBB6_1684
; %bb.1681:
	v_cvt_f32_f64_e32 v2, v[0:1]
	v_bfe_u32 v3, v2, 23, 8
	s_movk_i32 s0, 0xff
	v_cmp_ne_u32_e32 vcc, s0, v3
	v_mov_b32_e32 v11, 0xff
	s_and_saveexec_b64 s[10:11], vcc
; %bb.1682:
	s_mov_b32 s0, 0x3fffff
	v_lshrrev_b32_e32 v11, 23, v2
	v_and_b32_e32 v12, 0x400000, v2
	v_and_or_b32 v2, v2, s0, v3
	v_cmp_ne_u32_e32 vcc, 0, v12
	v_cmp_ne_u32_e64 s[0:1], 0, v2
	s_and_b64 s[0:1], vcc, s[0:1]
	v_cndmask_b32_e64 v2, 0, 1, s[0:1]
	v_add_u32_e32 v11, v11, v2
; %bb.1683:
	s_or_b64 exec, exec, s[10:11]
	s_mov_b64 s[0:1], 0
	s_mov_b64 s[10:11], -1
	global_store_byte v[4:5], v11, off
.LBB6_1684:
	s_mov_b64 s[12:13], 0
.LBB6_1685:
	s_and_b64 vcc, exec, s[12:13]
	s_cbranch_vccz .LBB6_1688
; %bb.1686:
	v_mov_b32_e32 v2, 29
	v_cmp_eq_u16_sdwa s[12:13], s33, v2 src0_sel:BYTE_0 src1_sel:DWORD
	s_mov_b64 s[0:1], -1
	s_and_b64 vcc, exec, s[12:13]
	s_cbranch_vccz .LBB6_1688
; %bb.1687:
	v_trunc_f64_e32 v[2:3], v[0:1]
	s_movk_i32 s0, 0xffe0
	v_ldexp_f64 v[12:13], v[2:3], s0
	v_floor_f64_e32 v[12:13], v[12:13]
	v_fmac_f64_e32 v[2:3], 0xc1f00000, v[12:13]
	v_cvt_u32_f64_e32 v15, v[12:13]
	v_cvt_u32_f64_e32 v14, v[2:3]
	global_store_dwordx2 v[4:5], v[14:15], off
	s_mov_b64 s[0:1], 0
	s_mov_b64 s[10:11], -1
.LBB6_1688:
	s_mov_b64 s[12:13], 0
.LBB6_1689:
	s_and_b64 vcc, exec, s[12:13]
	s_cbranch_vccz .LBB6_1705
; %bb.1690:
	v_mov_b32_e32 v2, 27
	v_cmp_lt_i16_sdwa s[12:13], s33, v2 src0_sel:BYTE_0 src1_sel:DWORD
	s_mov_b64 s[10:11], -1
	s_and_b64 vcc, exec, s[12:13]
	s_cbranch_vccnz .LBB6_1696
; %bb.1691:
	v_cmp_gt_i16_sdwa s[12:13], s33, v2 src0_sel:BYTE_0 src1_sel:DWORD
	s_and_b64 vcc, exec, s[12:13]
	v_cvt_u32_f64_e32 v2, v[0:1]
	s_cbranch_vccz .LBB6_1693
; %bb.1692:
	s_mov_b64 s[10:11], 0
	global_store_dword v[4:5], v2, off
.LBB6_1693:
	s_andn2_b64 vcc, exec, s[10:11]
	s_cbranch_vccnz .LBB6_1695
; %bb.1694:
	global_store_short v[4:5], v2, off
.LBB6_1695:
	s_mov_b64 s[10:11], 0
.LBB6_1696:
	s_andn2_b64 vcc, exec, s[10:11]
	s_cbranch_vccnz .LBB6_1704
; %bb.1697:
	v_cvt_f32_f64_e32 v2, v[0:1]
	v_and_b32_e32 v3, 0x7fffffff, v2
	s_mov_b32 s10, 0x43800000
	v_cmp_gt_u32_e32 vcc, s10, v3
	v_mov_b32_e32 v11, 0x80
	s_and_saveexec_b64 s[10:11], vcc
	s_cbranch_execz .LBB6_1703
; %bb.1698:
	s_mov_b32 s12, 0x3bffffff
	v_cmp_lt_u32_e32 vcc, s12, v3
	s_mov_b64 s[12:13], 0
                                        ; implicit-def: $vgpr3
	s_and_saveexec_b64 s[18:19], vcc
	s_xor_b64 s[18:19], exec, s[18:19]
	s_cbranch_execz .LBB6_1799
; %bb.1699:
	v_bfe_u32 v3, v2, 20, 1
	s_mov_b32 s21, 0x487ffff
	v_add3_u32 v3, v2, v3, s21
	s_mov_b64 s[12:13], exec
	v_lshrrev_b32_e32 v3, 20, v3
	s_or_saveexec_b64 s[18:19], s[18:19]
                                        ; implicit-def: $sgpr21
	s_xor_b64 exec, exec, s[18:19]
	s_cbranch_execnz .LBB6_1800
.LBB6_1700:
	s_or_b64 exec, exec, s[18:19]
	v_mov_b32_e32 v11, s21
	s_and_saveexec_b64 s[18:19], s[12:13]
.LBB6_1701:
	v_lshrrev_b32_e32 v2, 24, v2
	s_movk_i32 s12, 0x80
	v_and_or_b32 v11, v2, s12, v3
.LBB6_1702:
	s_or_b64 exec, exec, s[18:19]
.LBB6_1703:
	s_or_b64 exec, exec, s[10:11]
	global_store_byte v[4:5], v11, off
.LBB6_1704:
	s_mov_b64 s[10:11], -1
.LBB6_1705:
	s_mov_b64 s[12:13], 0
.LBB6_1706:
	s_and_b64 vcc, exec, s[12:13]
	s_cbranch_vccz .LBB6_1746
; %bb.1707:
	v_mov_b32_e32 v2, 22
	v_cmp_gt_i16_sdwa s[12:13], s33, v2 src0_sel:BYTE_0 src1_sel:DWORD
	s_mov_b64 s[2:3], -1
	s_and_b64 vcc, exec, s[12:13]
	s_cbranch_vccz .LBB6_1739
; %bb.1708:
	v_mov_b32_e32 v2, 24
	v_cmp_lt_i16_sdwa s[10:11], s33, v2 src0_sel:BYTE_0 src1_sel:DWORD
	s_and_b64 vcc, exec, s[10:11]
	s_cbranch_vccnz .LBB6_1728
; %bb.1709:
	v_cmp_gt_i16_sdwa s[10:11], s33, v2 src0_sel:BYTE_0 src1_sel:DWORD
	s_and_b64 vcc, exec, s[10:11]
	s_cbranch_vccz .LBB6_1717
; %bb.1710:
	v_cvt_f32_f64_e32 v2, v[0:1]
	v_and_b32_e32 v3, 0x7fffffff, v2
	s_mov_b32 s2, 0x47800000
	v_cmp_gt_u32_e32 vcc, s2, v3
	v_mov_b32_e32 v11, 0x80
	s_and_saveexec_b64 s[2:3], vcc
	s_cbranch_execz .LBB6_1716
; %bb.1711:
	s_mov_b32 s10, 0x37ffffff
	v_cmp_lt_u32_e32 vcc, s10, v3
	s_mov_b64 s[10:11], 0
                                        ; implicit-def: $vgpr3
	s_and_saveexec_b64 s[12:13], vcc
	s_xor_b64 s[12:13], exec, s[12:13]
	s_cbranch_execz .LBB6_1803
; %bb.1712:
	v_bfe_u32 v3, v2, 21, 1
	s_mov_b32 s18, 0x88fffff
	v_add3_u32 v3, v2, v3, s18
	s_mov_b64 s[10:11], exec
	v_lshrrev_b32_e32 v3, 21, v3
	s_or_saveexec_b64 s[12:13], s[12:13]
                                        ; implicit-def: $sgpr18
	s_xor_b64 exec, exec, s[12:13]
	s_cbranch_execnz .LBB6_1804
.LBB6_1713:
	s_or_b64 exec, exec, s[12:13]
	v_mov_b32_e32 v11, s18
	s_and_saveexec_b64 s[12:13], s[10:11]
.LBB6_1714:
	v_lshrrev_b32_e32 v2, 24, v2
	s_movk_i32 s10, 0x80
	v_and_or_b32 v11, v2, s10, v3
.LBB6_1715:
	s_or_b64 exec, exec, s[12:13]
.LBB6_1716:
	s_or_b64 exec, exec, s[2:3]
	s_mov_b64 s[2:3], 0
	global_store_byte v[4:5], v11, off
.LBB6_1717:
	s_and_b64 vcc, exec, s[2:3]
	s_cbranch_vccz .LBB6_1727
; %bb.1718:
	v_cvt_f32_f64_e32 v2, v[0:1]
	v_and_b32_e32 v11, 0x7fffffff, v2
	s_mov_b32 s2, 0x43f00000
	v_cmp_gt_u32_e32 vcc, s2, v11
                                        ; implicit-def: $vgpr3
	s_and_saveexec_b64 s[2:3], vcc
	s_xor_b64 s[2:3], exec, s[2:3]
	s_cbranch_execz .LBB6_1724
; %bb.1719:
	s_mov_b32 s10, 0x3c7fffff
	v_cmp_lt_u32_e32 vcc, s10, v11
                                        ; implicit-def: $vgpr3
	s_and_saveexec_b64 s[10:11], vcc
	s_xor_b64 s[10:11], exec, s[10:11]
; %bb.1720:
	v_bfe_u32 v3, v2, 20, 1
	s_mov_b32 s12, 0x407ffff
	v_add3_u32 v3, v2, v3, s12
	v_lshrrev_b32_e32 v11, 20, v3
	v_and_b32_e32 v3, 0xff00000, v3
	s_mov_b32 s12, 0x7f00000
	v_mov_b32_e32 v12, 0x7e
	v_cmp_ne_u32_e32 vcc, s12, v3
	v_cndmask_b32_e32 v3, v12, v11, vcc
; %bb.1721:
	s_andn2_saveexec_b64 s[10:11], s[10:11]
; %bb.1722:
	s_mov_b32 s12, 0x46800000
	v_add_f32_e64 v3, |v2|, s12
; %bb.1723:
	s_or_b64 exec, exec, s[10:11]
                                        ; implicit-def: $vgpr11
.LBB6_1724:
	s_andn2_saveexec_b64 s[2:3], s[2:3]
; %bb.1725:
	s_mov_b32 s10, 0x7f800000
	v_mov_b32_e32 v3, 0x7e
	v_mov_b32_e32 v12, 0x7f
	v_cmp_lt_u32_e32 vcc, s10, v11
	v_cndmask_b32_e32 v3, v3, v12, vcc
; %bb.1726:
	s_or_b64 exec, exec, s[2:3]
	v_lshrrev_b32_e32 v2, 24, v2
	s_movk_i32 s2, 0x80
	v_and_or_b32 v2, v2, s2, v3
	global_store_byte v[4:5], v2, off
.LBB6_1727:
	s_mov_b64 s[2:3], 0
.LBB6_1728:
	s_andn2_b64 vcc, exec, s[2:3]
	s_cbranch_vccnz .LBB6_1738
; %bb.1729:
	v_cvt_f32_f64_e32 v2, v[0:1]
	v_and_b32_e32 v11, 0x7fffffff, v2
	s_mov_b32 s2, 0x47800000
	v_cmp_gt_u32_e32 vcc, s2, v11
                                        ; implicit-def: $vgpr3
	s_and_saveexec_b64 s[2:3], vcc
	s_xor_b64 s[2:3], exec, s[2:3]
	s_cbranch_execz .LBB6_1735
; %bb.1730:
	s_mov_b32 s10, 0x387fffff
	v_cmp_lt_u32_e32 vcc, s10, v11
                                        ; implicit-def: $vgpr3
	s_and_saveexec_b64 s[10:11], vcc
	s_xor_b64 s[10:11], exec, s[10:11]
; %bb.1731:
	v_bfe_u32 v3, v2, 21, 1
	s_mov_b32 s12, 0x80fffff
	v_add3_u32 v3, v2, v3, s12
	v_lshrrev_b32_e32 v3, 21, v3
; %bb.1732:
	s_andn2_saveexec_b64 s[10:11], s[10:11]
; %bb.1733:
	s_mov_b32 s12, 0x43000000
	v_add_f32_e64 v3, |v2|, s12
; %bb.1734:
	s_or_b64 exec, exec, s[10:11]
                                        ; implicit-def: $vgpr11
.LBB6_1735:
	s_andn2_saveexec_b64 s[2:3], s[2:3]
; %bb.1736:
	s_mov_b32 s10, 0x7f800000
	v_mov_b32_e32 v3, 0x7c
	v_mov_b32_e32 v12, 0x7f
	v_cmp_lt_u32_e32 vcc, s10, v11
	v_cndmask_b32_e32 v3, v3, v12, vcc
; %bb.1737:
	s_or_b64 exec, exec, s[2:3]
	v_lshrrev_b32_e32 v2, 24, v2
	s_movk_i32 s2, 0x80
	v_and_or_b32 v2, v2, s2, v3
	global_store_byte v[4:5], v2, off
.LBB6_1738:
	s_mov_b64 s[2:3], 0
	s_mov_b64 s[10:11], -1
.LBB6_1739:
	s_andn2_b64 vcc, exec, s[2:3]
	s_mov_b64 s[2:3], 0
	s_cbranch_vccnz .LBB6_1746
; %bb.1740:
	v_mov_b32_e32 v2, 14
	v_cmp_gt_i16_sdwa s[2:3], s33, v2 src0_sel:BYTE_0 src1_sel:DWORD
	s_mov_b64 s[12:13], -1
	s_and_b64 vcc, exec, s[2:3]
	s_cbranch_vccz .LBB6_1744
; %bb.1741:
	v_mov_b32_e32 v2, 15
	v_cmp_eq_u16_sdwa s[2:3], s33, v2 src0_sel:BYTE_0 src1_sel:DWORD
	s_mov_b64 s[0:1], -1
	s_and_b64 vcc, exec, s[2:3]
	s_cbranch_vccz .LBB6_1743
; %bb.1742:
	v_cvt_f32_f64_e32 v2, v[0:1]
	v_bfe_u32 v3, v2, 16, 1
	s_movk_i32 s0, 0x7fff
	v_add3_u32 v3, v2, v3, s0
	v_lshrrev_b32_e32 v3, 16, v3
	v_mov_b32_e32 v11, 0x7fc0
	v_cmp_o_f32_e32 vcc, v2, v2
	v_cndmask_b32_e32 v2, v11, v3, vcc
	global_store_short v[4:5], v2, off
	s_mov_b64 s[0:1], 0
	s_mov_b64 s[10:11], -1
.LBB6_1743:
	s_mov_b64 s[12:13], 0
.LBB6_1744:
	s_mov_b64 s[2:3], 0
	s_and_b64 vcc, exec, s[12:13]
	s_cbranch_vccz .LBB6_1746
; %bb.1745:
	v_mov_b32_e32 v2, 11
	v_cmp_ne_u16_sdwa s[0:1], s33, v2 src0_sel:BYTE_0 src1_sel:DWORD
	s_mov_b64 s[2:3], -1
.LBB6_1746:
	s_and_b64 vcc, exec, s[0:1]
	s_cbranch_vccnz .LBB6_1802
; %bb.1747:
	s_andn2_b64 vcc, exec, s[2:3]
	s_cbranch_vccnz .LBB6_1749
.LBB6_1748:
	v_cmp_neq_f64_e32 vcc, 0, v[0:1]
	v_cndmask_b32_e64 v2, 0, 1, vcc
	s_mov_b64 s[10:11], -1
	global_store_byte v[4:5], v2, off
.LBB6_1749:
	s_mov_b64 s[0:1], 0
.LBB6_1750:
	s_and_b64 vcc, exec, s[0:1]
	s_cbranch_vccz .LBB6_1789
; %bb.1751:
	v_mov_b32_e32 v2, 5
	v_cmp_lt_i16_sdwa s[2:3], s33, v2 src0_sel:BYTE_0 src1_sel:DWORD
	s_mov_b64 s[0:1], -1
	s_and_b64 vcc, exec, s[2:3]
	s_cbranch_vccnz .LBB6_1772
; %bb.1752:
	v_mov_b32_e32 v2, 8
	v_cmp_lt_i16_sdwa s[2:3], s33, v2 src0_sel:BYTE_0 src1_sel:DWORD
	s_and_b64 vcc, exec, s[2:3]
	s_cbranch_vccnz .LBB6_1762
; %bb.1753:
	v_mov_b32_e32 v2, 9
	v_cmp_lt_i16_sdwa s[2:3], s33, v2 src0_sel:BYTE_0 src1_sel:DWORD
	s_and_b64 vcc, exec, s[2:3]
	s_cbranch_vccnz .LBB6_1759
; %bb.1754:
	v_cmp_gt_i16_sdwa s[2:3], s33, v2 src0_sel:BYTE_0 src1_sel:DWORD
	s_and_b64 vcc, exec, s[2:3]
	s_cbranch_vccz .LBB6_1756
; %bb.1755:
	v_mov_b32_e32 v2, 0
	v_mov_b32_e32 v3, v2
	global_store_dwordx4 v[4:5], v[0:3], off
	s_mov_b64 s[0:1], 0
.LBB6_1756:
	s_andn2_b64 vcc, exec, s[0:1]
	s_cbranch_vccnz .LBB6_1758
; %bb.1757:
	v_cvt_f32_f64_e32 v2, v[0:1]
	v_mov_b32_e32 v3, 0
	global_store_dwordx2 v[4:5], v[2:3], off
.LBB6_1758:
	s_mov_b64 s[0:1], 0
.LBB6_1759:
	s_andn2_b64 vcc, exec, s[0:1]
	s_cbranch_vccnz .LBB6_1761
; %bb.1760:
	v_cvt_f32_f64_e32 v2, v[0:1]
	v_cvt_f16_f32_e32 v2, v2
	global_store_dword v[4:5], v2, off
.LBB6_1761:
	s_mov_b64 s[0:1], 0
.LBB6_1762:
	s_andn2_b64 vcc, exec, s[0:1]
	s_cbranch_vccnz .LBB6_1771
; %bb.1763:
	v_mov_b32_e32 v2, 6
	v_cmp_lt_i16_sdwa s[2:3], s33, v2 src0_sel:BYTE_0 src1_sel:DWORD
	s_mov_b64 s[0:1], -1
	s_and_b64 vcc, exec, s[2:3]
	s_cbranch_vccnz .LBB6_1769
; %bb.1764:
	v_cmp_gt_i16_sdwa s[2:3], s33, v2 src0_sel:BYTE_0 src1_sel:DWORD
	s_and_b64 vcc, exec, s[2:3]
	s_cbranch_vccz .LBB6_1766
; %bb.1765:
	global_store_dwordx2 v[4:5], v[0:1], off
	s_mov_b64 s[0:1], 0
.LBB6_1766:
	s_andn2_b64 vcc, exec, s[0:1]
	s_cbranch_vccnz .LBB6_1768
; %bb.1767:
	v_cvt_f32_f64_e32 v2, v[0:1]
	global_store_dword v[4:5], v2, off
.LBB6_1768:
	s_mov_b64 s[0:1], 0
.LBB6_1769:
	s_andn2_b64 vcc, exec, s[0:1]
	s_cbranch_vccnz .LBB6_1771
; %bb.1770:
	v_cvt_f32_f64_e32 v2, v[0:1]
	v_cvt_f16_f32_e32 v2, v2
	global_store_short v[4:5], v2, off
.LBB6_1771:
	s_mov_b64 s[0:1], 0
.LBB6_1772:
	s_andn2_b64 vcc, exec, s[0:1]
	s_cbranch_vccnz .LBB6_1788
; %bb.1773:
	v_mov_b32_e32 v2, 2
	v_cmp_lt_i16_sdwa s[2:3], s33, v2 src0_sel:BYTE_0 src1_sel:DWORD
	s_mov_b64 s[0:1], -1
	s_and_b64 vcc, exec, s[2:3]
	s_cbranch_vccnz .LBB6_1783
; %bb.1774:
	v_mov_b32_e32 v2, 3
	v_cmp_lt_i16_sdwa s[2:3], s33, v2 src0_sel:BYTE_0 src1_sel:DWORD
	s_and_b64 vcc, exec, s[2:3]
	s_cbranch_vccnz .LBB6_1780
; %bb.1775:
	v_cmp_gt_i16_sdwa s[2:3], s33, v2 src0_sel:BYTE_0 src1_sel:DWORD
	s_and_b64 vcc, exec, s[2:3]
	s_cbranch_vccz .LBB6_1777
; %bb.1776:
	v_trunc_f64_e32 v[2:3], v[0:1]
	s_movk_i32 s0, 0xffe0
	v_ldexp_f64 v[12:13], v[2:3], s0
	v_floor_f64_e32 v[12:13], v[12:13]
	v_fmac_f64_e32 v[2:3], 0xc1f00000, v[12:13]
	v_cvt_i32_f64_e32 v15, v[12:13]
	v_cvt_u32_f64_e32 v14, v[2:3]
	global_store_dwordx2 v[4:5], v[14:15], off
	s_mov_b64 s[0:1], 0
.LBB6_1777:
	s_andn2_b64 vcc, exec, s[0:1]
	s_cbranch_vccnz .LBB6_1779
; %bb.1778:
	v_cvt_i32_f64_e32 v2, v[0:1]
	global_store_dword v[4:5], v2, off
.LBB6_1779:
	s_mov_b64 s[0:1], 0
.LBB6_1780:
	s_andn2_b64 vcc, exec, s[0:1]
	s_cbranch_vccnz .LBB6_1782
; %bb.1781:
	v_cvt_i32_f64_e32 v2, v[0:1]
	global_store_short v[4:5], v2, off
.LBB6_1782:
	s_mov_b64 s[0:1], 0
.LBB6_1783:
	s_andn2_b64 vcc, exec, s[0:1]
	s_cbranch_vccnz .LBB6_1788
; %bb.1784:
	v_mov_b32_e32 v2, 0
	v_cmp_gt_i16_sdwa s[2:3], s33, v2 src0_sel:BYTE_0 src1_sel:DWORD
	s_mov_b64 s[0:1], -1
	s_and_b64 vcc, exec, s[2:3]
	s_cbranch_vccz .LBB6_1786
; %bb.1785:
	v_cvt_i32_f64_e32 v2, v[0:1]
	global_store_byte v[4:5], v2, off
	s_mov_b64 s[0:1], 0
.LBB6_1786:
	s_andn2_b64 vcc, exec, s[0:1]
	s_cbranch_vccnz .LBB6_1788
; %bb.1787:
	v_trunc_f64_e32 v[0:1], v[0:1]
	s_movk_i32 s0, 0xffe0
	v_ldexp_f64 v[2:3], v[0:1], s0
	v_floor_f64_e32 v[2:3], v[2:3]
	v_fmac_f64_e32 v[0:1], 0xc1f00000, v[2:3]
	v_cvt_u32_f64_e32 v0, v[0:1]
	global_store_byte v[4:5], v0, off
.LBB6_1788:
	s_mov_b64 s[10:11], -1
.LBB6_1789:
	s_andn2_b64 vcc, exec, s[10:11]
	s_cbranch_vccnz .LBB6_1993
; %bb.1790:
	v_cmp_nge_f64_e64 s[0:1], v[6:7], -s[14:15]
	v_cmp_nge_f64_e32 vcc, s[14:15], v[6:7]
	s_or_b64 vcc, s[0:1], vcc
	v_cndmask_b32_e32 v0, 0, v6, vcc
	v_add_u32_e32 v6, s20, v10
	v_cndmask_b32_e32 v1, 0, v7, vcc
	v_ashrrev_i32_e32 v2, 31, v6
	v_mov_b32_e32 v3, s9
	v_add_co_u32_e32 v4, vcc, s8, v6
	v_addc_co_u32_e32 v5, vcc, v3, v2, vcc
	v_mov_b32_e32 v2, 11
	v_cmp_lt_i16_sdwa s[0:1], s33, v2 src0_sel:BYTE_0 src1_sel:DWORD
	s_and_b64 vcc, exec, s[0:1]
	s_cbranch_vccnz .LBB6_1797
; %bb.1791:
	v_mov_b32_e32 v2, 25
	v_cmp_gt_i16_sdwa s[0:1], s33, v2 src0_sel:BYTE_0 src1_sel:DWORD
	s_mov_b64 s[12:13], -1
	s_mov_b64 s[2:3], 0
	s_and_b64 vcc, exec, s[0:1]
	s_mov_b64 s[10:11], 0
	s_mov_b64 s[0:1], 0
	s_cbranch_vccz .LBB6_1833
; %bb.1792:
	v_mov_b32_e32 v2, 28
	v_cmp_gt_i16_sdwa s[0:1], s33, v2 src0_sel:BYTE_0 src1_sel:DWORD
	s_and_b64 vcc, exec, s[0:1]
	s_cbranch_vccz .LBB6_1798
; %bb.1793:
	v_mov_b32_e32 v2, 43
	v_cmp_gt_i16_sdwa s[0:1], s33, v2 src0_sel:BYTE_0 src1_sel:DWORD
	s_and_b64 vcc, exec, s[0:1]
	;; [unrolled: 5-line block ×3, first 2 shown]
	s_cbranch_vccz .LBB6_1805
; %bb.1795:
	v_mov_b32_e32 v2, 46
	v_cmp_eq_u16_sdwa s[10:11], s33, v2 src0_sel:BYTE_0 src1_sel:DWORD
	s_mov_b64 s[0:1], -1
	s_mov_b64 s[12:13], 0
	s_and_b64 vcc, exec, s[10:11]
	s_mov_b64 s[10:11], 0
	s_cbranch_vccz .LBB6_1806
; %bb.1796:
	v_cvt_f32_f64_e32 v2, v[0:1]
	v_bfe_u32 v3, v2, 16, 1
	s_movk_i32 s0, 0x7fff
	v_add3_u32 v3, v2, v3, s0
	v_lshrrev_b32_e32 v3, 16, v3
	v_mov_b32_e32 v7, 0x7fc0
	v_cmp_o_f32_e32 vcc, v2, v2
	v_cndmask_b32_e32 v2, v7, v3, vcc
	global_store_dword v[4:5], v2, off
	s_mov_b64 s[0:1], 0
	s_mov_b64 s[10:11], -1
	s_branch .LBB6_1806
.LBB6_1797:
	s_mov_b64 s[0:1], -1
	s_mov_b64 s[10:11], 0
	s_branch .LBB6_1877
.LBB6_1798:
	s_mov_b64 s[0:1], 0
	s_branch .LBB6_1816
.LBB6_1799:
	s_or_saveexec_b64 s[18:19], s[18:19]
                                        ; implicit-def: $sgpr21
	s_xor_b64 exec, exec, s[18:19]
	s_cbranch_execz .LBB6_1700
.LBB6_1800:
	s_mov_b32 s21, 0x46000000
	v_add_f32_e64 v3, |v2|, s21
	v_and_b32_e32 v3, 0xff, v3
	v_cmp_ne_u32_e32 vcc, 0, v3
	s_andn2_b64 s[12:13], s[12:13], exec
	s_and_b64 s[22:23], vcc, exec
	s_mov_b32 s21, 0
	s_or_b64 s[12:13], s[12:13], s[22:23]
	s_or_b64 exec, exec, s[18:19]
	v_mov_b32_e32 v11, s21
	s_and_saveexec_b64 s[18:19], s[12:13]
	s_cbranch_execnz .LBB6_1701
	s_branch .LBB6_1702
.LBB6_1801:
	s_mov_b64 s[0:1], 0
	s_branch .LBB6_1812
.LBB6_1802:
	s_trap 2
	s_or_b64 s[16:17], s[16:17], exec
	s_cbranch_execz .LBB6_1748
	s_branch .LBB6_1749
.LBB6_1803:
	s_or_saveexec_b64 s[12:13], s[12:13]
                                        ; implicit-def: $sgpr18
	s_xor_b64 exec, exec, s[12:13]
	s_cbranch_execz .LBB6_1713
.LBB6_1804:
	s_mov_b32 s18, 0x42800000
	v_add_f32_e64 v3, |v2|, s18
	v_and_b32_e32 v3, 0xff, v3
	v_cmp_ne_u32_e32 vcc, 0, v3
	s_andn2_b64 s[10:11], s[10:11], exec
	s_and_b64 s[22:23], vcc, exec
	s_mov_b32 s18, 0
	s_or_b64 s[10:11], s[10:11], s[22:23]
	s_or_b64 exec, exec, s[12:13]
	v_mov_b32_e32 v11, s18
	s_and_saveexec_b64 s[12:13], s[10:11]
	s_cbranch_execnz .LBB6_1714
	s_branch .LBB6_1715
.LBB6_1805:
	s_mov_b64 s[0:1], 0
.LBB6_1806:
	s_and_b64 vcc, exec, s[12:13]
	s_cbranch_vccz .LBB6_1811
; %bb.1807:
	v_mov_b32_e32 v2, 44
	v_cmp_eq_u16_sdwa s[12:13], s33, v2 src0_sel:BYTE_0 src1_sel:DWORD
	s_mov_b64 s[0:1], -1
	s_and_b64 vcc, exec, s[12:13]
	s_cbranch_vccz .LBB6_1811
; %bb.1808:
	v_cvt_f32_f64_e32 v2, v[0:1]
	v_bfe_u32 v3, v2, 23, 8
	s_movk_i32 s0, 0xff
	v_cmp_ne_u32_e32 vcc, s0, v3
	v_mov_b32_e32 v7, 0xff
	s_and_saveexec_b64 s[10:11], vcc
; %bb.1809:
	s_mov_b32 s0, 0x3fffff
	v_lshrrev_b32_e32 v7, 23, v2
	v_and_b32_e32 v10, 0x400000, v2
	v_and_or_b32 v2, v2, s0, v3
	v_cmp_ne_u32_e32 vcc, 0, v10
	v_cmp_ne_u32_e64 s[0:1], 0, v2
	s_and_b64 s[0:1], vcc, s[0:1]
	v_cndmask_b32_e64 v2, 0, 1, s[0:1]
	v_add_u32_e32 v7, v7, v2
; %bb.1810:
	s_or_b64 exec, exec, s[10:11]
	s_mov_b64 s[0:1], 0
	s_mov_b64 s[10:11], -1
	global_store_byte v[4:5], v7, off
.LBB6_1811:
	s_mov_b64 s[12:13], 0
.LBB6_1812:
	s_and_b64 vcc, exec, s[12:13]
	s_cbranch_vccz .LBB6_1815
; %bb.1813:
	v_mov_b32_e32 v2, 29
	v_cmp_eq_u16_sdwa s[12:13], s33, v2 src0_sel:BYTE_0 src1_sel:DWORD
	s_mov_b64 s[0:1], -1
	s_and_b64 vcc, exec, s[12:13]
	s_cbranch_vccz .LBB6_1815
; %bb.1814:
	v_trunc_f64_e32 v[2:3], v[0:1]
	s_movk_i32 s0, 0xffe0
	v_ldexp_f64 v[10:11], v[2:3], s0
	v_floor_f64_e32 v[10:11], v[10:11]
	v_fmac_f64_e32 v[2:3], 0xc1f00000, v[10:11]
	v_cvt_u32_f64_e32 v13, v[10:11]
	v_cvt_u32_f64_e32 v12, v[2:3]
	global_store_dwordx2 v[4:5], v[12:13], off
	s_mov_b64 s[0:1], 0
	s_mov_b64 s[10:11], -1
.LBB6_1815:
	s_mov_b64 s[12:13], 0
.LBB6_1816:
	s_and_b64 vcc, exec, s[12:13]
	s_cbranch_vccz .LBB6_1832
; %bb.1817:
	v_mov_b32_e32 v2, 27
	v_cmp_lt_i16_sdwa s[12:13], s33, v2 src0_sel:BYTE_0 src1_sel:DWORD
	s_mov_b64 s[10:11], -1
	s_and_b64 vcc, exec, s[12:13]
	s_cbranch_vccnz .LBB6_1823
; %bb.1818:
	v_cmp_gt_i16_sdwa s[12:13], s33, v2 src0_sel:BYTE_0 src1_sel:DWORD
	s_and_b64 vcc, exec, s[12:13]
	v_cvt_u32_f64_e32 v2, v[0:1]
	s_cbranch_vccz .LBB6_1820
; %bb.1819:
	s_mov_b64 s[10:11], 0
	global_store_dword v[4:5], v2, off
.LBB6_1820:
	s_andn2_b64 vcc, exec, s[10:11]
	s_cbranch_vccnz .LBB6_1822
; %bb.1821:
	global_store_short v[4:5], v2, off
.LBB6_1822:
	s_mov_b64 s[10:11], 0
.LBB6_1823:
	s_andn2_b64 vcc, exec, s[10:11]
	s_cbranch_vccnz .LBB6_1831
; %bb.1824:
	v_cvt_f32_f64_e32 v2, v[0:1]
	v_and_b32_e32 v3, 0x7fffffff, v2
	s_mov_b32 s10, 0x43800000
	v_cmp_gt_u32_e32 vcc, s10, v3
	v_mov_b32_e32 v7, 0x80
	s_and_saveexec_b64 s[10:11], vcc
	s_cbranch_execz .LBB6_1830
; %bb.1825:
	s_mov_b32 s12, 0x3bffffff
	v_cmp_lt_u32_e32 vcc, s12, v3
	s_mov_b64 s[12:13], 0
                                        ; implicit-def: $vgpr3
	s_and_saveexec_b64 s[18:19], vcc
	s_xor_b64 s[18:19], exec, s[18:19]
	s_cbranch_execz .LBB6_2039
; %bb.1826:
	v_bfe_u32 v3, v2, 20, 1
	s_mov_b32 s21, 0x487ffff
	v_add3_u32 v3, v2, v3, s21
	s_mov_b64 s[12:13], exec
	v_lshrrev_b32_e32 v3, 20, v3
	s_or_saveexec_b64 s[18:19], s[18:19]
                                        ; implicit-def: $sgpr21
	s_xor_b64 exec, exec, s[18:19]
	s_cbranch_execnz .LBB6_2040
.LBB6_1827:
	s_or_b64 exec, exec, s[18:19]
	v_mov_b32_e32 v7, s21
	s_and_saveexec_b64 s[18:19], s[12:13]
.LBB6_1828:
	v_lshrrev_b32_e32 v2, 24, v2
	s_movk_i32 s12, 0x80
	v_and_or_b32 v7, v2, s12, v3
.LBB6_1829:
	s_or_b64 exec, exec, s[18:19]
.LBB6_1830:
	s_or_b64 exec, exec, s[10:11]
	global_store_byte v[4:5], v7, off
.LBB6_1831:
	s_mov_b64 s[10:11], -1
.LBB6_1832:
	s_mov_b64 s[12:13], 0
.LBB6_1833:
	s_and_b64 vcc, exec, s[12:13]
	s_cbranch_vccz .LBB6_1873
; %bb.1834:
	v_mov_b32_e32 v2, 22
	v_cmp_gt_i16_sdwa s[12:13], s33, v2 src0_sel:BYTE_0 src1_sel:DWORD
	s_mov_b64 s[2:3], -1
	s_and_b64 vcc, exec, s[12:13]
	s_cbranch_vccz .LBB6_1866
; %bb.1835:
	v_mov_b32_e32 v2, 24
	v_cmp_lt_i16_sdwa s[10:11], s33, v2 src0_sel:BYTE_0 src1_sel:DWORD
	s_and_b64 vcc, exec, s[10:11]
	s_cbranch_vccnz .LBB6_1855
; %bb.1836:
	v_cmp_gt_i16_sdwa s[10:11], s33, v2 src0_sel:BYTE_0 src1_sel:DWORD
	s_and_b64 vcc, exec, s[10:11]
	s_cbranch_vccz .LBB6_1844
; %bb.1837:
	v_cvt_f32_f64_e32 v2, v[0:1]
	v_and_b32_e32 v3, 0x7fffffff, v2
	s_mov_b32 s2, 0x47800000
	v_cmp_gt_u32_e32 vcc, s2, v3
	v_mov_b32_e32 v7, 0x80
	s_and_saveexec_b64 s[2:3], vcc
	s_cbranch_execz .LBB6_1843
; %bb.1838:
	s_mov_b32 s10, 0x37ffffff
	v_cmp_lt_u32_e32 vcc, s10, v3
	s_mov_b64 s[10:11], 0
                                        ; implicit-def: $vgpr3
	s_and_saveexec_b64 s[12:13], vcc
	s_xor_b64 s[12:13], exec, s[12:13]
	s_cbranch_execz .LBB6_2042
; %bb.1839:
	v_bfe_u32 v3, v2, 21, 1
	s_mov_b32 s18, 0x88fffff
	v_add3_u32 v3, v2, v3, s18
	s_mov_b64 s[10:11], exec
	v_lshrrev_b32_e32 v3, 21, v3
	s_or_saveexec_b64 s[12:13], s[12:13]
                                        ; implicit-def: $sgpr18
	s_xor_b64 exec, exec, s[12:13]
	s_cbranch_execnz .LBB6_2043
.LBB6_1840:
	s_or_b64 exec, exec, s[12:13]
	v_mov_b32_e32 v7, s18
	s_and_saveexec_b64 s[12:13], s[10:11]
.LBB6_1841:
	v_lshrrev_b32_e32 v2, 24, v2
	s_movk_i32 s10, 0x80
	v_and_or_b32 v7, v2, s10, v3
.LBB6_1842:
	s_or_b64 exec, exec, s[12:13]
.LBB6_1843:
	s_or_b64 exec, exec, s[2:3]
	s_mov_b64 s[2:3], 0
	global_store_byte v[4:5], v7, off
.LBB6_1844:
	s_and_b64 vcc, exec, s[2:3]
	s_cbranch_vccz .LBB6_1854
; %bb.1845:
	v_cvt_f32_f64_e32 v2, v[0:1]
	v_and_b32_e32 v7, 0x7fffffff, v2
	s_mov_b32 s2, 0x43f00000
	v_cmp_gt_u32_e32 vcc, s2, v7
                                        ; implicit-def: $vgpr3
	s_and_saveexec_b64 s[2:3], vcc
	s_xor_b64 s[2:3], exec, s[2:3]
	s_cbranch_execz .LBB6_1851
; %bb.1846:
	s_mov_b32 s10, 0x3c7fffff
	v_cmp_lt_u32_e32 vcc, s10, v7
                                        ; implicit-def: $vgpr3
	s_and_saveexec_b64 s[10:11], vcc
	s_xor_b64 s[10:11], exec, s[10:11]
; %bb.1847:
	v_bfe_u32 v3, v2, 20, 1
	s_mov_b32 s12, 0x407ffff
	v_add3_u32 v3, v2, v3, s12
	v_lshrrev_b32_e32 v7, 20, v3
	v_and_b32_e32 v3, 0xff00000, v3
	s_mov_b32 s12, 0x7f00000
	v_mov_b32_e32 v10, 0x7e
	v_cmp_ne_u32_e32 vcc, s12, v3
	v_cndmask_b32_e32 v3, v10, v7, vcc
; %bb.1848:
	s_andn2_saveexec_b64 s[10:11], s[10:11]
; %bb.1849:
	s_mov_b32 s12, 0x46800000
	v_add_f32_e64 v3, |v2|, s12
; %bb.1850:
	s_or_b64 exec, exec, s[10:11]
                                        ; implicit-def: $vgpr7
.LBB6_1851:
	s_andn2_saveexec_b64 s[2:3], s[2:3]
; %bb.1852:
	s_mov_b32 s10, 0x7f800000
	v_mov_b32_e32 v3, 0x7e
	v_mov_b32_e32 v10, 0x7f
	v_cmp_lt_u32_e32 vcc, s10, v7
	v_cndmask_b32_e32 v3, v3, v10, vcc
; %bb.1853:
	s_or_b64 exec, exec, s[2:3]
	v_lshrrev_b32_e32 v2, 24, v2
	s_movk_i32 s2, 0x80
	v_and_or_b32 v2, v2, s2, v3
	global_store_byte v[4:5], v2, off
.LBB6_1854:
	s_mov_b64 s[2:3], 0
.LBB6_1855:
	s_andn2_b64 vcc, exec, s[2:3]
	s_cbranch_vccnz .LBB6_1865
; %bb.1856:
	v_cvt_f32_f64_e32 v2, v[0:1]
	v_and_b32_e32 v7, 0x7fffffff, v2
	s_mov_b32 s2, 0x47800000
	v_cmp_gt_u32_e32 vcc, s2, v7
                                        ; implicit-def: $vgpr3
	s_and_saveexec_b64 s[2:3], vcc
	s_xor_b64 s[2:3], exec, s[2:3]
	s_cbranch_execz .LBB6_1862
; %bb.1857:
	s_mov_b32 s10, 0x387fffff
	v_cmp_lt_u32_e32 vcc, s10, v7
                                        ; implicit-def: $vgpr3
	s_and_saveexec_b64 s[10:11], vcc
	s_xor_b64 s[10:11], exec, s[10:11]
; %bb.1858:
	v_bfe_u32 v3, v2, 21, 1
	s_mov_b32 s12, 0x80fffff
	v_add3_u32 v3, v2, v3, s12
	v_lshrrev_b32_e32 v3, 21, v3
; %bb.1859:
	s_andn2_saveexec_b64 s[10:11], s[10:11]
; %bb.1860:
	s_mov_b32 s12, 0x43000000
	v_add_f32_e64 v3, |v2|, s12
; %bb.1861:
	s_or_b64 exec, exec, s[10:11]
                                        ; implicit-def: $vgpr7
.LBB6_1862:
	s_andn2_saveexec_b64 s[2:3], s[2:3]
; %bb.1863:
	s_mov_b32 s10, 0x7f800000
	v_mov_b32_e32 v3, 0x7c
	v_mov_b32_e32 v10, 0x7f
	v_cmp_lt_u32_e32 vcc, s10, v7
	v_cndmask_b32_e32 v3, v3, v10, vcc
; %bb.1864:
	s_or_b64 exec, exec, s[2:3]
	v_lshrrev_b32_e32 v2, 24, v2
	s_movk_i32 s2, 0x80
	v_and_or_b32 v2, v2, s2, v3
	global_store_byte v[4:5], v2, off
.LBB6_1865:
	s_mov_b64 s[2:3], 0
	s_mov_b64 s[10:11], -1
.LBB6_1866:
	s_andn2_b64 vcc, exec, s[2:3]
	s_mov_b64 s[2:3], 0
	s_cbranch_vccnz .LBB6_1873
; %bb.1867:
	v_mov_b32_e32 v2, 14
	v_cmp_gt_i16_sdwa s[2:3], s33, v2 src0_sel:BYTE_0 src1_sel:DWORD
	s_mov_b64 s[12:13], -1
	s_and_b64 vcc, exec, s[2:3]
	s_cbranch_vccz .LBB6_1871
; %bb.1868:
	v_mov_b32_e32 v2, 15
	v_cmp_eq_u16_sdwa s[2:3], s33, v2 src0_sel:BYTE_0 src1_sel:DWORD
	s_mov_b64 s[0:1], -1
	s_and_b64 vcc, exec, s[2:3]
	s_cbranch_vccz .LBB6_1870
; %bb.1869:
	v_cvt_f32_f64_e32 v2, v[0:1]
	v_bfe_u32 v3, v2, 16, 1
	s_movk_i32 s0, 0x7fff
	v_add3_u32 v3, v2, v3, s0
	v_lshrrev_b32_e32 v3, 16, v3
	v_mov_b32_e32 v7, 0x7fc0
	v_cmp_o_f32_e32 vcc, v2, v2
	v_cndmask_b32_e32 v2, v7, v3, vcc
	global_store_short v[4:5], v2, off
	s_mov_b64 s[0:1], 0
	s_mov_b64 s[10:11], -1
.LBB6_1870:
	s_mov_b64 s[12:13], 0
.LBB6_1871:
	s_mov_b64 s[2:3], 0
	s_and_b64 vcc, exec, s[12:13]
	s_cbranch_vccz .LBB6_1873
; %bb.1872:
	v_mov_b32_e32 v2, 11
	v_cmp_ne_u16_sdwa s[0:1], s33, v2 src0_sel:BYTE_0 src1_sel:DWORD
	s_mov_b64 s[2:3], -1
.LBB6_1873:
	s_and_b64 vcc, exec, s[0:1]
	s_cbranch_vccnz .LBB6_2041
; %bb.1874:
	s_andn2_b64 vcc, exec, s[2:3]
	s_cbranch_vccnz .LBB6_1876
.LBB6_1875:
	v_cmp_neq_f64_e32 vcc, 0, v[0:1]
	v_cndmask_b32_e64 v2, 0, 1, vcc
	s_mov_b64 s[10:11], -1
	global_store_byte v[4:5], v2, off
.LBB6_1876:
	s_mov_b64 s[0:1], 0
.LBB6_1877:
	s_and_b64 vcc, exec, s[0:1]
	s_cbranch_vccz .LBB6_1916
; %bb.1878:
	v_mov_b32_e32 v2, 5
	v_cmp_lt_i16_sdwa s[2:3], s33, v2 src0_sel:BYTE_0 src1_sel:DWORD
	s_mov_b64 s[0:1], -1
	s_and_b64 vcc, exec, s[2:3]
	s_cbranch_vccnz .LBB6_1899
; %bb.1879:
	v_mov_b32_e32 v2, 8
	v_cmp_lt_i16_sdwa s[2:3], s33, v2 src0_sel:BYTE_0 src1_sel:DWORD
	s_and_b64 vcc, exec, s[2:3]
	s_cbranch_vccnz .LBB6_1889
; %bb.1880:
	v_mov_b32_e32 v2, 9
	v_cmp_lt_i16_sdwa s[2:3], s33, v2 src0_sel:BYTE_0 src1_sel:DWORD
	s_and_b64 vcc, exec, s[2:3]
	s_cbranch_vccnz .LBB6_1886
; %bb.1881:
	v_cmp_gt_i16_sdwa s[2:3], s33, v2 src0_sel:BYTE_0 src1_sel:DWORD
	s_and_b64 vcc, exec, s[2:3]
	s_cbranch_vccz .LBB6_1883
; %bb.1882:
	v_mov_b32_e32 v2, 0
	v_mov_b32_e32 v3, v2
	global_store_dwordx4 v[4:5], v[0:3], off
	s_mov_b64 s[0:1], 0
.LBB6_1883:
	s_andn2_b64 vcc, exec, s[0:1]
	s_cbranch_vccnz .LBB6_1885
; %bb.1884:
	v_cvt_f32_f64_e32 v2, v[0:1]
	v_mov_b32_e32 v3, 0
	global_store_dwordx2 v[4:5], v[2:3], off
.LBB6_1885:
	s_mov_b64 s[0:1], 0
.LBB6_1886:
	s_andn2_b64 vcc, exec, s[0:1]
	s_cbranch_vccnz .LBB6_1888
; %bb.1887:
	v_cvt_f32_f64_e32 v2, v[0:1]
	v_cvt_f16_f32_e32 v2, v2
	global_store_dword v[4:5], v2, off
.LBB6_1888:
	s_mov_b64 s[0:1], 0
.LBB6_1889:
	s_andn2_b64 vcc, exec, s[0:1]
	s_cbranch_vccnz .LBB6_1898
; %bb.1890:
	v_mov_b32_e32 v2, 6
	v_cmp_lt_i16_sdwa s[2:3], s33, v2 src0_sel:BYTE_0 src1_sel:DWORD
	s_mov_b64 s[0:1], -1
	s_and_b64 vcc, exec, s[2:3]
	s_cbranch_vccnz .LBB6_1896
; %bb.1891:
	v_cmp_gt_i16_sdwa s[2:3], s33, v2 src0_sel:BYTE_0 src1_sel:DWORD
	s_and_b64 vcc, exec, s[2:3]
	s_cbranch_vccz .LBB6_1893
; %bb.1892:
	global_store_dwordx2 v[4:5], v[0:1], off
	s_mov_b64 s[0:1], 0
.LBB6_1893:
	s_andn2_b64 vcc, exec, s[0:1]
	s_cbranch_vccnz .LBB6_1895
; %bb.1894:
	v_cvt_f32_f64_e32 v2, v[0:1]
	global_store_dword v[4:5], v2, off
.LBB6_1895:
	s_mov_b64 s[0:1], 0
.LBB6_1896:
	s_andn2_b64 vcc, exec, s[0:1]
	s_cbranch_vccnz .LBB6_1898
; %bb.1897:
	v_cvt_f32_f64_e32 v2, v[0:1]
	v_cvt_f16_f32_e32 v2, v2
	global_store_short v[4:5], v2, off
.LBB6_1898:
	s_mov_b64 s[0:1], 0
.LBB6_1899:
	s_andn2_b64 vcc, exec, s[0:1]
	s_cbranch_vccnz .LBB6_1915
; %bb.1900:
	v_mov_b32_e32 v2, 2
	v_cmp_lt_i16_sdwa s[2:3], s33, v2 src0_sel:BYTE_0 src1_sel:DWORD
	s_mov_b64 s[0:1], -1
	s_and_b64 vcc, exec, s[2:3]
	s_cbranch_vccnz .LBB6_1910
; %bb.1901:
	v_mov_b32_e32 v2, 3
	v_cmp_lt_i16_sdwa s[2:3], s33, v2 src0_sel:BYTE_0 src1_sel:DWORD
	s_and_b64 vcc, exec, s[2:3]
	s_cbranch_vccnz .LBB6_1907
; %bb.1902:
	v_cmp_gt_i16_sdwa s[2:3], s33, v2 src0_sel:BYTE_0 src1_sel:DWORD
	s_and_b64 vcc, exec, s[2:3]
	s_cbranch_vccz .LBB6_1904
; %bb.1903:
	v_trunc_f64_e32 v[2:3], v[0:1]
	s_movk_i32 s0, 0xffe0
	v_ldexp_f64 v[10:11], v[2:3], s0
	v_floor_f64_e32 v[10:11], v[10:11]
	v_fmac_f64_e32 v[2:3], 0xc1f00000, v[10:11]
	v_cvt_i32_f64_e32 v13, v[10:11]
	v_cvt_u32_f64_e32 v12, v[2:3]
	global_store_dwordx2 v[4:5], v[12:13], off
	s_mov_b64 s[0:1], 0
.LBB6_1904:
	s_andn2_b64 vcc, exec, s[0:1]
	s_cbranch_vccnz .LBB6_1906
; %bb.1905:
	v_cvt_i32_f64_e32 v2, v[0:1]
	global_store_dword v[4:5], v2, off
.LBB6_1906:
	s_mov_b64 s[0:1], 0
.LBB6_1907:
	s_andn2_b64 vcc, exec, s[0:1]
	s_cbranch_vccnz .LBB6_1909
; %bb.1908:
	v_cvt_i32_f64_e32 v2, v[0:1]
	global_store_short v[4:5], v2, off
.LBB6_1909:
	s_mov_b64 s[0:1], 0
.LBB6_1910:
	s_andn2_b64 vcc, exec, s[0:1]
	s_cbranch_vccnz .LBB6_1915
; %bb.1911:
	v_mov_b32_e32 v2, 0
	v_cmp_gt_i16_sdwa s[2:3], s33, v2 src0_sel:BYTE_0 src1_sel:DWORD
	s_mov_b64 s[0:1], -1
	s_and_b64 vcc, exec, s[2:3]
	s_cbranch_vccz .LBB6_1913
; %bb.1912:
	v_cvt_i32_f64_e32 v2, v[0:1]
	global_store_byte v[4:5], v2, off
	s_mov_b64 s[0:1], 0
.LBB6_1913:
	s_andn2_b64 vcc, exec, s[0:1]
	s_cbranch_vccnz .LBB6_1915
; %bb.1914:
	v_trunc_f64_e32 v[0:1], v[0:1]
	s_movk_i32 s0, 0xffe0
	v_ldexp_f64 v[2:3], v[0:1], s0
	v_floor_f64_e32 v[2:3], v[2:3]
	v_fmac_f64_e32 v[0:1], 0xc1f00000, v[2:3]
	v_cvt_u32_f64_e32 v0, v[0:1]
	global_store_byte v[4:5], v0, off
.LBB6_1915:
	s_mov_b64 s[10:11], -1
.LBB6_1916:
	s_andn2_b64 vcc, exec, s[10:11]
	s_cbranch_vccnz .LBB6_1993
; %bb.1917:
	v_cmp_nge_f64_e64 s[0:1], v[8:9], -s[14:15]
	v_cmp_nge_f64_e32 vcc, s[14:15], v[8:9]
	s_or_b64 vcc, s[0:1], vcc
	v_add_u32_e32 v2, s20, v6
	v_cndmask_b32_e32 v1, 0, v9, vcc
	v_cndmask_b32_e32 v0, 0, v8, vcc
	v_ashrrev_i32_e32 v3, 31, v2
	v_mov_b32_e32 v5, s9
	v_add_co_u32_e32 v4, vcc, s8, v2
	v_mov_b32_e32 v2, 0xff
	v_addc_co_u32_e32 v5, vcc, v5, v3, vcc
	v_and_b32_e32 v6, s33, v2
	v_cmp_gt_i16_e32 vcc, 11, v6
	s_cbranch_vccnz .LBB6_2038
; %bb.1918:
	v_cmp_lt_i16_e32 vcc, 25, v6
	s_mov_b64 s[8:9], -1
	s_mov_b64 s[2:3], 0
	s_mov_b64 s[0:1], 0
	s_cbranch_vccz .LBB6_1951
; %bb.1919:
	v_cmp_lt_i16_e32 vcc, 28, v6
	s_cbranch_vccz .LBB6_1935
; %bb.1920:
	v_cmp_lt_i16_e32 vcc, 43, v6
	;; [unrolled: 3-line block ×3, first 2 shown]
	s_cbranch_vccz .LBB6_1925
; %bb.1922:
	v_cmp_eq_u16_e32 vcc, 46, v6
	s_mov_b64 s[0:1], -1
	s_cbranch_vccz .LBB6_1924
; %bb.1923:
	v_cvt_f32_f64_e32 v2, v[0:1]
	v_bfe_u32 v3, v2, 16, 1
	s_movk_i32 s0, 0x7fff
	v_add3_u32 v3, v2, v3, s0
	v_lshrrev_b32_e32 v3, 16, v3
	v_mov_b32_e32 v7, 0x7fc0
	v_cmp_o_f32_e32 vcc, v2, v2
	v_cndmask_b32_e32 v2, v7, v3, vcc
	global_store_dword v[4:5], v2, off
	s_mov_b64 s[0:1], 0
.LBB6_1924:
	s_mov_b64 s[8:9], 0
.LBB6_1925:
	s_and_b64 vcc, exec, s[8:9]
	s_cbranch_vccz .LBB6_1930
; %bb.1926:
	v_cmp_eq_u16_e32 vcc, 44, v6
	s_mov_b64 s[0:1], -1
	s_cbranch_vccz .LBB6_1930
; %bb.1927:
	v_cvt_f32_f64_e32 v2, v[0:1]
	v_bfe_u32 v3, v2, 23, 8
	s_movk_i32 s0, 0xff
	v_cmp_ne_u32_e32 vcc, s0, v3
	v_mov_b32_e32 v7, 0xff
	s_and_saveexec_b64 s[8:9], vcc
; %bb.1928:
	s_mov_b32 s0, 0x3fffff
	v_lshrrev_b32_e32 v7, 23, v2
	v_and_b32_e32 v8, 0x400000, v2
	v_and_or_b32 v2, v2, s0, v3
	v_cmp_ne_u32_e32 vcc, 0, v8
	v_cmp_ne_u32_e64 s[0:1], 0, v2
	s_and_b64 s[0:1], vcc, s[0:1]
	v_cndmask_b32_e64 v2, 0, 1, s[0:1]
	v_add_u32_e32 v7, v7, v2
; %bb.1929:
	s_or_b64 exec, exec, s[8:9]
	s_mov_b64 s[0:1], 0
	global_store_byte v[4:5], v7, off
.LBB6_1930:
	s_mov_b64 s[8:9], 0
.LBB6_1931:
	s_and_b64 vcc, exec, s[8:9]
	s_cbranch_vccz .LBB6_1934
; %bb.1932:
	v_cmp_eq_u16_e32 vcc, 29, v6
	s_mov_b64 s[0:1], -1
	s_cbranch_vccz .LBB6_1934
; %bb.1933:
	v_trunc_f64_e32 v[2:3], v[0:1]
	s_movk_i32 s0, 0xffe0
	v_ldexp_f64 v[8:9], v[2:3], s0
	v_floor_f64_e32 v[8:9], v[8:9]
	v_fmac_f64_e32 v[2:3], 0xc1f00000, v[8:9]
	v_cvt_u32_f64_e32 v11, v[8:9]
	v_cvt_u32_f64_e32 v10, v[2:3]
	global_store_dwordx2 v[4:5], v[10:11], off
	s_mov_b64 s[0:1], 0
.LBB6_1934:
	s_mov_b64 s[8:9], 0
.LBB6_1935:
	s_and_b64 vcc, exec, s[8:9]
	s_cbranch_vccz .LBB6_1950
; %bb.1936:
	v_cmp_gt_i16_e32 vcc, 27, v6
	s_mov_b64 s[8:9], -1
	s_cbranch_vccnz .LBB6_1942
; %bb.1937:
	v_cmp_lt_i16_e32 vcc, 27, v6
	v_cvt_u32_f64_e32 v2, v[0:1]
	s_cbranch_vccz .LBB6_1939
; %bb.1938:
	global_store_dword v[4:5], v2, off
	s_mov_b64 s[8:9], 0
.LBB6_1939:
	s_andn2_b64 vcc, exec, s[8:9]
	s_cbranch_vccnz .LBB6_1941
; %bb.1940:
	global_store_short v[4:5], v2, off
.LBB6_1941:
	s_mov_b64 s[8:9], 0
.LBB6_1942:
	s_andn2_b64 vcc, exec, s[8:9]
	s_cbranch_vccnz .LBB6_1950
; %bb.1943:
	v_cvt_f32_f64_e32 v2, v[0:1]
	v_and_b32_e32 v3, 0x7fffffff, v2
	s_mov_b32 s8, 0x43800000
	v_cmp_gt_u32_e32 vcc, s8, v3
	v_mov_b32_e32 v7, 0x80
	s_and_saveexec_b64 s[8:9], vcc
	s_cbranch_execz .LBB6_1949
; %bb.1944:
	s_mov_b32 s10, 0x3bffffff
	v_cmp_lt_u32_e32 vcc, s10, v3
	s_mov_b64 s[10:11], 0
                                        ; implicit-def: $vgpr3
	s_and_saveexec_b64 s[12:13], vcc
	s_xor_b64 s[12:13], exec, s[12:13]
	s_cbranch_execz .LBB6_2044
; %bb.1945:
	v_bfe_u32 v3, v2, 20, 1
	s_mov_b32 s14, 0x487ffff
	v_add3_u32 v3, v2, v3, s14
	s_mov_b64 s[10:11], exec
	v_lshrrev_b32_e32 v3, 20, v3
	s_or_saveexec_b64 s[12:13], s[12:13]
                                        ; implicit-def: $sgpr14
	s_xor_b64 exec, exec, s[12:13]
	s_cbranch_execnz .LBB6_2045
.LBB6_1946:
	s_or_b64 exec, exec, s[12:13]
	v_mov_b32_e32 v7, s14
	s_and_saveexec_b64 s[12:13], s[10:11]
.LBB6_1947:
	v_lshrrev_b32_e32 v2, 24, v2
	s_movk_i32 s10, 0x80
	v_and_or_b32 v7, v2, s10, v3
.LBB6_1948:
	s_or_b64 exec, exec, s[12:13]
.LBB6_1949:
	s_or_b64 exec, exec, s[8:9]
	global_store_byte v[4:5], v7, off
.LBB6_1950:
	s_mov_b64 s[8:9], 0
.LBB6_1951:
	s_and_b64 vcc, exec, s[8:9]
	s_cbranch_vccz .LBB6_1991
; %bb.1952:
	v_cmp_lt_i16_e32 vcc, 22, v6
	s_mov_b64 s[2:3], -1
	s_cbranch_vccz .LBB6_1984
; %bb.1953:
	v_cmp_gt_i16_e32 vcc, 24, v6
	s_cbranch_vccnz .LBB6_1973
; %bb.1954:
	v_cmp_lt_i16_e32 vcc, 24, v6
	s_cbranch_vccz .LBB6_1962
; %bb.1955:
	v_cvt_f32_f64_e32 v2, v[0:1]
	v_and_b32_e32 v3, 0x7fffffff, v2
	s_mov_b32 s2, 0x47800000
	v_cmp_gt_u32_e32 vcc, s2, v3
	v_mov_b32_e32 v7, 0x80
	s_and_saveexec_b64 s[2:3], vcc
	s_cbranch_execz .LBB6_1961
; %bb.1956:
	s_mov_b32 s8, 0x37ffffff
	v_cmp_lt_u32_e32 vcc, s8, v3
	s_mov_b64 s[8:9], 0
                                        ; implicit-def: $vgpr3
	s_and_saveexec_b64 s[10:11], vcc
	s_xor_b64 s[10:11], exec, s[10:11]
	s_cbranch_execz .LBB6_2047
; %bb.1957:
	v_bfe_u32 v3, v2, 21, 1
	s_mov_b32 s12, 0x88fffff
	v_add3_u32 v3, v2, v3, s12
	s_mov_b64 s[8:9], exec
	v_lshrrev_b32_e32 v3, 21, v3
	s_or_saveexec_b64 s[10:11], s[10:11]
                                        ; implicit-def: $sgpr12
	s_xor_b64 exec, exec, s[10:11]
	s_cbranch_execnz .LBB6_2048
.LBB6_1958:
	s_or_b64 exec, exec, s[10:11]
	v_mov_b32_e32 v7, s12
	s_and_saveexec_b64 s[10:11], s[8:9]
.LBB6_1959:
	v_lshrrev_b32_e32 v2, 24, v2
	s_movk_i32 s8, 0x80
	v_and_or_b32 v7, v2, s8, v3
.LBB6_1960:
	s_or_b64 exec, exec, s[10:11]
.LBB6_1961:
	s_or_b64 exec, exec, s[2:3]
	s_mov_b64 s[2:3], 0
	global_store_byte v[4:5], v7, off
.LBB6_1962:
	s_and_b64 vcc, exec, s[2:3]
	s_cbranch_vccz .LBB6_1972
; %bb.1963:
	v_cvt_f32_f64_e32 v2, v[0:1]
	v_and_b32_e32 v7, 0x7fffffff, v2
	s_mov_b32 s2, 0x43f00000
	v_cmp_gt_u32_e32 vcc, s2, v7
                                        ; implicit-def: $vgpr3
	s_and_saveexec_b64 s[2:3], vcc
	s_xor_b64 s[2:3], exec, s[2:3]
	s_cbranch_execz .LBB6_1969
; %bb.1964:
	s_mov_b32 s8, 0x3c7fffff
	v_cmp_lt_u32_e32 vcc, s8, v7
                                        ; implicit-def: $vgpr3
	s_and_saveexec_b64 s[8:9], vcc
	s_xor_b64 s[8:9], exec, s[8:9]
; %bb.1965:
	v_bfe_u32 v3, v2, 20, 1
	s_mov_b32 s10, 0x407ffff
	v_add3_u32 v3, v2, v3, s10
	v_lshrrev_b32_e32 v7, 20, v3
	v_and_b32_e32 v3, 0xff00000, v3
	s_mov_b32 s10, 0x7f00000
	v_mov_b32_e32 v8, 0x7e
	v_cmp_ne_u32_e32 vcc, s10, v3
	v_cndmask_b32_e32 v3, v8, v7, vcc
; %bb.1966:
	s_andn2_saveexec_b64 s[8:9], s[8:9]
; %bb.1967:
	s_mov_b32 s10, 0x46800000
	v_add_f32_e64 v3, |v2|, s10
; %bb.1968:
	s_or_b64 exec, exec, s[8:9]
                                        ; implicit-def: $vgpr7
.LBB6_1969:
	s_andn2_saveexec_b64 s[2:3], s[2:3]
; %bb.1970:
	s_mov_b32 s8, 0x7f800000
	v_mov_b32_e32 v3, 0x7e
	v_mov_b32_e32 v8, 0x7f
	v_cmp_lt_u32_e32 vcc, s8, v7
	v_cndmask_b32_e32 v3, v3, v8, vcc
; %bb.1971:
	s_or_b64 exec, exec, s[2:3]
	v_lshrrev_b32_e32 v2, 24, v2
	s_movk_i32 s2, 0x80
	v_and_or_b32 v2, v2, s2, v3
	global_store_byte v[4:5], v2, off
.LBB6_1972:
	s_mov_b64 s[2:3], 0
.LBB6_1973:
	s_andn2_b64 vcc, exec, s[2:3]
	s_cbranch_vccnz .LBB6_1983
; %bb.1974:
	v_cvt_f32_f64_e32 v2, v[0:1]
	v_and_b32_e32 v7, 0x7fffffff, v2
	s_mov_b32 s2, 0x47800000
	v_cmp_gt_u32_e32 vcc, s2, v7
                                        ; implicit-def: $vgpr3
	s_and_saveexec_b64 s[2:3], vcc
	s_xor_b64 s[2:3], exec, s[2:3]
	s_cbranch_execz .LBB6_1980
; %bb.1975:
	s_mov_b32 s8, 0x387fffff
	v_cmp_lt_u32_e32 vcc, s8, v7
                                        ; implicit-def: $vgpr3
	s_and_saveexec_b64 s[8:9], vcc
	s_xor_b64 s[8:9], exec, s[8:9]
; %bb.1976:
	v_bfe_u32 v3, v2, 21, 1
	s_mov_b32 s10, 0x80fffff
	v_add3_u32 v3, v2, v3, s10
	v_lshrrev_b32_e32 v3, 21, v3
; %bb.1977:
	s_andn2_saveexec_b64 s[8:9], s[8:9]
; %bb.1978:
	s_mov_b32 s10, 0x43000000
	v_add_f32_e64 v3, |v2|, s10
; %bb.1979:
	s_or_b64 exec, exec, s[8:9]
                                        ; implicit-def: $vgpr7
.LBB6_1980:
	s_andn2_saveexec_b64 s[2:3], s[2:3]
; %bb.1981:
	s_mov_b32 s8, 0x7f800000
	v_mov_b32_e32 v3, 0x7c
	v_mov_b32_e32 v8, 0x7f
	v_cmp_lt_u32_e32 vcc, s8, v7
	v_cndmask_b32_e32 v3, v3, v8, vcc
; %bb.1982:
	s_or_b64 exec, exec, s[2:3]
	v_lshrrev_b32_e32 v2, 24, v2
	s_movk_i32 s2, 0x80
	v_and_or_b32 v2, v2, s2, v3
	global_store_byte v[4:5], v2, off
.LBB6_1983:
	s_mov_b64 s[2:3], 0
.LBB6_1984:
	s_andn2_b64 vcc, exec, s[2:3]
	s_mov_b64 s[2:3], 0
	s_cbranch_vccnz .LBB6_1991
; %bb.1985:
	v_cmp_lt_i16_e32 vcc, 14, v6
	s_mov_b64 s[8:9], -1
	s_cbranch_vccz .LBB6_1989
; %bb.1986:
	v_cmp_eq_u16_e32 vcc, 15, v6
	s_mov_b64 s[0:1], -1
	s_cbranch_vccz .LBB6_1988
; %bb.1987:
	v_cvt_f32_f64_e32 v2, v[0:1]
	v_bfe_u32 v3, v2, 16, 1
	s_movk_i32 s0, 0x7fff
	v_add3_u32 v3, v2, v3, s0
	v_lshrrev_b32_e32 v3, 16, v3
	v_mov_b32_e32 v7, 0x7fc0
	v_cmp_o_f32_e32 vcc, v2, v2
	v_cndmask_b32_e32 v2, v7, v3, vcc
	global_store_short v[4:5], v2, off
	s_mov_b64 s[0:1], 0
.LBB6_1988:
	s_mov_b64 s[8:9], 0
.LBB6_1989:
	s_and_b64 vcc, exec, s[8:9]
	s_cbranch_vccz .LBB6_1991
; %bb.1990:
	v_cmp_ne_u16_e64 s[0:1], 11, v6
	s_mov_b64 s[2:3], -1
.LBB6_1991:
	s_and_b64 vcc, exec, s[0:1]
	s_cbranch_vccnz .LBB6_2046
.LBB6_1992:
	s_mov_b64 s[0:1], 0
	s_branch .LBB6_1994
.LBB6_1993:
	s_mov_b64 s[0:1], 0
	s_mov_b64 s[2:3], 0
                                        ; implicit-def: $vgpr6
                                        ; implicit-def: $vgpr4_vgpr5
                                        ; implicit-def: $vgpr0_vgpr1
.LBB6_1994:
	s_andn2_b64 s[6:7], s[6:7], exec
	s_and_b64 s[8:9], s[16:17], exec
	s_and_b64 s[0:1], s[0:1], exec
	;; [unrolled: 1-line block ×3, first 2 shown]
	s_or_b64 s[6:7], s[6:7], s[8:9]
.LBB6_1995:
	s_or_b64 exec, exec, s[4:5]
	s_and_saveexec_b64 s[4:5], s[6:7]
	s_cbranch_execz .LBB6_1998
; %bb.1996:
	; divergent unreachable
	s_or_b64 exec, exec, s[4:5]
	s_and_saveexec_b64 s[4:5], s[2:3]
	s_xor_b64 s[2:3], exec, s[4:5]
	s_cbranch_execnz .LBB6_1999
.LBB6_1997:
	s_or_b64 exec, exec, s[2:3]
	s_and_saveexec_b64 s[2:3], s[0:1]
	s_cbranch_execnz .LBB6_2000
	s_branch .LBB6_2037
.LBB6_1998:
	s_or_b64 exec, exec, s[4:5]
	s_and_saveexec_b64 s[4:5], s[2:3]
	s_xor_b64 s[2:3], exec, s[4:5]
	s_cbranch_execz .LBB6_1997
.LBB6_1999:
	s_waitcnt vmcnt(0)
	v_cmp_neq_f64_e32 vcc, 0, v[0:1]
	v_cndmask_b32_e64 v2, 0, 1, vcc
	global_store_byte v[4:5], v2, off
	s_or_b64 exec, exec, s[2:3]
	s_and_saveexec_b64 s[2:3], s[0:1]
	s_cbranch_execz .LBB6_2037
.LBB6_2000:
	s_waitcnt vmcnt(0)
	v_cmp_gt_i16_e32 vcc, 5, v6
	s_mov_b64 s[0:1], -1
	s_cbranch_vccnz .LBB6_2021
; %bb.2001:
	v_cmp_gt_i16_e32 vcc, 8, v6
	s_cbranch_vccnz .LBB6_2011
; %bb.2002:
	v_cmp_gt_i16_e32 vcc, 9, v6
	s_cbranch_vccnz .LBB6_2008
; %bb.2003:
	v_cmp_lt_i16_e32 vcc, 9, v6
	s_cbranch_vccz .LBB6_2005
; %bb.2004:
	v_mov_b32_e32 v2, 0
	v_mov_b32_e32 v3, v2
	global_store_dwordx4 v[4:5], v[0:3], off
	s_mov_b64 s[0:1], 0
.LBB6_2005:
	s_andn2_b64 vcc, exec, s[0:1]
	s_cbranch_vccnz .LBB6_2007
; %bb.2006:
	v_cvt_f32_f64_e32 v2, v[0:1]
	v_mov_b32_e32 v3, 0
	global_store_dwordx2 v[4:5], v[2:3], off
.LBB6_2007:
	s_mov_b64 s[0:1], 0
.LBB6_2008:
	s_andn2_b64 vcc, exec, s[0:1]
	s_cbranch_vccnz .LBB6_2010
; %bb.2009:
	v_cvt_f32_f64_e32 v2, v[0:1]
	v_cvt_f16_f32_e32 v2, v2
	global_store_dword v[4:5], v2, off
.LBB6_2010:
	s_mov_b64 s[0:1], 0
.LBB6_2011:
	s_andn2_b64 vcc, exec, s[0:1]
	s_cbranch_vccnz .LBB6_2020
; %bb.2012:
	v_cmp_gt_i16_e32 vcc, 6, v6
	s_mov_b64 s[0:1], -1
	s_cbranch_vccnz .LBB6_2018
; %bb.2013:
	v_cmp_lt_i16_e32 vcc, 6, v6
	s_cbranch_vccz .LBB6_2015
; %bb.2014:
	global_store_dwordx2 v[4:5], v[0:1], off
	s_mov_b64 s[0:1], 0
.LBB6_2015:
	s_andn2_b64 vcc, exec, s[0:1]
	s_cbranch_vccnz .LBB6_2017
; %bb.2016:
	v_cvt_f32_f64_e32 v2, v[0:1]
	global_store_dword v[4:5], v2, off
.LBB6_2017:
	s_mov_b64 s[0:1], 0
.LBB6_2018:
	s_andn2_b64 vcc, exec, s[0:1]
	s_cbranch_vccnz .LBB6_2020
; %bb.2019:
	v_cvt_f32_f64_e32 v2, v[0:1]
	v_cvt_f16_f32_e32 v2, v2
	global_store_short v[4:5], v2, off
.LBB6_2020:
	s_mov_b64 s[0:1], 0
.LBB6_2021:
	s_andn2_b64 vcc, exec, s[0:1]
	s_cbranch_vccnz .LBB6_2037
; %bb.2022:
	v_cmp_gt_i16_e32 vcc, 2, v6
	s_mov_b64 s[0:1], -1
	s_cbranch_vccnz .LBB6_2032
; %bb.2023:
	v_cmp_gt_i16_e32 vcc, 3, v6
	s_cbranch_vccnz .LBB6_2029
; %bb.2024:
	v_cmp_lt_i16_e32 vcc, 3, v6
	s_cbranch_vccz .LBB6_2026
; %bb.2025:
	v_trunc_f64_e32 v[2:3], v[0:1]
	s_movk_i32 s0, 0xffe0
	v_ldexp_f64 v[8:9], v[2:3], s0
	v_floor_f64_e32 v[8:9], v[8:9]
	v_fmac_f64_e32 v[2:3], 0xc1f00000, v[8:9]
	v_cvt_i32_f64_e32 v11, v[8:9]
	v_cvt_u32_f64_e32 v10, v[2:3]
	global_store_dwordx2 v[4:5], v[10:11], off
	s_mov_b64 s[0:1], 0
.LBB6_2026:
	s_andn2_b64 vcc, exec, s[0:1]
	s_cbranch_vccnz .LBB6_2028
; %bb.2027:
	v_cvt_i32_f64_e32 v2, v[0:1]
	global_store_dword v[4:5], v2, off
.LBB6_2028:
	s_mov_b64 s[0:1], 0
.LBB6_2029:
	s_andn2_b64 vcc, exec, s[0:1]
	s_cbranch_vccnz .LBB6_2031
; %bb.2030:
	v_cvt_i32_f64_e32 v2, v[0:1]
	global_store_short v[4:5], v2, off
.LBB6_2031:
	s_mov_b64 s[0:1], 0
.LBB6_2032:
	s_andn2_b64 vcc, exec, s[0:1]
	s_cbranch_vccnz .LBB6_2037
; %bb.2033:
	v_cmp_lt_i16_e32 vcc, 0, v6
	s_mov_b64 s[0:1], -1
	s_cbranch_vccz .LBB6_2035
; %bb.2034:
	v_cvt_i32_f64_e32 v2, v[0:1]
	global_store_byte v[4:5], v2, off
	s_mov_b64 s[0:1], 0
.LBB6_2035:
	s_andn2_b64 vcc, exec, s[0:1]
	s_cbranch_vccnz .LBB6_2037
; %bb.2036:
	v_trunc_f64_e32 v[0:1], v[0:1]
	s_movk_i32 s0, 0xffe0
	v_ldexp_f64 v[2:3], v[0:1], s0
	v_floor_f64_e32 v[2:3], v[2:3]
	v_fmac_f64_e32 v[0:1], 0xc1f00000, v[2:3]
	v_cvt_u32_f64_e32 v0, v[0:1]
	global_store_byte v[4:5], v0, off
	s_endpgm
.LBB6_2037:
	s_endpgm
.LBB6_2038:
	s_mov_b64 s[2:3], 0
	s_mov_b64 s[0:1], -1
	s_branch .LBB6_1994
.LBB6_2039:
	s_or_saveexec_b64 s[18:19], s[18:19]
                                        ; implicit-def: $sgpr21
	s_xor_b64 exec, exec, s[18:19]
	s_cbranch_execz .LBB6_1827
.LBB6_2040:
	s_mov_b32 s21, 0x46000000
	v_add_f32_e64 v3, |v2|, s21
	v_and_b32_e32 v3, 0xff, v3
	v_cmp_ne_u32_e32 vcc, 0, v3
	s_andn2_b64 s[12:13], s[12:13], exec
	s_and_b64 s[22:23], vcc, exec
	s_mov_b32 s21, 0
	s_or_b64 s[12:13], s[12:13], s[22:23]
	s_or_b64 exec, exec, s[18:19]
	v_mov_b32_e32 v7, s21
	s_and_saveexec_b64 s[18:19], s[12:13]
	s_cbranch_execnz .LBB6_1828
	s_branch .LBB6_1829
.LBB6_2041:
	s_trap 2
	s_or_b64 s[16:17], s[16:17], exec
	s_cbranch_execz .LBB6_1875
	s_branch .LBB6_1876
.LBB6_2042:
	s_or_saveexec_b64 s[12:13], s[12:13]
                                        ; implicit-def: $sgpr18
	s_xor_b64 exec, exec, s[12:13]
	s_cbranch_execz .LBB6_1840
.LBB6_2043:
	s_mov_b32 s18, 0x42800000
	v_add_f32_e64 v3, |v2|, s18
	v_and_b32_e32 v3, 0xff, v3
	v_cmp_ne_u32_e32 vcc, 0, v3
	s_andn2_b64 s[10:11], s[10:11], exec
	s_and_b64 s[22:23], vcc, exec
	s_mov_b32 s18, 0
	s_or_b64 s[10:11], s[10:11], s[22:23]
	s_or_b64 exec, exec, s[12:13]
	v_mov_b32_e32 v7, s18
	s_and_saveexec_b64 s[12:13], s[10:11]
	s_cbranch_execnz .LBB6_1841
	s_branch .LBB6_1842
.LBB6_2044:
	s_or_saveexec_b64 s[12:13], s[12:13]
                                        ; implicit-def: $sgpr14
	s_xor_b64 exec, exec, s[12:13]
	s_cbranch_execz .LBB6_1946
.LBB6_2045:
	s_mov_b32 s14, 0x46000000
	v_add_f32_e64 v3, |v2|, s14
	v_and_b32_e32 v3, 0xff, v3
	v_cmp_ne_u32_e32 vcc, 0, v3
	s_andn2_b64 s[10:11], s[10:11], exec
	s_and_b64 s[18:19], vcc, exec
	s_mov_b32 s14, 0
	s_or_b64 s[10:11], s[10:11], s[18:19]
	s_or_b64 exec, exec, s[12:13]
	v_mov_b32_e32 v7, s14
	s_and_saveexec_b64 s[12:13], s[10:11]
	s_cbranch_execnz .LBB6_1947
	s_branch .LBB6_1948
.LBB6_2046:
	s_mov_b64 s[2:3], 0
	s_or_b64 s[16:17], s[16:17], exec
	s_trap 2
	s_branch .LBB6_1992
.LBB6_2047:
	s_or_saveexec_b64 s[10:11], s[10:11]
                                        ; implicit-def: $sgpr12
	s_xor_b64 exec, exec, s[10:11]
	s_cbranch_execz .LBB6_1958
.LBB6_2048:
	s_mov_b32 s12, 0x42800000
	v_add_f32_e64 v3, |v2|, s12
	v_and_b32_e32 v3, 0xff, v3
	v_cmp_ne_u32_e32 vcc, 0, v3
	s_andn2_b64 s[8:9], s[8:9], exec
	s_and_b64 s[14:15], vcc, exec
	s_mov_b32 s12, 0
	s_or_b64 s[8:9], s[8:9], s[14:15]
	s_or_b64 exec, exec, s[10:11]
	v_mov_b32_e32 v7, s12
	s_and_saveexec_b64 s[10:11], s[8:9]
	s_cbranch_execnz .LBB6_1959
	s_branch .LBB6_1960
	.section	.rodata,"a",@progbits
	.p2align	6, 0x0
	.amdhsa_kernel _ZN2at6native32elementwise_kernel_manual_unrollILi128ELi4EZNS0_15gpu_kernel_implIZZZNS0_12_GLOBAL__N_117hardshrink_kernelERNS_18TensorIteratorBaseERKN3c106ScalarEENKUlvE_clEvENKUlvE_clEvEUldE_EEvS5_RKT_EUlibE_EEviT1_
		.amdhsa_group_segment_fixed_size 0
		.amdhsa_private_segment_fixed_size 0
		.amdhsa_kernarg_size 48
		.amdhsa_user_sgpr_count 6
		.amdhsa_user_sgpr_private_segment_buffer 1
		.amdhsa_user_sgpr_dispatch_ptr 0
		.amdhsa_user_sgpr_queue_ptr 0
		.amdhsa_user_sgpr_kernarg_segment_ptr 1
		.amdhsa_user_sgpr_dispatch_id 0
		.amdhsa_user_sgpr_flat_scratch_init 0
		.amdhsa_user_sgpr_kernarg_preload_length 0
		.amdhsa_user_sgpr_kernarg_preload_offset 0
		.amdhsa_user_sgpr_private_segment_size 0
		.amdhsa_uses_dynamic_stack 0
		.amdhsa_system_sgpr_private_segment_wavefront_offset 0
		.amdhsa_system_sgpr_workgroup_id_x 1
		.amdhsa_system_sgpr_workgroup_id_y 0
		.amdhsa_system_sgpr_workgroup_id_z 0
		.amdhsa_system_sgpr_workgroup_info 0
		.amdhsa_system_vgpr_workitem_id 0
		.amdhsa_next_free_vgpr 18
		.amdhsa_next_free_sgpr 46
		.amdhsa_accum_offset 20
		.amdhsa_reserve_vcc 1
		.amdhsa_reserve_flat_scratch 0
		.amdhsa_float_round_mode_32 0
		.amdhsa_float_round_mode_16_64 0
		.amdhsa_float_denorm_mode_32 3
		.amdhsa_float_denorm_mode_16_64 3
		.amdhsa_dx10_clamp 1
		.amdhsa_ieee_mode 1
		.amdhsa_fp16_overflow 0
		.amdhsa_tg_split 0
		.amdhsa_exception_fp_ieee_invalid_op 0
		.amdhsa_exception_fp_denorm_src 0
		.amdhsa_exception_fp_ieee_div_zero 0
		.amdhsa_exception_fp_ieee_overflow 0
		.amdhsa_exception_fp_ieee_underflow 0
		.amdhsa_exception_fp_ieee_inexact 0
		.amdhsa_exception_int_div_zero 0
	.end_amdhsa_kernel
	.section	.text._ZN2at6native32elementwise_kernel_manual_unrollILi128ELi4EZNS0_15gpu_kernel_implIZZZNS0_12_GLOBAL__N_117hardshrink_kernelERNS_18TensorIteratorBaseERKN3c106ScalarEENKUlvE_clEvENKUlvE_clEvEUldE_EEvS5_RKT_EUlibE_EEviT1_,"axG",@progbits,_ZN2at6native32elementwise_kernel_manual_unrollILi128ELi4EZNS0_15gpu_kernel_implIZZZNS0_12_GLOBAL__N_117hardshrink_kernelERNS_18TensorIteratorBaseERKN3c106ScalarEENKUlvE_clEvENKUlvE_clEvEUldE_EEvS5_RKT_EUlibE_EEviT1_,comdat
.Lfunc_end6:
	.size	_ZN2at6native32elementwise_kernel_manual_unrollILi128ELi4EZNS0_15gpu_kernel_implIZZZNS0_12_GLOBAL__N_117hardshrink_kernelERNS_18TensorIteratorBaseERKN3c106ScalarEENKUlvE_clEvENKUlvE_clEvEUldE_EEvS5_RKT_EUlibE_EEviT1_, .Lfunc_end6-_ZN2at6native32elementwise_kernel_manual_unrollILi128ELi4EZNS0_15gpu_kernel_implIZZZNS0_12_GLOBAL__N_117hardshrink_kernelERNS_18TensorIteratorBaseERKN3c106ScalarEENKUlvE_clEvENKUlvE_clEvEUldE_EEvS5_RKT_EUlibE_EEviT1_
                                        ; -- End function
	.section	.AMDGPU.csdata,"",@progbits
; Kernel info:
; codeLenInByte = 34244
; NumSgprs: 50
; NumVgprs: 18
; NumAgprs: 0
; TotalNumVgprs: 18
; ScratchSize: 0
; MemoryBound: 1
; FloatMode: 240
; IeeeMode: 1
; LDSByteSize: 0 bytes/workgroup (compile time only)
; SGPRBlocks: 6
; VGPRBlocks: 2
; NumSGPRsForWavesPerEU: 50
; NumVGPRsForWavesPerEU: 18
; AccumOffset: 20
; Occupancy: 8
; WaveLimiterHint : 0
; COMPUTE_PGM_RSRC2:SCRATCH_EN: 0
; COMPUTE_PGM_RSRC2:USER_SGPR: 6
; COMPUTE_PGM_RSRC2:TRAP_HANDLER: 0
; COMPUTE_PGM_RSRC2:TGID_X_EN: 1
; COMPUTE_PGM_RSRC2:TGID_Y_EN: 0
; COMPUTE_PGM_RSRC2:TGID_Z_EN: 0
; COMPUTE_PGM_RSRC2:TIDIG_COMP_CNT: 0
; COMPUTE_PGM_RSRC3_GFX90A:ACCUM_OFFSET: 4
; COMPUTE_PGM_RSRC3_GFX90A:TG_SPLIT: 0
	.section	.text._ZN2at6native32elementwise_kernel_manual_unrollILi128ELi4EZNS0_15gpu_kernel_implIZZZNS0_12_GLOBAL__N_117hardshrink_kernelERNS_18TensorIteratorBaseERKN3c106ScalarEENKUlvE_clEvENKUlvE_clEvEUldE_EEvS5_RKT_EUlibE0_EEviT1_,"axG",@progbits,_ZN2at6native32elementwise_kernel_manual_unrollILi128ELi4EZNS0_15gpu_kernel_implIZZZNS0_12_GLOBAL__N_117hardshrink_kernelERNS_18TensorIteratorBaseERKN3c106ScalarEENKUlvE_clEvENKUlvE_clEvEUldE_EEvS5_RKT_EUlibE0_EEviT1_,comdat
	.globl	_ZN2at6native32elementwise_kernel_manual_unrollILi128ELi4EZNS0_15gpu_kernel_implIZZZNS0_12_GLOBAL__N_117hardshrink_kernelERNS_18TensorIteratorBaseERKN3c106ScalarEENKUlvE_clEvENKUlvE_clEvEUldE_EEvS5_RKT_EUlibE0_EEviT1_ ; -- Begin function _ZN2at6native32elementwise_kernel_manual_unrollILi128ELi4EZNS0_15gpu_kernel_implIZZZNS0_12_GLOBAL__N_117hardshrink_kernelERNS_18TensorIteratorBaseERKN3c106ScalarEENKUlvE_clEvENKUlvE_clEvEUldE_EEvS5_RKT_EUlibE0_EEviT1_
	.p2align	8
	.type	_ZN2at6native32elementwise_kernel_manual_unrollILi128ELi4EZNS0_15gpu_kernel_implIZZZNS0_12_GLOBAL__N_117hardshrink_kernelERNS_18TensorIteratorBaseERKN3c106ScalarEENKUlvE_clEvENKUlvE_clEvEUldE_EEvS5_RKT_EUlibE0_EEviT1_,@function
_ZN2at6native32elementwise_kernel_manual_unrollILi128ELi4EZNS0_15gpu_kernel_implIZZZNS0_12_GLOBAL__N_117hardshrink_kernelERNS_18TensorIteratorBaseERKN3c106ScalarEENKUlvE_clEvENKUlvE_clEvEUldE_EEvS5_RKT_EUlibE0_EEviT1_: ; @_ZN2at6native32elementwise_kernel_manual_unrollILi128ELi4EZNS0_15gpu_kernel_implIZZZNS0_12_GLOBAL__N_117hardshrink_kernelERNS_18TensorIteratorBaseERKN3c106ScalarEENKUlvE_clEvENKUlvE_clEvEUldE_EEvS5_RKT_EUlibE0_EEviT1_
; %bb.0:
	s_load_dword s74, s[4:5], 0x0
	s_load_dword s33, s[4:5], 0x8
	s_or_b32 s34, s4, 8
	v_lshl_or_b32 v12, s6, 9, v0
	v_or_b32_e32 v15, 0x180, v12
	s_mov_b32 s35, s5
	s_waitcnt lgkmcnt(0)
	s_add_i32 s76, s33, -1
	s_cmp_gt_u32 s76, 1
	v_cmp_le_i32_e32 vcc, s74, v15
	s_cselect_b64 s[40:41], -1, 0
	s_mov_b64 s[6:7], 0
	s_mov_b64 s[28:29], 0
	s_and_saveexec_b64 s[0:1], vcc
	s_xor_b64 s[42:43], exec, s[0:1]
	s_cbranch_execz .LBB7_1090
; %bb.1:
	s_load_dwordx4 s[28:31], s[34:35], 0x4
	s_load_dwordx2 s[46:47], s[34:35], 0x14
	s_load_dwordx2 s[44:45], s[34:35], 0x158
	s_load_dword s77, s[34:35], 0x160
	s_cmp_lg_u32 s33, 0
	s_load_dwordx4 s[36:39], s[34:35], 0xc4
	s_load_dwordx4 s[24:27], s[34:35], 0x148
	s_cselect_b64 s[52:53], -1, 0
	s_add_u32 s50, s34, 0xc4
	s_addc_u32 s51, s35, 0
	s_min_u32 s75, s76, 15
	s_cmp_gt_u32 s33, 1
	s_cselect_b64 s[48:49], -1, 0
	s_waitcnt lgkmcnt(0)
	v_lshrrev_b16_e64 v8, 8, s77
	v_cmp_gt_i32_e32 vcc, s74, v12
	s_mov_b64 s[2:3], -1
	s_mov_b64 s[62:63], 0
	s_mov_b64 s[56:57], 0
	;; [unrolled: 1-line block ×3, first 2 shown]
	s_and_saveexec_b64 s[58:59], vcc
	s_cbranch_execz .LBB7_267
; %bb.2:
	s_andn2_b64 vcc, exec, s[40:41]
	s_cbranch_vccnz .LBB7_8
; %bb.3:
	s_mov_b32 s54, 0
	s_andn2_b64 vcc, exec, s[52:53]
	v_mov_b32_e32 v0, 0
	v_mov_b32_e32 v2, 0
	s_cbranch_vccnz .LBB7_14
; %bb.4:
	s_add_i32 s64, s75, 1
	s_cmp_eq_u32 s76, 2
	s_cbranch_scc1 .LBB7_9
; %bb.5:
	s_and_b32 s54, s64, 28
	s_mov_b32 s55, 0
	v_mov_b32_e32 v2, 0
	s_mov_b64 s[56:57], s[34:35]
	s_mov_b64 s[60:61], s[50:51]
	v_mov_b32_e32 v1, v12
	v_mov_b32_e32 v0, 0
.LBB7_6:                                ; =>This Inner Loop Header: Depth=1
	s_load_dwordx8 s[16:23], s[56:57], 0x4
	s_load_dwordx4 s[0:3], s[56:57], 0x24
	s_load_dwordx8 s[8:15], s[60:61], 0x0
	s_add_u32 s56, s56, 48
	s_addc_u32 s57, s57, 0
	s_waitcnt lgkmcnt(0)
	v_mul_hi_u32 v3, s17, v1
	v_add_u32_e32 v3, v1, v3
	v_lshrrev_b32_e32 v3, s18, v3
	v_mul_lo_u32 v4, v3, s16
	v_mul_hi_u32 v5, s20, v3
	v_sub_u32_e32 v1, v1, v4
	v_add_u32_e32 v4, v3, v5
	v_lshrrev_b32_e32 v4, s21, v4
	v_mul_lo_u32 v6, v4, s19
	v_mul_hi_u32 v7, s23, v4
	v_sub_u32_e32 v3, v3, v6
	v_add_u32_e32 v6, v4, v7
	v_mul_lo_u32 v5, v1, s9
	v_mul_lo_u32 v1, v1, s8
	;; [unrolled: 1-line block ×4, first 2 shown]
	v_lshrrev_b32_e32 v6, s0, v6
	v_add3_u32 v2, v1, v2, v3
	v_mul_lo_u32 v1, v6, s22
	v_mul_hi_u32 v3, s2, v6
	v_sub_u32_e32 v1, v4, v1
	v_add_u32_e32 v3, v6, v3
	v_add3_u32 v0, v5, v0, v7
	v_mul_lo_u32 v4, v1, s12
	v_mul_lo_u32 v5, v1, s13
	v_lshrrev_b32_e32 v1, s3, v3
	s_add_i32 s55, s55, 4
	v_mul_lo_u32 v3, v1, s1
	s_add_u32 s60, s60, 32
	v_sub_u32_e32 v3, v6, v3
	s_addc_u32 s61, s61, 0
	v_mul_lo_u32 v6, v3, s14
	v_mul_lo_u32 v3, v3, s15
	s_cmp_lg_u32 s54, s55
	v_add3_u32 v0, v5, v0, v3
	v_add3_u32 v2, v4, v2, v6
	s_cbranch_scc1 .LBB7_6
; %bb.7:
	v_mov_b32_e32 v3, v0
	s_branch .LBB7_10
.LBB7_8:
                                        ; implicit-def: $vgpr0
                                        ; implicit-def: $vgpr2
	s_branch .LBB7_15
.LBB7_9:
	s_mov_b32 s55, s54
	v_pk_mov_b32 v[2:3], s[54:55], s[54:55] op_sel:[0,1]
                                        ; implicit-def: $vgpr0
	v_mov_b32_e32 v1, v12
.LBB7_10:
	s_and_b32 s8, s64, 3
	s_cmp_eq_u32 s8, 0
	s_cbranch_scc1 .LBB7_14
; %bb.11:
	s_lshl_b32 s0, s54, 3
	s_add_u32 s0, s0, s34
	s_addc_u32 s1, s35, 0
	s_add_u32 s0, s0, 0xc4
	s_addc_u32 s1, s1, 0
	s_mul_i32 s2, s54, 12
	s_add_u32 s2, s34, s2
	s_addc_u32 s3, s35, 0
.LBB7_12:                               ; =>This Inner Loop Header: Depth=1
	s_load_dwordx2 s[10:11], s[2:3], 0x4
	s_load_dword s9, s[2:3], 0xc
	s_load_dwordx2 s[12:13], s[0:1], 0x0
	v_mov_b32_e32 v0, v3
	s_add_u32 s2, s2, 12
	s_waitcnt lgkmcnt(0)
	v_mul_hi_u32 v3, s11, v1
	v_add_u32_e32 v3, v1, v3
	v_lshrrev_b32_e32 v3, s9, v3
	s_addc_u32 s3, s3, 0
	v_mul_lo_u32 v4, v3, s10
	s_add_u32 s0, s0, 8
	v_sub_u32_e32 v6, v1, v4
	v_mov_b32_e32 v1, v3
	s_addc_u32 s1, s1, 0
	s_add_i32 s8, s8, -1
	v_mad_u64_u32 v[4:5], s[10:11], v6, s13, v[0:1]
	v_mad_u64_u32 v[2:3], s[10:11], v6, s12, v[2:3]
	s_cmp_lg_u32 s8, 0
	v_mov_b32_e32 v3, v4
	s_cbranch_scc1 .LBB7_12
; %bb.13:
	v_mov_b32_e32 v0, v3
.LBB7_14:
	s_cbranch_execnz .LBB7_17
.LBB7_15:
	v_mul_hi_u32 v0, s29, v12
	v_add_u32_e32 v0, v12, v0
	v_lshrrev_b32_e32 v1, s30, v0
	v_mul_lo_u32 v0, v1, s28
	v_sub_u32_e32 v2, v12, v0
	v_mul_lo_u32 v0, v2, s37
	s_andn2_b64 vcc, exec, s[48:49]
	v_mul_lo_u32 v2, v2, s36
	s_cbranch_vccnz .LBB7_17
; %bb.16:
	v_mul_hi_u32 v3, s46, v1
	v_add_u32_e32 v3, v1, v3
	v_lshrrev_b32_e32 v3, s47, v3
	v_mul_lo_u32 v3, v3, s31
	v_sub_u32_e32 v1, v1, v3
	v_mad_u64_u32 v[2:3], s[0:1], v1, s38, v[2:3]
	v_mad_u64_u32 v[0:1], s[0:1], v1, s39, v[0:1]
.LBB7_17:
	v_mov_b32_e32 v1, s27
	v_add_co_u32_e32 v0, vcc, s26, v0
	v_addc_co_u32_e32 v1, vcc, 0, v1, vcc
	v_cmp_gt_i16_e32 vcc, 11, v8
	s_cbranch_vccnz .LBB7_24
; %bb.18:
	v_cmp_lt_i16_e32 vcc, 25, v8
	s_cbranch_vccz .LBB7_33
; %bb.19:
	v_cmp_lt_i16_e32 vcc, 28, v8
	s_cbranch_vccz .LBB7_36
	;; [unrolled: 3-line block ×4, first 2 shown]
; %bb.22:
	v_cmp_eq_u16_e32 vcc, 46, v8
	s_mov_b64 s[8:9], 0
	s_cbranch_vccz .LBB7_42
; %bb.23:
	global_load_dword v3, v[0:1], off
	s_mov_b64 s[0:1], -1
	s_mov_b64 s[2:3], 0
	s_waitcnt vmcnt(0)
	v_lshlrev_b32_e32 v3, 16, v3
	v_cvt_f64_f32_e32 v[4:5], v3
	s_branch .LBB7_44
.LBB7_24:
	s_mov_b64 s[2:3], 0
                                        ; implicit-def: $vgpr4_vgpr5
	s_mov_b64 s[0:1], 0
	s_cbranch_execnz .LBB7_217
.LBB7_25:
	s_andn2_b64 vcc, exec, s[0:1]
	s_cbranch_vccnz .LBB7_264
.LBB7_26:
	s_waitcnt vmcnt(0)
	v_cmp_nge_f64_e64 s[0:1], v[4:5], -s[44:45]
	v_cmp_nge_f64_e32 vcc, s[44:45], v[4:5]
	s_or_b64 vcc, s[0:1], vcc
	v_cndmask_b32_e32 v1, 0, v5, vcc
	v_cndmask_b32_e32 v0, 0, v4, vcc
	v_mov_b32_e32 v3, s25
	v_add_co_u32_e32 v4, vcc, s24, v2
	v_mov_b32_e32 v2, 11
	v_addc_co_u32_e32 v5, vcc, 0, v3, vcc
	v_cmp_lt_i16_sdwa s[0:1], s77, v2 src0_sel:BYTE_0 src1_sel:DWORD
	s_and_b64 vcc, exec, s[0:1]
	s_cbranch_vccnz .LBB7_34
; %bb.27:
	v_mov_b32_e32 v2, 25
	v_cmp_gt_i16_sdwa s[0:1], s77, v2 src0_sel:BYTE_0 src1_sel:DWORD
	s_and_b64 vcc, exec, s[0:1]
	s_cbranch_vccz .LBB7_37
; %bb.28:
	v_mov_b32_e32 v2, 28
	v_cmp_gt_i16_sdwa s[0:1], s77, v2 src0_sel:BYTE_0 src1_sel:DWORD
	s_and_b64 vcc, exec, s[0:1]
	s_cbranch_vccz .LBB7_39
	;; [unrolled: 5-line block ×4, first 2 shown]
; %bb.31:
	v_mov_b32_e32 v2, 46
	v_cmp_eq_u16_sdwa s[8:9], s77, v2 src0_sel:BYTE_0 src1_sel:DWORD
	s_mov_b64 s[10:11], 0
	s_mov_b64 s[0:1], -1
	s_and_b64 vcc, exec, s[8:9]
	s_mov_b64 s[8:9], 0
	s_cbranch_vccz .LBB7_48
; %bb.32:
	v_cvt_f32_f64_e32 v2, v[0:1]
	v_bfe_u32 v3, v2, 16, 1
	s_movk_i32 s0, 0x7fff
	v_add3_u32 v3, v2, v3, s0
	v_lshrrev_b32_e32 v3, 16, v3
	v_mov_b32_e32 v6, 0x7fc0
	v_cmp_o_f32_e32 vcc, v2, v2
	v_cndmask_b32_e32 v2, v6, v3, vcc
	global_store_dword v[4:5], v2, off
	s_mov_b64 s[8:9], -1
	s_mov_b64 s[0:1], 0
	s_branch .LBB7_48
.LBB7_33:
	s_mov_b64 s[2:3], 0
	s_mov_b64 s[0:1], 0
                                        ; implicit-def: $vgpr4_vgpr5
	s_cbranch_execnz .LBB7_182
	s_branch .LBB7_216
.LBB7_34:
	s_mov_b64 s[0:1], 0
	s_mov_b64 s[8:9], 0
	s_cbranch_execnz .LBB7_117
.LBB7_35:
	s_andn2_b64 vcc, exec, s[8:9]
	s_cbranch_vccnz .LBB7_265
	s_branch .LBB7_155
.LBB7_36:
	s_mov_b64 s[8:9], -1
	s_mov_b64 s[2:3], 0
	s_mov_b64 s[0:1], 0
                                        ; implicit-def: $vgpr4_vgpr5
	s_branch .LBB7_163
.LBB7_37:
	s_mov_b64 s[10:11], -1
	s_mov_b64 s[0:1], 0
	s_mov_b64 s[8:9], 0
	s_branch .LBB7_75
.LBB7_38:
	s_mov_b64 s[8:9], -1
	s_mov_b64 s[2:3], 0
	s_mov_b64 s[0:1], 0
                                        ; implicit-def: $vgpr4_vgpr5
	s_branch .LBB7_158
.LBB7_39:
	s_mov_b64 s[10:11], -1
	s_mov_b64 s[0:1], 0
	s_mov_b64 s[8:9], 0
	s_branch .LBB7_58
.LBB7_40:
	s_mov_b64 s[8:9], -1
	s_mov_b64 s[2:3], 0
	s_branch .LBB7_43
.LBB7_41:
	s_mov_b64 s[10:11], -1
	s_mov_b64 s[0:1], 0
	s_mov_b64 s[8:9], 0
	s_branch .LBB7_54
.LBB7_42:
	s_mov_b64 s[2:3], -1
.LBB7_43:
	s_mov_b64 s[0:1], 0
                                        ; implicit-def: $vgpr4_vgpr5
.LBB7_44:
	s_and_b64 vcc, exec, s[8:9]
	s_cbranch_vccz .LBB7_157
; %bb.45:
	v_cmp_eq_u16_e32 vcc, 44, v8
	s_cbranch_vccz .LBB7_156
; %bb.46:
	global_load_ubyte v3, v[0:1], off
	s_movk_i32 s2, 0xff
	v_bfrev_b32_e32 v6, 4
	v_mov_b32_e32 v7, 0x7ff80000
	v_bfrev_b32_e32 v9, 28
	s_mov_b64 s[0:1], -1
	s_waitcnt vmcnt(0)
	v_lshlrev_b32_e32 v4, 23, v3
	v_cvt_f64_f32_e32 v[4:5], v4
	v_cmp_ne_u32_e32 vcc, s2, v3
	v_cndmask_b32_e32 v4, v6, v4, vcc
	v_cndmask_b32_e32 v5, v7, v5, vcc
	v_cmp_ne_u32_e32 vcc, 0, v3
	v_cndmask_b32_e32 v5, v9, v5, vcc
	v_cndmask_b32_e32 v4, 0, v4, vcc
	s_mov_b64 s[2:3], 0
	s_branch .LBB7_157
.LBB7_47:
	s_mov_b64 s[10:11], -1
	s_mov_b64 s[0:1], 0
	s_mov_b64 s[8:9], 0
.LBB7_48:
	s_and_b64 vcc, exec, s[10:11]
	s_cbranch_vccz .LBB7_53
; %bb.49:
	v_mov_b32_e32 v2, 44
	v_cmp_eq_u16_sdwa s[10:11], s77, v2 src0_sel:BYTE_0 src1_sel:DWORD
	s_mov_b64 s[0:1], -1
	s_and_b64 vcc, exec, s[10:11]
	s_cbranch_vccz .LBB7_53
; %bb.50:
	v_cvt_f32_f64_e32 v2, v[0:1]
	v_bfe_u32 v3, v2, 23, 8
	s_movk_i32 s0, 0xff
	v_cmp_ne_u32_e32 vcc, s0, v3
	v_mov_b32_e32 v6, 0xff
	s_and_saveexec_b64 s[8:9], vcc
; %bb.51:
	s_mov_b32 s0, 0x3fffff
	v_lshrrev_b32_e32 v6, 23, v2
	v_and_b32_e32 v7, 0x400000, v2
	v_and_or_b32 v2, v2, s0, v3
	v_cmp_ne_u32_e32 vcc, 0, v7
	v_cmp_ne_u32_e64 s[0:1], 0, v2
	s_and_b64 s[0:1], vcc, s[0:1]
	v_cndmask_b32_e64 v2, 0, 1, s[0:1]
	v_add_u32_e32 v6, v6, v2
; %bb.52:
	s_or_b64 exec, exec, s[8:9]
	s_mov_b64 s[8:9], -1
	s_mov_b64 s[0:1], 0
	global_store_byte v[4:5], v6, off
.LBB7_53:
	s_mov_b64 s[10:11], 0
.LBB7_54:
	s_and_b64 vcc, exec, s[10:11]
	s_cbranch_vccz .LBB7_57
; %bb.55:
	v_mov_b32_e32 v2, 29
	v_cmp_eq_u16_sdwa s[10:11], s77, v2 src0_sel:BYTE_0 src1_sel:DWORD
	s_mov_b64 s[0:1], -1
	s_and_b64 vcc, exec, s[10:11]
	s_cbranch_vccz .LBB7_57
; %bb.56:
	v_trunc_f64_e32 v[2:3], v[0:1]
	s_movk_i32 s0, 0xffe0
	v_ldexp_f64 v[6:7], v[2:3], s0
	v_floor_f64_e32 v[6:7], v[6:7]
	v_fmac_f64_e32 v[2:3], 0xc1f00000, v[6:7]
	v_cvt_u32_f64_e32 v11, v[6:7]
	v_cvt_u32_f64_e32 v10, v[2:3]
	global_store_dwordx2 v[4:5], v[10:11], off
	s_mov_b64 s[8:9], -1
	s_mov_b64 s[0:1], 0
.LBB7_57:
	s_mov_b64 s[10:11], 0
.LBB7_58:
	s_and_b64 vcc, exec, s[10:11]
	s_cbranch_vccz .LBB7_74
; %bb.59:
	v_mov_b32_e32 v2, 27
	v_cmp_lt_i16_sdwa s[10:11], s77, v2 src0_sel:BYTE_0 src1_sel:DWORD
	s_mov_b64 s[8:9], -1
	s_and_b64 vcc, exec, s[10:11]
	s_cbranch_vccnz .LBB7_65
; %bb.60:
	v_cmp_gt_i16_sdwa s[10:11], s77, v2 src0_sel:BYTE_0 src1_sel:DWORD
	s_and_b64 vcc, exec, s[10:11]
	v_cvt_u32_f64_e32 v2, v[0:1]
	s_cbranch_vccz .LBB7_62
; %bb.61:
	s_mov_b64 s[8:9], 0
	global_store_dword v[4:5], v2, off
.LBB7_62:
	s_andn2_b64 vcc, exec, s[8:9]
	s_cbranch_vccnz .LBB7_64
; %bb.63:
	global_store_short v[4:5], v2, off
.LBB7_64:
	s_mov_b64 s[8:9], 0
.LBB7_65:
	s_andn2_b64 vcc, exec, s[8:9]
	s_cbranch_vccnz .LBB7_73
; %bb.66:
	v_cvt_f32_f64_e32 v2, v[0:1]
	v_and_b32_e32 v3, 0x7fffffff, v2
	s_mov_b32 s8, 0x43800000
	v_cmp_gt_u32_e32 vcc, s8, v3
	v_mov_b32_e32 v6, 0x80
	s_and_saveexec_b64 s[8:9], vcc
	s_cbranch_execz .LBB7_72
; %bb.67:
	s_mov_b32 s10, 0x3bffffff
	v_cmp_lt_u32_e32 vcc, s10, v3
	s_mov_b64 s[10:11], 0
                                        ; implicit-def: $vgpr3
	s_and_saveexec_b64 s[12:13], vcc
	s_xor_b64 s[12:13], exec, s[12:13]
	s_cbranch_execz .LBB7_309
; %bb.68:
	v_bfe_u32 v3, v2, 20, 1
	s_mov_b32 s14, 0x487ffff
	v_add3_u32 v3, v2, v3, s14
	s_mov_b64 s[10:11], exec
	v_lshrrev_b32_e32 v3, 20, v3
	s_or_saveexec_b64 s[12:13], s[12:13]
                                        ; implicit-def: $sgpr14
	s_xor_b64 exec, exec, s[12:13]
	s_cbranch_execnz .LBB7_310
.LBB7_69:
	s_or_b64 exec, exec, s[12:13]
	v_mov_b32_e32 v6, s14
	s_and_saveexec_b64 s[12:13], s[10:11]
.LBB7_70:
	v_lshrrev_b32_e32 v2, 24, v2
	s_movk_i32 s10, 0x80
	v_and_or_b32 v6, v2, s10, v3
.LBB7_71:
	s_or_b64 exec, exec, s[12:13]
.LBB7_72:
	s_or_b64 exec, exec, s[8:9]
	global_store_byte v[4:5], v6, off
.LBB7_73:
	s_mov_b64 s[8:9], -1
.LBB7_74:
	s_mov_b64 s[10:11], 0
.LBB7_75:
	s_and_b64 vcc, exec, s[10:11]
	s_cbranch_vccz .LBB7_116
; %bb.76:
	v_mov_b32_e32 v2, 22
	v_cmp_gt_i16_sdwa s[12:13], s77, v2 src0_sel:BYTE_0 src1_sel:DWORD
	s_mov_b64 s[10:11], -1
	s_and_b64 vcc, exec, s[12:13]
	s_cbranch_vccz .LBB7_108
; %bb.77:
	v_mov_b32_e32 v2, 24
	v_cmp_lt_i16_sdwa s[10:11], s77, v2 src0_sel:BYTE_0 src1_sel:DWORD
	s_mov_b64 s[8:9], -1
	s_and_b64 vcc, exec, s[10:11]
	s_cbranch_vccnz .LBB7_97
; %bb.78:
	v_cmp_gt_i16_sdwa s[10:11], s77, v2 src0_sel:BYTE_0 src1_sel:DWORD
	s_and_b64 vcc, exec, s[10:11]
	s_cbranch_vccz .LBB7_86
; %bb.79:
	v_cvt_f32_f64_e32 v2, v[0:1]
	v_and_b32_e32 v3, 0x7fffffff, v2
	s_mov_b32 s8, 0x47800000
	v_cmp_gt_u32_e32 vcc, s8, v3
	v_mov_b32_e32 v6, 0x80
	s_and_saveexec_b64 s[8:9], vcc
	s_cbranch_execz .LBB7_85
; %bb.80:
	s_mov_b32 s10, 0x37ffffff
	v_cmp_lt_u32_e32 vcc, s10, v3
	s_mov_b64 s[10:11], 0
                                        ; implicit-def: $vgpr3
	s_and_saveexec_b64 s[12:13], vcc
	s_xor_b64 s[12:13], exec, s[12:13]
	s_cbranch_execz .LBB7_313
; %bb.81:
	v_bfe_u32 v3, v2, 21, 1
	s_mov_b32 s14, 0x88fffff
	v_add3_u32 v3, v2, v3, s14
	s_mov_b64 s[10:11], exec
	v_lshrrev_b32_e32 v3, 21, v3
	s_or_saveexec_b64 s[12:13], s[12:13]
                                        ; implicit-def: $sgpr14
	s_xor_b64 exec, exec, s[12:13]
	s_cbranch_execnz .LBB7_314
.LBB7_82:
	s_or_b64 exec, exec, s[12:13]
	v_mov_b32_e32 v6, s14
	s_and_saveexec_b64 s[12:13], s[10:11]
.LBB7_83:
	v_lshrrev_b32_e32 v2, 24, v2
	s_movk_i32 s10, 0x80
	v_and_or_b32 v6, v2, s10, v3
.LBB7_84:
	s_or_b64 exec, exec, s[12:13]
.LBB7_85:
	s_or_b64 exec, exec, s[8:9]
	s_mov_b64 s[8:9], 0
	global_store_byte v[4:5], v6, off
.LBB7_86:
	s_and_b64 vcc, exec, s[8:9]
	s_cbranch_vccz .LBB7_96
; %bb.87:
	v_cvt_f32_f64_e32 v2, v[0:1]
	v_and_b32_e32 v6, 0x7fffffff, v2
	s_mov_b32 s8, 0x43f00000
	v_cmp_gt_u32_e32 vcc, s8, v6
                                        ; implicit-def: $vgpr3
	s_and_saveexec_b64 s[8:9], vcc
	s_xor_b64 s[8:9], exec, s[8:9]
	s_cbranch_execz .LBB7_93
; %bb.88:
	s_mov_b32 s10, 0x3c7fffff
	v_cmp_lt_u32_e32 vcc, s10, v6
                                        ; implicit-def: $vgpr3
	s_and_saveexec_b64 s[10:11], vcc
	s_xor_b64 s[10:11], exec, s[10:11]
; %bb.89:
	v_bfe_u32 v3, v2, 20, 1
	s_mov_b32 s12, 0x407ffff
	v_add3_u32 v3, v2, v3, s12
	v_lshrrev_b32_e32 v6, 20, v3
	v_and_b32_e32 v3, 0xff00000, v3
	s_mov_b32 s12, 0x7f00000
	v_mov_b32_e32 v7, 0x7e
	v_cmp_ne_u32_e32 vcc, s12, v3
	v_cndmask_b32_e32 v3, v7, v6, vcc
; %bb.90:
	s_andn2_saveexec_b64 s[10:11], s[10:11]
; %bb.91:
	s_mov_b32 s12, 0x46800000
	v_add_f32_e64 v3, |v2|, s12
; %bb.92:
	s_or_b64 exec, exec, s[10:11]
                                        ; implicit-def: $vgpr6
.LBB7_93:
	s_andn2_saveexec_b64 s[8:9], s[8:9]
; %bb.94:
	s_mov_b32 s10, 0x7f800000
	v_mov_b32_e32 v3, 0x7e
	v_mov_b32_e32 v7, 0x7f
	v_cmp_lt_u32_e32 vcc, s10, v6
	v_cndmask_b32_e32 v3, v3, v7, vcc
; %bb.95:
	s_or_b64 exec, exec, s[8:9]
	v_lshrrev_b32_e32 v2, 24, v2
	s_movk_i32 s8, 0x80
	v_and_or_b32 v2, v2, s8, v3
	global_store_byte v[4:5], v2, off
.LBB7_96:
	s_mov_b64 s[8:9], 0
.LBB7_97:
	s_andn2_b64 vcc, exec, s[8:9]
	s_cbranch_vccnz .LBB7_107
; %bb.98:
	v_cvt_f32_f64_e32 v2, v[0:1]
	v_and_b32_e32 v6, 0x7fffffff, v2
	s_mov_b32 s8, 0x47800000
	v_cmp_gt_u32_e32 vcc, s8, v6
                                        ; implicit-def: $vgpr3
	s_and_saveexec_b64 s[8:9], vcc
	s_xor_b64 s[8:9], exec, s[8:9]
	s_cbranch_execz .LBB7_104
; %bb.99:
	s_mov_b32 s10, 0x387fffff
	v_cmp_lt_u32_e32 vcc, s10, v6
                                        ; implicit-def: $vgpr3
	s_and_saveexec_b64 s[10:11], vcc
	s_xor_b64 s[10:11], exec, s[10:11]
; %bb.100:
	v_bfe_u32 v3, v2, 21, 1
	s_mov_b32 s12, 0x80fffff
	v_add3_u32 v3, v2, v3, s12
	v_lshrrev_b32_e32 v3, 21, v3
; %bb.101:
	s_andn2_saveexec_b64 s[10:11], s[10:11]
; %bb.102:
	s_mov_b32 s12, 0x43000000
	v_add_f32_e64 v3, |v2|, s12
; %bb.103:
	s_or_b64 exec, exec, s[10:11]
                                        ; implicit-def: $vgpr6
.LBB7_104:
	s_andn2_saveexec_b64 s[8:9], s[8:9]
; %bb.105:
	s_mov_b32 s10, 0x7f800000
	v_mov_b32_e32 v3, 0x7c
	v_mov_b32_e32 v7, 0x7f
	v_cmp_lt_u32_e32 vcc, s10, v6
	v_cndmask_b32_e32 v3, v3, v7, vcc
; %bb.106:
	s_or_b64 exec, exec, s[8:9]
	v_lshrrev_b32_e32 v2, 24, v2
	s_movk_i32 s8, 0x80
	v_and_or_b32 v2, v2, s8, v3
	global_store_byte v[4:5], v2, off
.LBB7_107:
	s_mov_b64 s[10:11], 0
	s_mov_b64 s[8:9], -1
.LBB7_108:
	s_andn2_b64 vcc, exec, s[10:11]
	s_cbranch_vccnz .LBB7_116
; %bb.109:
	v_mov_b32_e32 v2, 14
	v_cmp_gt_i16_sdwa s[12:13], s77, v2 src0_sel:BYTE_0 src1_sel:DWORD
	s_mov_b64 s[10:11], -1
	s_and_b64 vcc, exec, s[12:13]
	s_cbranch_vccz .LBB7_113
; %bb.110:
	v_mov_b32_e32 v2, 15
	v_cmp_eq_u16_sdwa s[10:11], s77, v2 src0_sel:BYTE_0 src1_sel:DWORD
	s_mov_b64 s[0:1], -1
	s_and_b64 vcc, exec, s[10:11]
	s_cbranch_vccz .LBB7_112
; %bb.111:
	v_cvt_f32_f64_e32 v2, v[0:1]
	v_bfe_u32 v3, v2, 16, 1
	s_movk_i32 s0, 0x7fff
	v_add3_u32 v3, v2, v3, s0
	v_lshrrev_b32_e32 v3, 16, v3
	v_mov_b32_e32 v6, 0x7fc0
	v_cmp_o_f32_e32 vcc, v2, v2
	v_cndmask_b32_e32 v2, v6, v3, vcc
	global_store_short v[4:5], v2, off
	s_mov_b64 s[8:9], -1
	s_mov_b64 s[0:1], 0
.LBB7_112:
	s_mov_b64 s[10:11], 0
.LBB7_113:
	s_and_b64 vcc, exec, s[10:11]
	s_cbranch_vccz .LBB7_116
; %bb.114:
	v_mov_b32_e32 v2, 11
	v_cmp_eq_u16_sdwa s[10:11], s77, v2 src0_sel:BYTE_0 src1_sel:DWORD
	s_mov_b64 s[0:1], -1
	s_and_b64 vcc, exec, s[10:11]
	s_cbranch_vccz .LBB7_116
; %bb.115:
	v_cmp_neq_f64_e32 vcc, 0, v[0:1]
	s_mov_b64 s[0:1], 0
	v_cndmask_b32_e64 v2, 0, 1, vcc
	s_mov_b64 s[8:9], -1
	global_store_byte v[4:5], v2, off
.LBB7_116:
	s_branch .LBB7_35
.LBB7_117:
	v_mov_b32_e32 v2, 5
	v_cmp_lt_i16_sdwa s[10:11], s77, v2 src0_sel:BYTE_0 src1_sel:DWORD
	s_mov_b64 s[8:9], -1
	s_and_b64 vcc, exec, s[10:11]
	s_cbranch_vccnz .LBB7_138
; %bb.118:
	v_mov_b32_e32 v2, 8
	v_cmp_lt_i16_sdwa s[10:11], s77, v2 src0_sel:BYTE_0 src1_sel:DWORD
	s_and_b64 vcc, exec, s[10:11]
	s_cbranch_vccnz .LBB7_128
; %bb.119:
	v_mov_b32_e32 v2, 9
	v_cmp_lt_i16_sdwa s[10:11], s77, v2 src0_sel:BYTE_0 src1_sel:DWORD
	s_and_b64 vcc, exec, s[10:11]
	s_cbranch_vccnz .LBB7_125
; %bb.120:
	v_cmp_gt_i16_sdwa s[10:11], s77, v2 src0_sel:BYTE_0 src1_sel:DWORD
	s_and_b64 vcc, exec, s[10:11]
	s_cbranch_vccz .LBB7_122
; %bb.121:
	v_mov_b32_e32 v2, 0
	v_mov_b32_e32 v3, v2
	global_store_dwordx4 v[4:5], v[0:3], off
	s_mov_b64 s[8:9], 0
.LBB7_122:
	s_andn2_b64 vcc, exec, s[8:9]
	s_cbranch_vccnz .LBB7_124
; %bb.123:
	v_cvt_f32_f64_e32 v2, v[0:1]
	v_mov_b32_e32 v3, 0
	global_store_dwordx2 v[4:5], v[2:3], off
.LBB7_124:
	s_mov_b64 s[8:9], 0
.LBB7_125:
	s_andn2_b64 vcc, exec, s[8:9]
	s_cbranch_vccnz .LBB7_127
; %bb.126:
	v_cvt_f32_f64_e32 v2, v[0:1]
	v_cvt_f16_f32_e32 v2, v2
	global_store_dword v[4:5], v2, off
.LBB7_127:
	s_mov_b64 s[8:9], 0
.LBB7_128:
	s_andn2_b64 vcc, exec, s[8:9]
	s_cbranch_vccnz .LBB7_137
; %bb.129:
	v_mov_b32_e32 v2, 6
	v_cmp_lt_i16_sdwa s[10:11], s77, v2 src0_sel:BYTE_0 src1_sel:DWORD
	s_mov_b64 s[8:9], -1
	s_and_b64 vcc, exec, s[10:11]
	s_cbranch_vccnz .LBB7_135
; %bb.130:
	v_cmp_gt_i16_sdwa s[10:11], s77, v2 src0_sel:BYTE_0 src1_sel:DWORD
	s_and_b64 vcc, exec, s[10:11]
	s_cbranch_vccz .LBB7_132
; %bb.131:
	global_store_dwordx2 v[4:5], v[0:1], off
	s_mov_b64 s[8:9], 0
.LBB7_132:
	s_andn2_b64 vcc, exec, s[8:9]
	s_cbranch_vccnz .LBB7_134
; %bb.133:
	v_cvt_f32_f64_e32 v2, v[0:1]
	global_store_dword v[4:5], v2, off
.LBB7_134:
	s_mov_b64 s[8:9], 0
.LBB7_135:
	s_andn2_b64 vcc, exec, s[8:9]
	s_cbranch_vccnz .LBB7_137
; %bb.136:
	v_cvt_f32_f64_e32 v2, v[0:1]
	v_cvt_f16_f32_e32 v2, v2
	global_store_short v[4:5], v2, off
.LBB7_137:
	s_mov_b64 s[8:9], 0
.LBB7_138:
	s_andn2_b64 vcc, exec, s[8:9]
	s_cbranch_vccnz .LBB7_154
; %bb.139:
	v_mov_b32_e32 v2, 2
	v_cmp_lt_i16_sdwa s[10:11], s77, v2 src0_sel:BYTE_0 src1_sel:DWORD
	s_mov_b64 s[8:9], -1
	s_and_b64 vcc, exec, s[10:11]
	s_cbranch_vccnz .LBB7_149
; %bb.140:
	v_mov_b32_e32 v2, 3
	v_cmp_lt_i16_sdwa s[10:11], s77, v2 src0_sel:BYTE_0 src1_sel:DWORD
	s_and_b64 vcc, exec, s[10:11]
	s_cbranch_vccnz .LBB7_146
; %bb.141:
	v_cmp_gt_i16_sdwa s[10:11], s77, v2 src0_sel:BYTE_0 src1_sel:DWORD
	s_and_b64 vcc, exec, s[10:11]
	s_cbranch_vccz .LBB7_143
; %bb.142:
	v_trunc_f64_e32 v[2:3], v[0:1]
	s_movk_i32 s8, 0xffe0
	v_ldexp_f64 v[6:7], v[2:3], s8
	v_floor_f64_e32 v[6:7], v[6:7]
	v_fmac_f64_e32 v[2:3], 0xc1f00000, v[6:7]
	v_cvt_i32_f64_e32 v11, v[6:7]
	v_cvt_u32_f64_e32 v10, v[2:3]
	global_store_dwordx2 v[4:5], v[10:11], off
	s_mov_b64 s[8:9], 0
.LBB7_143:
	s_andn2_b64 vcc, exec, s[8:9]
	s_cbranch_vccnz .LBB7_145
; %bb.144:
	v_cvt_i32_f64_e32 v2, v[0:1]
	global_store_dword v[4:5], v2, off
.LBB7_145:
	s_mov_b64 s[8:9], 0
.LBB7_146:
	s_andn2_b64 vcc, exec, s[8:9]
	s_cbranch_vccnz .LBB7_148
; %bb.147:
	v_cvt_i32_f64_e32 v2, v[0:1]
	global_store_short v[4:5], v2, off
.LBB7_148:
	s_mov_b64 s[8:9], 0
.LBB7_149:
	s_andn2_b64 vcc, exec, s[8:9]
	s_cbranch_vccnz .LBB7_154
; %bb.150:
	v_mov_b32_e32 v2, 0
	v_cmp_gt_i16_sdwa s[10:11], s77, v2 src0_sel:BYTE_0 src1_sel:DWORD
	s_mov_b64 s[8:9], -1
	s_and_b64 vcc, exec, s[10:11]
	s_cbranch_vccz .LBB7_152
; %bb.151:
	v_cvt_i32_f64_e32 v2, v[0:1]
	global_store_byte v[4:5], v2, off
	s_mov_b64 s[8:9], 0
.LBB7_152:
	s_andn2_b64 vcc, exec, s[8:9]
	s_cbranch_vccnz .LBB7_154
; %bb.153:
	v_trunc_f64_e32 v[0:1], v[0:1]
	s_movk_i32 s8, 0xffe0
	v_ldexp_f64 v[2:3], v[0:1], s8
	v_floor_f64_e32 v[2:3], v[2:3]
	v_fmac_f64_e32 v[0:1], 0xc1f00000, v[2:3]
	v_cvt_u32_f64_e32 v0, v[0:1]
	global_store_byte v[4:5], v0, off
.LBB7_154:
.LBB7_155:
	v_add_u32_e32 v12, 0x80, v12
	s_mov_b64 s[8:9], -1
	s_branch .LBB7_266
.LBB7_156:
	s_mov_b64 s[2:3], -1
                                        ; implicit-def: $vgpr4_vgpr5
.LBB7_157:
	s_mov_b64 s[8:9], 0
.LBB7_158:
	s_and_b64 vcc, exec, s[8:9]
	s_cbranch_vccz .LBB7_162
; %bb.159:
	v_cmp_eq_u16_e32 vcc, 29, v8
	s_cbranch_vccz .LBB7_161
; %bb.160:
	global_load_dwordx2 v[4:5], v[0:1], off
	s_mov_b64 s[0:1], -1
	s_mov_b64 s[2:3], 0
	s_mov_b64 s[8:9], 0
	s_waitcnt vmcnt(0)
	v_cvt_f64_u32_e32 v[6:7], v5
	v_cvt_f64_u32_e32 v[4:5], v4
	v_ldexp_f64 v[6:7], v[6:7], 32
	v_add_f64 v[4:5], v[6:7], v[4:5]
	s_branch .LBB7_163
.LBB7_161:
	s_mov_b64 s[2:3], -1
                                        ; implicit-def: $vgpr4_vgpr5
.LBB7_162:
	s_mov_b64 s[8:9], 0
.LBB7_163:
	s_and_b64 vcc, exec, s[8:9]
	s_cbranch_vccz .LBB7_181
; %bb.164:
	v_cmp_gt_i16_e32 vcc, 27, v8
	s_cbranch_vccnz .LBB7_167
; %bb.165:
	v_cmp_lt_i16_e32 vcc, 27, v8
	s_cbranch_vccz .LBB7_168
; %bb.166:
	global_load_dword v3, v[0:1], off
	s_mov_b64 s[0:1], 0
	s_waitcnt vmcnt(0)
	v_cvt_f64_u32_e32 v[4:5], v3
	s_branch .LBB7_169
.LBB7_167:
	s_mov_b64 s[0:1], -1
                                        ; implicit-def: $vgpr4_vgpr5
	s_branch .LBB7_172
.LBB7_168:
	s_mov_b64 s[0:1], -1
                                        ; implicit-def: $vgpr4_vgpr5
.LBB7_169:
	s_andn2_b64 vcc, exec, s[0:1]
	s_cbranch_vccnz .LBB7_171
; %bb.170:
	global_load_ushort v3, v[0:1], off
	s_waitcnt vmcnt(0)
	v_cvt_f64_u32_e32 v[4:5], v3
.LBB7_171:
	s_mov_b64 s[0:1], 0
.LBB7_172:
	s_andn2_b64 vcc, exec, s[0:1]
	s_cbranch_vccnz .LBB7_180
; %bb.173:
	global_load_ubyte v3, v[0:1], off
	s_movk_i32 s0, 0x7f
                                        ; implicit-def: $sgpr8_sgpr9
	s_waitcnt vmcnt(0)
	v_cmp_lt_i16_e32 vcc, s0, v3
	s_mov_b64 s[0:1], 0
	s_and_saveexec_b64 s[10:11], vcc
	s_xor_b64 s[10:11], exec, s[10:11]
	s_cbranch_execz .LBB7_193
; %bb.174:
	s_movk_i32 s0, 0x80
	v_cmp_eq_u16_e32 vcc, s0, v3
	s_mov_b64 s[12:13], -1
                                        ; implicit-def: $sgpr8_sgpr9
	s_and_saveexec_b64 s[0:1], vcc
; %bb.175:
	s_mov_b32 s9, 0x7ff80000
	s_brev_b32 s8, 4
	s_xor_b64 s[12:13], exec, -1
; %bb.176:
	s_or_b64 exec, exec, s[0:1]
	s_and_b64 s[0:1], s[12:13], exec
	s_or_saveexec_b64 s[10:11], s[10:11]
	v_pk_mov_b32 v[4:5], s[8:9], s[8:9] op_sel:[0,1]
	s_xor_b64 exec, exec, s[10:11]
	s_cbranch_execnz .LBB7_194
.LBB7_177:
	s_or_b64 exec, exec, s[10:11]
	s_and_saveexec_b64 s[8:9], s[0:1]
	s_cbranch_execz .LBB7_179
.LBB7_178:
	v_lshlrev_b32_e32 v4, 24, v3
	v_and_b32_e32 v3, 0xffff, v3
	v_and_b32_e32 v5, 7, v3
	v_ffbh_u32_e32 v7, v5
	v_min_u32_e32 v7, 32, v7
	v_subrev_u32_e32 v9, 28, v7
	v_bfe_u32 v6, v3, 3, 4
	v_lshlrev_b32_e32 v3, v9, v3
	v_sub_u32_e32 v7, 29, v7
	v_and_b32_e32 v3, 7, v3
	v_cmp_eq_u32_e32 vcc, 0, v6
	v_cndmask_b32_e32 v6, v6, v7, vcc
	v_cndmask_b32_e32 v3, v5, v3, vcc
	v_mov_b32_e32 v5, 0x3b800000
	v_lshlrev_b32_e32 v3, 20, v3
	v_and_b32_e32 v4, 0x80000000, v4
	v_lshl_add_u32 v5, v6, 23, v5
	v_or3_b32 v3, v4, v5, v3
	v_cvt_f64_f32_e32 v[4:5], v3
.LBB7_179:
	s_or_b64 exec, exec, s[8:9]
.LBB7_180:
	s_mov_b64 s[0:1], -1
.LBB7_181:
	s_branch .LBB7_216
.LBB7_182:
	v_cmp_lt_i16_e32 vcc, 22, v8
	s_cbranch_vccz .LBB7_192
; %bb.183:
	v_cmp_gt_i16_e32 vcc, 24, v8
	s_cbranch_vccnz .LBB7_195
; %bb.184:
	v_cmp_lt_i16_e32 vcc, 24, v8
	s_cbranch_vccz .LBB7_196
; %bb.185:
	global_load_ubyte v3, v[0:1], off
	s_movk_i32 s0, 0x7f
                                        ; implicit-def: $sgpr8_sgpr9
	s_waitcnt vmcnt(0)
	v_cmp_lt_i16_e32 vcc, s0, v3
	s_mov_b64 s[0:1], 0
	s_and_saveexec_b64 s[10:11], vcc
	s_xor_b64 s[10:11], exec, s[10:11]
	s_cbranch_execz .LBB7_208
; %bb.186:
	s_movk_i32 s0, 0x80
	v_cmp_eq_u16_e32 vcc, s0, v3
	s_mov_b64 s[12:13], -1
                                        ; implicit-def: $sgpr8_sgpr9
	s_and_saveexec_b64 s[0:1], vcc
; %bb.187:
	s_mov_b32 s9, 0x7ff80000
	s_brev_b32 s8, 4
	s_xor_b64 s[12:13], exec, -1
; %bb.188:
	s_or_b64 exec, exec, s[0:1]
	s_and_b64 s[0:1], s[12:13], exec
	s_or_saveexec_b64 s[10:11], s[10:11]
	v_pk_mov_b32 v[4:5], s[8:9], s[8:9] op_sel:[0,1]
	s_xor_b64 exec, exec, s[10:11]
	s_cbranch_execnz .LBB7_209
.LBB7_189:
	s_or_b64 exec, exec, s[10:11]
	s_and_saveexec_b64 s[8:9], s[0:1]
	s_cbranch_execz .LBB7_191
.LBB7_190:
	v_lshlrev_b32_e32 v4, 24, v3
	v_and_b32_e32 v3, 0xffff, v3
	v_and_b32_e32 v5, 3, v3
	v_ffbh_u32_e32 v7, v5
	v_min_u32_e32 v7, 32, v7
	v_subrev_u32_e32 v9, 29, v7
	v_bfe_u32 v6, v3, 2, 5
	v_lshlrev_b32_e32 v3, v9, v3
	v_sub_u32_e32 v7, 30, v7
	v_and_b32_e32 v3, 3, v3
	v_cmp_eq_u32_e32 vcc, 0, v6
	v_cndmask_b32_e32 v6, v6, v7, vcc
	v_cndmask_b32_e32 v3, v5, v3, vcc
	v_mov_b32_e32 v5, 0x37800000
	v_lshlrev_b32_e32 v3, 21, v3
	v_and_b32_e32 v4, 0x80000000, v4
	v_lshl_add_u32 v5, v6, 23, v5
	v_or3_b32 v3, v4, v5, v3
	v_cvt_f64_f32_e32 v[4:5], v3
.LBB7_191:
	s_or_b64 exec, exec, s[8:9]
	s_mov_b64 s[0:1], 0
	s_branch .LBB7_197
.LBB7_192:
	s_mov_b64 s[8:9], -1
                                        ; implicit-def: $vgpr4_vgpr5
	s_branch .LBB7_203
.LBB7_193:
	s_or_saveexec_b64 s[10:11], s[10:11]
	v_pk_mov_b32 v[4:5], s[8:9], s[8:9] op_sel:[0,1]
	s_xor_b64 exec, exec, s[10:11]
	s_cbranch_execz .LBB7_177
.LBB7_194:
	v_cmp_ne_u16_e32 vcc, 0, v3
	s_andn2_b64 s[0:1], s[0:1], exec
	s_and_b64 s[8:9], vcc, exec
	v_pk_mov_b32 v[4:5], 0, 0
	s_or_b64 s[0:1], s[0:1], s[8:9]
	s_or_b64 exec, exec, s[10:11]
	s_and_saveexec_b64 s[8:9], s[0:1]
	s_cbranch_execnz .LBB7_178
	s_branch .LBB7_179
.LBB7_195:
	s_mov_b64 s[0:1], -1
                                        ; implicit-def: $vgpr4_vgpr5
	s_branch .LBB7_200
.LBB7_196:
	s_mov_b64 s[0:1], -1
                                        ; implicit-def: $vgpr4_vgpr5
.LBB7_197:
	s_and_b64 vcc, exec, s[0:1]
	s_cbranch_vccz .LBB7_199
; %bb.198:
	global_load_ubyte v3, v[0:1], off
	s_mov_b32 s0, 0x7f800000
	s_waitcnt vmcnt(0)
	v_lshlrev_b32_e32 v3, 24, v3
	v_and_b32_e32 v4, 0x7f000000, v3
	v_ffbh_u32_e32 v5, v4
	v_min_u32_e32 v5, 32, v5
	v_sub_u32_e64 v5, v5, 4 clamp
	v_lshlrev_b32_e32 v7, v5, v4
	v_lshlrev_b32_e32 v5, 23, v5
	v_lshrrev_b32_e32 v7, 4, v7
	v_add_u32_e32 v6, 0x1000000, v4
	v_sub_u32_e32 v5, v7, v5
	v_ashrrev_i32_e32 v6, 8, v6
	v_add_u32_e32 v5, 0x3c000000, v5
	v_and_or_b32 v5, v6, s0, v5
	v_cmp_ne_u32_e32 vcc, 0, v4
	v_cndmask_b32_e32 v4, 0, v5, vcc
	s_brev_b32 s0, 1
	v_and_or_b32 v3, v3, s0, v4
	v_cvt_f64_f32_e32 v[4:5], v3
.LBB7_199:
	s_mov_b64 s[0:1], 0
.LBB7_200:
	s_andn2_b64 vcc, exec, s[0:1]
	s_cbranch_vccnz .LBB7_202
; %bb.201:
	global_load_ubyte v3, v[0:1], off
	s_movk_i32 s0, 0x7f00
	s_brev_b32 s1, 16
	s_waitcnt vmcnt(0)
	v_lshlrev_b16_e32 v4, 8, v3
	v_lshlrev_b32_e32 v3, 25, v3
	v_lshrrev_b32_e32 v5, 4, v3
	v_and_or_b32 v6, v4, s0, 0.5
	v_or_b32_e32 v5, 0x70000000, v5
	v_add_f32_e32 v6, -0.5, v6
	v_mul_f32_e32 v5, 0x7800000, v5
	v_cmp_gt_u32_e32 vcc, s1, v3
	v_bfe_i32 v4, v4, 0, 16
	v_cndmask_b32_e32 v3, v5, v6, vcc
	s_brev_b32 s0, 1
	v_and_or_b32 v3, v4, s0, v3
	v_cvt_f64_f32_e32 v[4:5], v3
.LBB7_202:
	s_mov_b64 s[8:9], 0
	s_mov_b64 s[0:1], -1
.LBB7_203:
	s_andn2_b64 vcc, exec, s[8:9]
	s_cbranch_vccnz .LBB7_216
; %bb.204:
	v_cmp_lt_i16_e32 vcc, 14, v8
	s_cbranch_vccz .LBB7_207
; %bb.205:
	v_cmp_eq_u16_e32 vcc, 15, v8
	s_cbranch_vccz .LBB7_210
; %bb.206:
	global_load_ushort v3, v[0:1], off
	s_mov_b64 s[0:1], -1
	s_mov_b64 s[2:3], 0
	s_waitcnt vmcnt(0)
	v_lshlrev_b32_e32 v3, 16, v3
	v_cvt_f64_f32_e32 v[4:5], v3
	s_branch .LBB7_211
.LBB7_207:
	s_mov_b64 s[8:9], -1
                                        ; implicit-def: $vgpr4_vgpr5
	s_branch .LBB7_212
.LBB7_208:
	s_or_saveexec_b64 s[10:11], s[10:11]
	v_pk_mov_b32 v[4:5], s[8:9], s[8:9] op_sel:[0,1]
	s_xor_b64 exec, exec, s[10:11]
	s_cbranch_execz .LBB7_189
.LBB7_209:
	v_cmp_ne_u16_e32 vcc, 0, v3
	s_andn2_b64 s[0:1], s[0:1], exec
	s_and_b64 s[8:9], vcc, exec
	v_pk_mov_b32 v[4:5], 0, 0
	s_or_b64 s[0:1], s[0:1], s[8:9]
	s_or_b64 exec, exec, s[10:11]
	s_and_saveexec_b64 s[8:9], s[0:1]
	s_cbranch_execnz .LBB7_190
	s_branch .LBB7_191
.LBB7_210:
	s_mov_b64 s[2:3], -1
                                        ; implicit-def: $vgpr4_vgpr5
.LBB7_211:
	s_mov_b64 s[8:9], 0
.LBB7_212:
	s_and_b64 vcc, exec, s[8:9]
	s_cbranch_vccz .LBB7_216
; %bb.213:
	v_cmp_eq_u16_e32 vcc, 11, v8
	s_cbranch_vccz .LBB7_215
; %bb.214:
	global_load_ubyte v3, v[0:1], off
	v_mov_b32_e32 v5, 0x3ff00000
	v_mov_b32_e32 v4, 0
	s_mov_b64 s[0:1], -1
	s_mov_b64 s[2:3], 0
	s_waitcnt vmcnt(0)
	v_cmp_ne_u16_e32 vcc, 0, v3
	v_cndmask_b32_e32 v5, 0, v5, vcc
	s_branch .LBB7_216
.LBB7_215:
	s_mov_b64 s[2:3], -1
                                        ; implicit-def: $vgpr4_vgpr5
.LBB7_216:
	s_branch .LBB7_25
.LBB7_217:
	v_cmp_gt_i16_e32 vcc, 5, v8
	s_cbranch_vccnz .LBB7_222
; %bb.218:
	v_cmp_gt_i16_e32 vcc, 8, v8
	s_cbranch_vccnz .LBB7_223
; %bb.219:
	;; [unrolled: 3-line block ×3, first 2 shown]
	v_cmp_lt_i16_e32 vcc, 9, v8
	s_cbranch_vccz .LBB7_225
; %bb.221:
	global_load_dwordx2 v[4:5], v[0:1], off
	s_mov_b64 s[0:1], 0
	s_branch .LBB7_226
.LBB7_222:
                                        ; implicit-def: $vgpr4_vgpr5
	s_branch .LBB7_244
.LBB7_223:
	s_mov_b64 s[0:1], -1
                                        ; implicit-def: $vgpr4_vgpr5
	s_branch .LBB7_232
.LBB7_224:
	s_mov_b64 s[0:1], -1
                                        ; implicit-def: $vgpr4_vgpr5
	s_branch .LBB7_229
.LBB7_225:
	s_mov_b64 s[0:1], -1
                                        ; implicit-def: $vgpr4_vgpr5
.LBB7_226:
	s_andn2_b64 vcc, exec, s[0:1]
	s_cbranch_vccnz .LBB7_228
; %bb.227:
	global_load_dword v3, v[0:1], off
	s_waitcnt vmcnt(0)
	v_cvt_f64_f32_e32 v[4:5], v3
.LBB7_228:
	s_mov_b64 s[0:1], 0
.LBB7_229:
	s_andn2_b64 vcc, exec, s[0:1]
	s_cbranch_vccnz .LBB7_231
; %bb.230:
	global_load_dword v3, v[0:1], off
	s_waitcnt vmcnt(0)
	v_cvt_f32_f16_e32 v3, v3
	v_cvt_f64_f32_e32 v[4:5], v3
.LBB7_231:
	s_mov_b64 s[0:1], 0
.LBB7_232:
	s_andn2_b64 vcc, exec, s[0:1]
	s_cbranch_vccnz .LBB7_243
; %bb.233:
	v_cmp_gt_i16_e32 vcc, 6, v8
	s_cbranch_vccnz .LBB7_236
; %bb.234:
	v_cmp_lt_i16_e32 vcc, 6, v8
	s_cbranch_vccz .LBB7_237
; %bb.235:
	global_load_dwordx2 v[4:5], v[0:1], off
	s_mov_b64 s[0:1], 0
	s_branch .LBB7_238
.LBB7_236:
	s_mov_b64 s[0:1], -1
                                        ; implicit-def: $vgpr4_vgpr5
	s_branch .LBB7_241
.LBB7_237:
	s_mov_b64 s[0:1], -1
                                        ; implicit-def: $vgpr4_vgpr5
.LBB7_238:
	s_andn2_b64 vcc, exec, s[0:1]
	s_cbranch_vccnz .LBB7_240
; %bb.239:
	global_load_dword v3, v[0:1], off
	s_waitcnt vmcnt(0)
	v_cvt_f64_f32_e32 v[4:5], v3
.LBB7_240:
	s_mov_b64 s[0:1], 0
.LBB7_241:
	s_andn2_b64 vcc, exec, s[0:1]
	s_cbranch_vccnz .LBB7_243
; %bb.242:
	global_load_ushort v3, v[0:1], off
	s_waitcnt vmcnt(0)
	v_cvt_f32_f16_e32 v3, v3
	v_cvt_f64_f32_e32 v[4:5], v3
.LBB7_243:
	s_cbranch_execnz .LBB7_263
.LBB7_244:
	v_cmp_gt_i16_e32 vcc, 2, v8
	s_cbranch_vccnz .LBB7_248
; %bb.245:
	v_cmp_gt_i16_e32 vcc, 3, v8
	s_cbranch_vccnz .LBB7_249
; %bb.246:
	v_cmp_lt_i16_e32 vcc, 3, v8
	s_cbranch_vccz .LBB7_250
; %bb.247:
	global_load_dwordx2 v[4:5], v[0:1], off
	s_mov_b64 s[0:1], 0
	s_waitcnt vmcnt(0)
	v_cvt_f64_i32_e32 v[6:7], v5
	v_cvt_f64_u32_e32 v[4:5], v4
	v_ldexp_f64 v[6:7], v[6:7], 32
	v_add_f64 v[4:5], v[6:7], v[4:5]
	s_branch .LBB7_251
.LBB7_248:
	s_mov_b64 s[0:1], -1
                                        ; implicit-def: $vgpr4_vgpr5
	s_branch .LBB7_257
.LBB7_249:
	s_mov_b64 s[0:1], -1
                                        ; implicit-def: $vgpr4_vgpr5
	s_branch .LBB7_254
.LBB7_250:
	s_mov_b64 s[0:1], -1
                                        ; implicit-def: $vgpr4_vgpr5
.LBB7_251:
	s_andn2_b64 vcc, exec, s[0:1]
	s_cbranch_vccnz .LBB7_253
; %bb.252:
	global_load_dword v3, v[0:1], off
	s_waitcnt vmcnt(0)
	v_cvt_f64_i32_e32 v[4:5], v3
.LBB7_253:
	s_mov_b64 s[0:1], 0
.LBB7_254:
	s_andn2_b64 vcc, exec, s[0:1]
	s_cbranch_vccnz .LBB7_256
; %bb.255:
	global_load_sshort v3, v[0:1], off
	s_waitcnt vmcnt(0)
	v_cvt_f64_i32_e32 v[4:5], v3
.LBB7_256:
	s_mov_b64 s[0:1], 0
.LBB7_257:
	s_andn2_b64 vcc, exec, s[0:1]
	s_cbranch_vccnz .LBB7_263
; %bb.258:
	v_cmp_lt_i16_e32 vcc, 0, v8
	s_cbranch_vccz .LBB7_260
; %bb.259:
	global_load_sbyte v3, v[0:1], off
	s_mov_b64 s[0:1], 0
	s_waitcnt vmcnt(0)
	v_cvt_f64_i32_e32 v[4:5], v3
	s_branch .LBB7_261
.LBB7_260:
	s_mov_b64 s[0:1], -1
                                        ; implicit-def: $vgpr4_vgpr5
.LBB7_261:
	s_andn2_b64 vcc, exec, s[0:1]
	s_cbranch_vccnz .LBB7_263
; %bb.262:
	global_load_ubyte v0, v[0:1], off
	s_waitcnt vmcnt(0)
	v_cvt_f64_u32_e32 v[4:5], v0
.LBB7_263:
	s_branch .LBB7_26
.LBB7_264:
	s_mov_b64 s[0:1], 0
.LBB7_265:
	s_mov_b64 s[8:9], 0
                                        ; implicit-def: $vgpr12
.LBB7_266:
	s_and_b64 s[54:55], s[0:1], exec
	s_and_b64 s[56:57], s[2:3], exec
	s_orn2_b64 s[2:3], s[8:9], exec
.LBB7_267:
	s_or_b64 exec, exec, s[58:59]
	s_mov_b64 s[10:11], 0
	s_mov_b64 s[0:1], 0
                                        ; implicit-def: $vgpr0_vgpr1
                                        ; implicit-def: $vgpr2
                                        ; implicit-def: $vgpr6_vgpr7
	s_and_saveexec_b64 s[58:59], s[2:3]
	s_cbranch_execz .LBB7_275
; %bb.268:
	v_cmp_gt_i32_e32 vcc, s74, v12
	s_mov_b64 s[0:1], -1
	s_mov_b64 s[60:61], s[56:57]
	s_mov_b64 s[62:63], s[54:55]
	s_and_saveexec_b64 s[64:65], vcc
	s_cbranch_execz .LBB7_544
; %bb.269:
	s_andn2_b64 vcc, exec, s[40:41]
	s_cbranch_vccnz .LBB7_278
; %bb.270:
	s_mov_b32 s60, 0
	s_andn2_b64 vcc, exec, s[52:53]
	v_mov_b32_e32 v0, 0
	v_mov_b32_e32 v2, 0
	s_cbranch_vccnz .LBB7_284
; %bb.271:
	s_add_i32 s68, s75, 1
	s_cmp_eq_u32 s76, 2
	s_cbranch_scc1 .LBB7_279
; %bb.272:
	s_and_b32 s60, s68, 28
	s_mov_b32 s61, 0
	v_mov_b32_e32 v2, 0
	s_mov_b64 s[62:63], s[34:35]
	s_mov_b64 s[66:67], s[50:51]
	v_mov_b32_e32 v1, v12
	v_mov_b32_e32 v0, 0
.LBB7_273:                              ; =>This Inner Loop Header: Depth=1
	s_load_dwordx8 s[16:23], s[62:63], 0x4
	s_load_dwordx4 s[0:3], s[62:63], 0x24
	s_load_dwordx8 s[8:15], s[66:67], 0x0
	s_add_u32 s62, s62, 48
	s_addc_u32 s63, s63, 0
	s_waitcnt lgkmcnt(0)
	v_mul_hi_u32 v3, s17, v1
	v_add_u32_e32 v3, v1, v3
	v_lshrrev_b32_e32 v3, s18, v3
	s_waitcnt vmcnt(0)
	v_mul_lo_u32 v4, v3, s16
	v_mul_hi_u32 v5, s20, v3
	v_sub_u32_e32 v1, v1, v4
	v_add_u32_e32 v4, v3, v5
	v_lshrrev_b32_e32 v4, s21, v4
	v_mul_lo_u32 v6, v4, s19
	v_mul_hi_u32 v7, s23, v4
	v_sub_u32_e32 v3, v3, v6
	v_add_u32_e32 v6, v4, v7
	v_mul_lo_u32 v5, v1, s9
	v_mul_lo_u32 v1, v1, s8
	;; [unrolled: 1-line block ×4, first 2 shown]
	v_lshrrev_b32_e32 v6, s0, v6
	v_add3_u32 v2, v1, v2, v3
	v_mul_lo_u32 v1, v6, s22
	v_mul_hi_u32 v3, s2, v6
	v_sub_u32_e32 v1, v4, v1
	v_add_u32_e32 v3, v6, v3
	v_add3_u32 v0, v5, v0, v7
	v_mul_lo_u32 v4, v1, s12
	v_mul_lo_u32 v5, v1, s13
	v_lshrrev_b32_e32 v1, s3, v3
	s_add_i32 s61, s61, 4
	v_mul_lo_u32 v3, v1, s1
	s_add_u32 s66, s66, 32
	v_sub_u32_e32 v3, v6, v3
	s_addc_u32 s67, s67, 0
	v_mul_lo_u32 v6, v3, s14
	v_mul_lo_u32 v3, v3, s15
	s_cmp_eq_u32 s60, s61
	v_add3_u32 v0, v5, v0, v3
	v_add3_u32 v2, v4, v2, v6
	s_cbranch_scc0 .LBB7_273
; %bb.274:
	v_mov_b32_e32 v3, v0
	s_branch .LBB7_280
.LBB7_275:
	s_or_b64 exec, exec, s[58:59]
	s_mov_b64 s[2:3], 0
	s_and_saveexec_b64 s[8:9], s[56:57]
	s_cbranch_execnz .LBB7_922
.LBB7_276:
	s_or_b64 exec, exec, s[8:9]
	s_and_saveexec_b64 s[8:9], s[62:63]
	s_xor_b64 s[8:9], exec, s[8:9]
	s_cbranch_execz .LBB7_923
.LBB7_277:
	global_load_ubyte v3, v[0:1], off
	s_waitcnt vmcnt(1)
	v_mov_b32_e32 v4, 0x3ff00000
	v_mov_b32_e32 v6, 0
	s_or_b64 s[0:1], s[0:1], exec
	s_waitcnt vmcnt(0)
	v_cmp_ne_u16_e32 vcc, 0, v3
	v_cndmask_b32_e32 v7, 0, v4, vcc
	s_or_b64 exec, exec, s[8:9]
	s_and_saveexec_b64 s[8:9], s[10:11]
	s_cbranch_execz .LBB7_969
	s_branch .LBB7_924
.LBB7_278:
                                        ; implicit-def: $vgpr0
                                        ; implicit-def: $vgpr2
	s_andn2_b64 vcc, exec, s[0:1]
	s_cbranch_vccz .LBB7_285
	s_branch .LBB7_287
.LBB7_279:
	s_mov_b32 s61, s60
	v_pk_mov_b32 v[2:3], s[60:61], s[60:61] op_sel:[0,1]
                                        ; implicit-def: $vgpr0
	v_mov_b32_e32 v1, v12
.LBB7_280:
	s_and_b32 s8, s68, 3
	s_cmp_eq_u32 s8, 0
	s_cbranch_scc1 .LBB7_284
; %bb.281:
	s_lshl_b32 s0, s60, 3
	s_add_u32 s0, s0, s34
	s_addc_u32 s1, s35, 0
	s_add_u32 s0, s0, 0xc4
	s_addc_u32 s1, s1, 0
	s_mul_i32 s2, s60, 12
	s_add_u32 s2, s34, s2
	s_addc_u32 s3, s35, 0
.LBB7_282:                              ; =>This Inner Loop Header: Depth=1
	s_load_dwordx2 s[10:11], s[2:3], 0x4
	s_load_dword s9, s[2:3], 0xc
	s_load_dwordx2 s[12:13], s[0:1], 0x0
	v_mov_b32_e32 v0, v3
	s_add_u32 s2, s2, 12
	s_waitcnt lgkmcnt(0)
	v_mul_hi_u32 v3, s11, v1
	v_add_u32_e32 v3, v1, v3
	v_lshrrev_b32_e32 v3, s9, v3
	s_addc_u32 s3, s3, 0
	s_waitcnt vmcnt(0)
	v_mul_lo_u32 v4, v3, s10
	s_add_u32 s0, s0, 8
	v_sub_u32_e32 v6, v1, v4
	v_mov_b32_e32 v1, v3
	s_addc_u32 s1, s1, 0
	s_add_i32 s8, s8, -1
	v_mad_u64_u32 v[4:5], s[10:11], v6, s13, v[0:1]
	v_mad_u64_u32 v[2:3], s[10:11], v6, s12, v[2:3]
	s_cmp_lg_u32 s8, 0
	v_mov_b32_e32 v3, v4
	s_cbranch_scc1 .LBB7_282
; %bb.283:
	v_mov_b32_e32 v0, v3
.LBB7_284:
	s_cbranch_execnz .LBB7_287
.LBB7_285:
	v_mul_hi_u32 v0, s29, v12
	v_add_u32_e32 v0, v12, v0
	v_lshrrev_b32_e32 v1, s30, v0
	v_mul_lo_u32 v0, v1, s28
	v_sub_u32_e32 v2, v12, v0
	v_mul_lo_u32 v0, v2, s37
	s_andn2_b64 vcc, exec, s[48:49]
	v_mul_lo_u32 v2, v2, s36
	s_cbranch_vccnz .LBB7_287
; %bb.286:
	v_mul_hi_u32 v3, s46, v1
	v_add_u32_e32 v3, v1, v3
	v_lshrrev_b32_e32 v3, s47, v3
	v_mul_lo_u32 v3, v3, s31
	v_sub_u32_e32 v1, v1, v3
	v_mad_u64_u32 v[2:3], s[0:1], v1, s38, v[2:3]
	v_mad_u64_u32 v[0:1], s[0:1], v1, s39, v[0:1]
.LBB7_287:
	v_mov_b32_e32 v1, s27
	v_add_co_u32_e32 v0, vcc, s26, v0
	v_addc_co_u32_e32 v1, vcc, 0, v1, vcc
	v_cmp_gt_i16_e32 vcc, 11, v8
	s_cbranch_vccnz .LBB7_294
; %bb.288:
	v_cmp_lt_i16_e32 vcc, 25, v8
	s_cbranch_vccz .LBB7_303
; %bb.289:
	v_cmp_lt_i16_e32 vcc, 28, v8
	s_cbranch_vccz .LBB7_305
	;; [unrolled: 3-line block ×4, first 2 shown]
; %bb.292:
	v_cmp_eq_u16_e32 vcc, 46, v8
	s_mov_b64 s[8:9], 0
	s_cbranch_vccz .LBB7_315
; %bb.293:
	global_load_dword v3, v[0:1], off
	s_mov_b64 s[0:1], -1
	s_mov_b64 s[2:3], 0
	s_waitcnt vmcnt(0)
	v_lshlrev_b32_e32 v3, 16, v3
	v_cvt_f64_f32_e32 v[4:5], v3
	s_branch .LBB7_316
.LBB7_294:
	s_mov_b64 s[0:1], 0
                                        ; implicit-def: $vgpr4_vgpr5
	s_mov_b64 s[2:3], s[56:57]
	s_cbranch_execnz .LBB7_493
.LBB7_295:
	s_andn2_b64 vcc, exec, s[0:1]
	s_cbranch_vccnz .LBB7_541
.LBB7_296:
	s_waitcnt vmcnt(0)
	v_cmp_nge_f64_e64 s[0:1], v[4:5], -s[44:45]
	v_cmp_nge_f64_e32 vcc, s[44:45], v[4:5]
	s_or_b64 vcc, s[0:1], vcc
	v_cndmask_b32_e32 v1, 0, v5, vcc
	v_cndmask_b32_e32 v0, 0, v4, vcc
	v_mov_b32_e32 v3, s25
	v_add_co_u32_e32 v4, vcc, s24, v2
	v_mov_b32_e32 v2, 11
	v_addc_co_u32_e32 v5, vcc, 0, v3, vcc
	v_cmp_lt_i16_sdwa s[0:1], s77, v2 src0_sel:BYTE_0 src1_sel:DWORD
	s_and_b64 vcc, exec, s[0:1]
	s_cbranch_vccnz .LBB7_304
; %bb.297:
	v_mov_b32_e32 v2, 25
	v_cmp_gt_i16_sdwa s[0:1], s77, v2 src0_sel:BYTE_0 src1_sel:DWORD
	s_and_b64 vcc, exec, s[0:1]
	s_cbranch_vccz .LBB7_306
; %bb.298:
	v_mov_b32_e32 v2, 28
	v_cmp_gt_i16_sdwa s[0:1], s77, v2 src0_sel:BYTE_0 src1_sel:DWORD
	s_and_b64 vcc, exec, s[0:1]
	s_cbranch_vccz .LBB7_308
	;; [unrolled: 5-line block ×4, first 2 shown]
; %bb.301:
	v_mov_b32_e32 v2, 46
	v_cmp_eq_u16_sdwa s[8:9], s77, v2 src0_sel:BYTE_0 src1_sel:DWORD
	s_mov_b64 s[10:11], 0
	s_mov_b64 s[0:1], -1
	s_and_b64 vcc, exec, s[8:9]
	s_mov_b64 s[8:9], 0
	s_cbranch_vccz .LBB7_320
; %bb.302:
	v_cvt_f32_f64_e32 v2, v[0:1]
	v_bfe_u32 v3, v2, 16, 1
	s_movk_i32 s0, 0x7fff
	v_add3_u32 v3, v2, v3, s0
	v_lshrrev_b32_e32 v3, 16, v3
	v_mov_b32_e32 v6, 0x7fc0
	v_cmp_o_f32_e32 vcc, v2, v2
	v_cndmask_b32_e32 v2, v6, v3, vcc
	global_store_dword v[4:5], v2, off
	s_mov_b64 s[8:9], -1
	s_mov_b64 s[0:1], 0
	s_branch .LBB7_320
.LBB7_303:
	s_mov_b64 s[8:9], -1
	s_mov_b64 s[0:1], 0
	s_mov_b64 s[2:3], s[56:57]
                                        ; implicit-def: $vgpr4_vgpr5
	s_branch .LBB7_457
.LBB7_304:
	s_mov_b64 s[10:11], -1
	s_mov_b64 s[8:9], 0
	s_mov_b64 s[0:1], s[54:55]
	s_branch .LBB7_389
.LBB7_305:
	s_mov_b64 s[8:9], -1
	s_mov_b64 s[0:1], 0
	s_mov_b64 s[2:3], s[56:57]
                                        ; implicit-def: $vgpr4_vgpr5
	s_branch .LBB7_438
.LBB7_306:
	s_mov_b64 s[10:11], -1
	s_mov_b64 s[8:9], 0
	s_mov_b64 s[0:1], s[54:55]
	s_branch .LBB7_347
.LBB7_307:
	s_mov_b64 s[8:9], -1
	s_mov_b64 s[0:1], 0
	s_mov_b64 s[2:3], s[56:57]
                                        ; implicit-def: $vgpr4_vgpr5
	s_branch .LBB7_433
.LBB7_308:
	s_mov_b64 s[10:11], -1
	s_mov_b64 s[8:9], 0
	s_mov_b64 s[0:1], s[54:55]
	s_branch .LBB7_330
.LBB7_309:
	s_or_saveexec_b64 s[12:13], s[12:13]
                                        ; implicit-def: $sgpr14
	s_xor_b64 exec, exec, s[12:13]
	s_cbranch_execz .LBB7_69
.LBB7_310:
	s_mov_b32 s14, 0x46000000
	v_add_f32_e64 v3, |v2|, s14
	v_and_b32_e32 v3, 0xff, v3
	v_cmp_ne_u32_e32 vcc, 0, v3
	s_andn2_b64 s[10:11], s[10:11], exec
	s_and_b64 s[16:17], vcc, exec
	s_mov_b32 s14, 0
	s_or_b64 s[10:11], s[10:11], s[16:17]
	s_or_b64 exec, exec, s[12:13]
	v_mov_b32_e32 v6, s14
	s_and_saveexec_b64 s[12:13], s[10:11]
	s_cbranch_execnz .LBB7_70
	s_branch .LBB7_71
.LBB7_311:
	s_mov_b64 s[8:9], -1
	s_mov_b64 s[0:1], 0
	s_mov_b64 s[2:3], s[56:57]
                                        ; implicit-def: $vgpr4_vgpr5
	s_branch .LBB7_316
.LBB7_312:
	s_mov_b64 s[10:11], -1
	s_mov_b64 s[8:9], 0
	s_mov_b64 s[0:1], s[54:55]
	s_branch .LBB7_326
.LBB7_313:
	s_or_saveexec_b64 s[12:13], s[12:13]
                                        ; implicit-def: $sgpr14
	s_xor_b64 exec, exec, s[12:13]
	s_cbranch_execz .LBB7_82
.LBB7_314:
	s_mov_b32 s14, 0x42800000
	v_add_f32_e64 v3, |v2|, s14
	v_and_b32_e32 v3, 0xff, v3
	v_cmp_ne_u32_e32 vcc, 0, v3
	s_andn2_b64 s[10:11], s[10:11], exec
	s_and_b64 s[16:17], vcc, exec
	s_mov_b32 s14, 0
	s_or_b64 s[10:11], s[10:11], s[16:17]
	s_or_b64 exec, exec, s[12:13]
	v_mov_b32_e32 v6, s14
	s_and_saveexec_b64 s[12:13], s[10:11]
	s_cbranch_execnz .LBB7_83
	s_branch .LBB7_84
.LBB7_315:
	s_mov_b64 s[2:3], -1
                                        ; implicit-def: $vgpr4_vgpr5
	s_mov_b64 s[0:1], 0
.LBB7_316:
	s_and_b64 vcc, exec, s[8:9]
	s_cbranch_vccz .LBB7_432
; %bb.317:
	v_cmp_eq_u16_e32 vcc, 44, v8
	s_cbranch_vccz .LBB7_431
; %bb.318:
	global_load_ubyte v3, v[0:1], off
	s_movk_i32 s2, 0xff
	v_bfrev_b32_e32 v6, 4
	v_mov_b32_e32 v7, 0x7ff80000
	v_bfrev_b32_e32 v9, 28
	s_mov_b64 s[0:1], -1
	s_waitcnt vmcnt(0)
	v_lshlrev_b32_e32 v4, 23, v3
	v_cvt_f64_f32_e32 v[4:5], v4
	v_cmp_ne_u32_e32 vcc, s2, v3
	v_cndmask_b32_e32 v4, v6, v4, vcc
	v_cndmask_b32_e32 v5, v7, v5, vcc
	v_cmp_ne_u32_e32 vcc, 0, v3
	v_cndmask_b32_e32 v5, v9, v5, vcc
	v_cndmask_b32_e32 v4, 0, v4, vcc
	s_mov_b64 s[2:3], 0
	s_branch .LBB7_432
.LBB7_319:
	s_mov_b64 s[10:11], -1
	s_mov_b64 s[8:9], 0
	s_mov_b64 s[0:1], s[54:55]
.LBB7_320:
	s_and_b64 vcc, exec, s[10:11]
	s_cbranch_vccz .LBB7_325
; %bb.321:
	v_mov_b32_e32 v2, 44
	v_cmp_eq_u16_sdwa s[10:11], s77, v2 src0_sel:BYTE_0 src1_sel:DWORD
	s_mov_b64 s[0:1], -1
	s_and_b64 vcc, exec, s[10:11]
	s_cbranch_vccz .LBB7_325
; %bb.322:
	v_cvt_f32_f64_e32 v2, v[0:1]
	v_bfe_u32 v3, v2, 23, 8
	s_movk_i32 s0, 0xff
	v_cmp_ne_u32_e32 vcc, s0, v3
	v_mov_b32_e32 v6, 0xff
	s_and_saveexec_b64 s[8:9], vcc
; %bb.323:
	s_mov_b32 s0, 0x3fffff
	v_lshrrev_b32_e32 v6, 23, v2
	v_and_b32_e32 v7, 0x400000, v2
	v_and_or_b32 v2, v2, s0, v3
	v_cmp_ne_u32_e32 vcc, 0, v7
	v_cmp_ne_u32_e64 s[0:1], 0, v2
	s_and_b64 s[0:1], vcc, s[0:1]
	v_cndmask_b32_e64 v2, 0, 1, s[0:1]
	v_add_u32_e32 v6, v6, v2
; %bb.324:
	s_or_b64 exec, exec, s[8:9]
	s_mov_b64 s[8:9], -1
	s_mov_b64 s[0:1], 0
	global_store_byte v[4:5], v6, off
.LBB7_325:
	s_mov_b64 s[10:11], 0
.LBB7_326:
	s_and_b64 vcc, exec, s[10:11]
	s_cbranch_vccz .LBB7_329
; %bb.327:
	v_mov_b32_e32 v2, 29
	v_cmp_eq_u16_sdwa s[10:11], s77, v2 src0_sel:BYTE_0 src1_sel:DWORD
	s_mov_b64 s[0:1], -1
	s_and_b64 vcc, exec, s[10:11]
	s_cbranch_vccz .LBB7_329
; %bb.328:
	v_trunc_f64_e32 v[2:3], v[0:1]
	s_movk_i32 s0, 0xffe0
	v_ldexp_f64 v[6:7], v[2:3], s0
	v_floor_f64_e32 v[6:7], v[6:7]
	v_fmac_f64_e32 v[2:3], 0xc1f00000, v[6:7]
	v_cvt_u32_f64_e32 v11, v[6:7]
	v_cvt_u32_f64_e32 v10, v[2:3]
	global_store_dwordx2 v[4:5], v[10:11], off
	s_mov_b64 s[8:9], -1
	s_mov_b64 s[0:1], 0
.LBB7_329:
	s_mov_b64 s[10:11], 0
.LBB7_330:
	s_and_b64 vcc, exec, s[10:11]
	s_cbranch_vccz .LBB7_346
; %bb.331:
	v_mov_b32_e32 v2, 27
	v_cmp_lt_i16_sdwa s[10:11], s77, v2 src0_sel:BYTE_0 src1_sel:DWORD
	s_mov_b64 s[8:9], -1
	s_and_b64 vcc, exec, s[10:11]
	s_cbranch_vccnz .LBB7_337
; %bb.332:
	v_cmp_gt_i16_sdwa s[10:11], s77, v2 src0_sel:BYTE_0 src1_sel:DWORD
	s_and_b64 vcc, exec, s[10:11]
	v_cvt_u32_f64_e32 v2, v[0:1]
	s_cbranch_vccz .LBB7_334
; %bb.333:
	s_mov_b64 s[8:9], 0
	global_store_dword v[4:5], v2, off
.LBB7_334:
	s_andn2_b64 vcc, exec, s[8:9]
	s_cbranch_vccnz .LBB7_336
; %bb.335:
	global_store_short v[4:5], v2, off
.LBB7_336:
	s_mov_b64 s[8:9], 0
.LBB7_337:
	s_andn2_b64 vcc, exec, s[8:9]
	s_cbranch_vccnz .LBB7_345
; %bb.338:
	v_cvt_f32_f64_e32 v2, v[0:1]
	v_and_b32_e32 v3, 0x7fffffff, v2
	s_mov_b32 s8, 0x43800000
	v_cmp_gt_u32_e32 vcc, s8, v3
	v_mov_b32_e32 v6, 0x80
	s_and_saveexec_b64 s[8:9], vcc
	s_cbranch_execz .LBB7_344
; %bb.339:
	s_mov_b32 s10, 0x3bffffff
	v_cmp_lt_u32_e32 vcc, s10, v3
	s_mov_b64 s[10:11], 0
                                        ; implicit-def: $vgpr3
	s_and_saveexec_b64 s[12:13], vcc
	s_xor_b64 s[12:13], exec, s[12:13]
	s_cbranch_execz .LBB7_573
; %bb.340:
	v_bfe_u32 v3, v2, 20, 1
	s_mov_b32 s14, 0x487ffff
	v_add3_u32 v3, v2, v3, s14
	s_mov_b64 s[10:11], exec
	v_lshrrev_b32_e32 v3, 20, v3
	s_or_saveexec_b64 s[12:13], s[12:13]
                                        ; implicit-def: $sgpr14
	s_xor_b64 exec, exec, s[12:13]
	s_cbranch_execnz .LBB7_574
.LBB7_341:
	s_or_b64 exec, exec, s[12:13]
	v_mov_b32_e32 v6, s14
	s_and_saveexec_b64 s[12:13], s[10:11]
.LBB7_342:
	v_lshrrev_b32_e32 v2, 24, v2
	s_movk_i32 s10, 0x80
	v_and_or_b32 v6, v2, s10, v3
.LBB7_343:
	s_or_b64 exec, exec, s[12:13]
.LBB7_344:
	s_or_b64 exec, exec, s[8:9]
	global_store_byte v[4:5], v6, off
.LBB7_345:
	s_mov_b64 s[8:9], -1
.LBB7_346:
	s_mov_b64 s[10:11], 0
.LBB7_347:
	s_and_b64 vcc, exec, s[10:11]
	s_cbranch_vccz .LBB7_388
; %bb.348:
	v_mov_b32_e32 v2, 22
	v_cmp_gt_i16_sdwa s[12:13], s77, v2 src0_sel:BYTE_0 src1_sel:DWORD
	s_mov_b64 s[10:11], -1
	s_and_b64 vcc, exec, s[12:13]
	s_cbranch_vccz .LBB7_380
; %bb.349:
	v_mov_b32_e32 v2, 24
	v_cmp_lt_i16_sdwa s[10:11], s77, v2 src0_sel:BYTE_0 src1_sel:DWORD
	s_mov_b64 s[8:9], -1
	s_and_b64 vcc, exec, s[10:11]
	s_cbranch_vccnz .LBB7_369
; %bb.350:
	v_cmp_gt_i16_sdwa s[10:11], s77, v2 src0_sel:BYTE_0 src1_sel:DWORD
	s_and_b64 vcc, exec, s[10:11]
	s_cbranch_vccz .LBB7_358
; %bb.351:
	v_cvt_f32_f64_e32 v2, v[0:1]
	v_and_b32_e32 v3, 0x7fffffff, v2
	s_mov_b32 s8, 0x47800000
	v_cmp_gt_u32_e32 vcc, s8, v3
	v_mov_b32_e32 v6, 0x80
	s_and_saveexec_b64 s[8:9], vcc
	s_cbranch_execz .LBB7_357
; %bb.352:
	s_mov_b32 s10, 0x37ffffff
	v_cmp_lt_u32_e32 vcc, s10, v3
	s_mov_b64 s[10:11], 0
                                        ; implicit-def: $vgpr3
	s_and_saveexec_b64 s[12:13], vcc
	s_xor_b64 s[12:13], exec, s[12:13]
	s_cbranch_execz .LBB7_576
; %bb.353:
	v_bfe_u32 v3, v2, 21, 1
	s_mov_b32 s14, 0x88fffff
	v_add3_u32 v3, v2, v3, s14
	s_mov_b64 s[10:11], exec
	v_lshrrev_b32_e32 v3, 21, v3
	s_or_saveexec_b64 s[12:13], s[12:13]
                                        ; implicit-def: $sgpr14
	s_xor_b64 exec, exec, s[12:13]
	s_cbranch_execnz .LBB7_577
.LBB7_354:
	s_or_b64 exec, exec, s[12:13]
	v_mov_b32_e32 v6, s14
	s_and_saveexec_b64 s[12:13], s[10:11]
.LBB7_355:
	v_lshrrev_b32_e32 v2, 24, v2
	s_movk_i32 s10, 0x80
	v_and_or_b32 v6, v2, s10, v3
.LBB7_356:
	s_or_b64 exec, exec, s[12:13]
.LBB7_357:
	s_or_b64 exec, exec, s[8:9]
	s_mov_b64 s[8:9], 0
	global_store_byte v[4:5], v6, off
.LBB7_358:
	s_and_b64 vcc, exec, s[8:9]
	s_cbranch_vccz .LBB7_368
; %bb.359:
	v_cvt_f32_f64_e32 v2, v[0:1]
	v_and_b32_e32 v6, 0x7fffffff, v2
	s_mov_b32 s8, 0x43f00000
	v_cmp_gt_u32_e32 vcc, s8, v6
                                        ; implicit-def: $vgpr3
	s_and_saveexec_b64 s[8:9], vcc
	s_xor_b64 s[8:9], exec, s[8:9]
	s_cbranch_execz .LBB7_365
; %bb.360:
	s_mov_b32 s10, 0x3c7fffff
	v_cmp_lt_u32_e32 vcc, s10, v6
                                        ; implicit-def: $vgpr3
	s_and_saveexec_b64 s[10:11], vcc
	s_xor_b64 s[10:11], exec, s[10:11]
; %bb.361:
	v_bfe_u32 v3, v2, 20, 1
	s_mov_b32 s12, 0x407ffff
	v_add3_u32 v3, v2, v3, s12
	v_lshrrev_b32_e32 v6, 20, v3
	v_and_b32_e32 v3, 0xff00000, v3
	s_mov_b32 s12, 0x7f00000
	v_mov_b32_e32 v7, 0x7e
	v_cmp_ne_u32_e32 vcc, s12, v3
	v_cndmask_b32_e32 v3, v7, v6, vcc
; %bb.362:
	s_andn2_saveexec_b64 s[10:11], s[10:11]
; %bb.363:
	s_mov_b32 s12, 0x46800000
	v_add_f32_e64 v3, |v2|, s12
; %bb.364:
	s_or_b64 exec, exec, s[10:11]
                                        ; implicit-def: $vgpr6
.LBB7_365:
	s_andn2_saveexec_b64 s[8:9], s[8:9]
; %bb.366:
	s_mov_b32 s10, 0x7f800000
	v_mov_b32_e32 v3, 0x7e
	v_mov_b32_e32 v7, 0x7f
	v_cmp_lt_u32_e32 vcc, s10, v6
	v_cndmask_b32_e32 v3, v3, v7, vcc
; %bb.367:
	s_or_b64 exec, exec, s[8:9]
	v_lshrrev_b32_e32 v2, 24, v2
	s_movk_i32 s8, 0x80
	v_and_or_b32 v2, v2, s8, v3
	global_store_byte v[4:5], v2, off
.LBB7_368:
	s_mov_b64 s[8:9], 0
.LBB7_369:
	s_andn2_b64 vcc, exec, s[8:9]
	s_cbranch_vccnz .LBB7_379
; %bb.370:
	v_cvt_f32_f64_e32 v2, v[0:1]
	v_and_b32_e32 v6, 0x7fffffff, v2
	s_mov_b32 s8, 0x47800000
	v_cmp_gt_u32_e32 vcc, s8, v6
                                        ; implicit-def: $vgpr3
	s_and_saveexec_b64 s[8:9], vcc
	s_xor_b64 s[8:9], exec, s[8:9]
	s_cbranch_execz .LBB7_376
; %bb.371:
	s_mov_b32 s10, 0x387fffff
	v_cmp_lt_u32_e32 vcc, s10, v6
                                        ; implicit-def: $vgpr3
	s_and_saveexec_b64 s[10:11], vcc
	s_xor_b64 s[10:11], exec, s[10:11]
; %bb.372:
	v_bfe_u32 v3, v2, 21, 1
	s_mov_b32 s12, 0x80fffff
	v_add3_u32 v3, v2, v3, s12
	v_lshrrev_b32_e32 v3, 21, v3
; %bb.373:
	s_andn2_saveexec_b64 s[10:11], s[10:11]
; %bb.374:
	s_mov_b32 s12, 0x43000000
	v_add_f32_e64 v3, |v2|, s12
; %bb.375:
	s_or_b64 exec, exec, s[10:11]
                                        ; implicit-def: $vgpr6
.LBB7_376:
	s_andn2_saveexec_b64 s[8:9], s[8:9]
; %bb.377:
	s_mov_b32 s10, 0x7f800000
	v_mov_b32_e32 v3, 0x7c
	v_mov_b32_e32 v7, 0x7f
	v_cmp_lt_u32_e32 vcc, s10, v6
	v_cndmask_b32_e32 v3, v3, v7, vcc
; %bb.378:
	s_or_b64 exec, exec, s[8:9]
	v_lshrrev_b32_e32 v2, 24, v2
	s_movk_i32 s8, 0x80
	v_and_or_b32 v2, v2, s8, v3
	global_store_byte v[4:5], v2, off
.LBB7_379:
	s_mov_b64 s[10:11], 0
	s_mov_b64 s[8:9], -1
.LBB7_380:
	s_andn2_b64 vcc, exec, s[10:11]
	s_cbranch_vccnz .LBB7_388
; %bb.381:
	v_mov_b32_e32 v2, 14
	v_cmp_gt_i16_sdwa s[12:13], s77, v2 src0_sel:BYTE_0 src1_sel:DWORD
	s_mov_b64 s[10:11], -1
	s_and_b64 vcc, exec, s[12:13]
	s_cbranch_vccz .LBB7_385
; %bb.382:
	v_mov_b32_e32 v2, 15
	v_cmp_eq_u16_sdwa s[10:11], s77, v2 src0_sel:BYTE_0 src1_sel:DWORD
	s_mov_b64 s[0:1], -1
	s_and_b64 vcc, exec, s[10:11]
	s_cbranch_vccz .LBB7_384
; %bb.383:
	v_cvt_f32_f64_e32 v2, v[0:1]
	v_bfe_u32 v3, v2, 16, 1
	s_movk_i32 s0, 0x7fff
	v_add3_u32 v3, v2, v3, s0
	v_lshrrev_b32_e32 v3, 16, v3
	v_mov_b32_e32 v6, 0x7fc0
	v_cmp_o_f32_e32 vcc, v2, v2
	v_cndmask_b32_e32 v2, v6, v3, vcc
	global_store_short v[4:5], v2, off
	s_mov_b64 s[8:9], -1
	s_mov_b64 s[0:1], 0
.LBB7_384:
	s_mov_b64 s[10:11], 0
.LBB7_385:
	s_and_b64 vcc, exec, s[10:11]
	s_cbranch_vccz .LBB7_388
; %bb.386:
	v_mov_b32_e32 v2, 11
	v_cmp_eq_u16_sdwa s[10:11], s77, v2 src0_sel:BYTE_0 src1_sel:DWORD
	s_mov_b64 s[0:1], -1
	s_and_b64 vcc, exec, s[10:11]
	s_cbranch_vccz .LBB7_388
; %bb.387:
	v_cmp_neq_f64_e32 vcc, 0, v[0:1]
	s_mov_b64 s[0:1], 0
	v_cndmask_b32_e64 v2, 0, 1, vcc
	s_mov_b64 s[8:9], -1
	global_store_byte v[4:5], v2, off
.LBB7_388:
	s_mov_b64 s[10:11], 0
.LBB7_389:
	s_and_b64 vcc, exec, s[10:11]
	s_cbranch_vccz .LBB7_428
; %bb.390:
	v_mov_b32_e32 v2, 5
	v_cmp_lt_i16_sdwa s[10:11], s77, v2 src0_sel:BYTE_0 src1_sel:DWORD
	s_mov_b64 s[8:9], -1
	s_and_b64 vcc, exec, s[10:11]
	s_cbranch_vccnz .LBB7_411
; %bb.391:
	v_mov_b32_e32 v2, 8
	v_cmp_lt_i16_sdwa s[10:11], s77, v2 src0_sel:BYTE_0 src1_sel:DWORD
	s_and_b64 vcc, exec, s[10:11]
	s_cbranch_vccnz .LBB7_401
; %bb.392:
	v_mov_b32_e32 v2, 9
	v_cmp_lt_i16_sdwa s[10:11], s77, v2 src0_sel:BYTE_0 src1_sel:DWORD
	s_and_b64 vcc, exec, s[10:11]
	s_cbranch_vccnz .LBB7_398
; %bb.393:
	v_cmp_gt_i16_sdwa s[10:11], s77, v2 src0_sel:BYTE_0 src1_sel:DWORD
	s_and_b64 vcc, exec, s[10:11]
	s_cbranch_vccz .LBB7_395
; %bb.394:
	v_mov_b32_e32 v2, 0
	v_mov_b32_e32 v3, v2
	s_mov_b64 s[8:9], 0
	global_store_dwordx4 v[4:5], v[0:3], off
.LBB7_395:
	s_andn2_b64 vcc, exec, s[8:9]
	s_cbranch_vccnz .LBB7_397
; %bb.396:
	v_cvt_f32_f64_e32 v2, v[0:1]
	v_mov_b32_e32 v3, 0
	global_store_dwordx2 v[4:5], v[2:3], off
.LBB7_397:
	s_mov_b64 s[8:9], 0
.LBB7_398:
	s_andn2_b64 vcc, exec, s[8:9]
	s_cbranch_vccnz .LBB7_400
; %bb.399:
	v_cvt_f32_f64_e32 v2, v[0:1]
	v_cvt_f16_f32_e32 v2, v2
	global_store_dword v[4:5], v2, off
.LBB7_400:
	s_mov_b64 s[8:9], 0
.LBB7_401:
	s_andn2_b64 vcc, exec, s[8:9]
	s_cbranch_vccnz .LBB7_410
; %bb.402:
	v_mov_b32_e32 v2, 6
	v_cmp_lt_i16_sdwa s[10:11], s77, v2 src0_sel:BYTE_0 src1_sel:DWORD
	s_mov_b64 s[8:9], -1
	s_and_b64 vcc, exec, s[10:11]
	s_cbranch_vccnz .LBB7_408
; %bb.403:
	v_cmp_gt_i16_sdwa s[10:11], s77, v2 src0_sel:BYTE_0 src1_sel:DWORD
	s_and_b64 vcc, exec, s[10:11]
	s_cbranch_vccz .LBB7_405
; %bb.404:
	s_mov_b64 s[8:9], 0
	global_store_dwordx2 v[4:5], v[0:1], off
.LBB7_405:
	s_andn2_b64 vcc, exec, s[8:9]
	s_cbranch_vccnz .LBB7_407
; %bb.406:
	v_cvt_f32_f64_e32 v2, v[0:1]
	global_store_dword v[4:5], v2, off
.LBB7_407:
	s_mov_b64 s[8:9], 0
.LBB7_408:
	s_andn2_b64 vcc, exec, s[8:9]
	s_cbranch_vccnz .LBB7_410
; %bb.409:
	v_cvt_f32_f64_e32 v2, v[0:1]
	v_cvt_f16_f32_e32 v2, v2
	global_store_short v[4:5], v2, off
.LBB7_410:
	s_mov_b64 s[8:9], 0
.LBB7_411:
	s_andn2_b64 vcc, exec, s[8:9]
	s_cbranch_vccnz .LBB7_427
; %bb.412:
	v_mov_b32_e32 v2, 2
	v_cmp_lt_i16_sdwa s[10:11], s77, v2 src0_sel:BYTE_0 src1_sel:DWORD
	s_mov_b64 s[8:9], -1
	s_and_b64 vcc, exec, s[10:11]
	s_cbranch_vccnz .LBB7_422
; %bb.413:
	v_mov_b32_e32 v2, 3
	v_cmp_lt_i16_sdwa s[10:11], s77, v2 src0_sel:BYTE_0 src1_sel:DWORD
	s_and_b64 vcc, exec, s[10:11]
	s_cbranch_vccnz .LBB7_419
; %bb.414:
	v_cmp_gt_i16_sdwa s[10:11], s77, v2 src0_sel:BYTE_0 src1_sel:DWORD
	s_and_b64 vcc, exec, s[10:11]
	s_cbranch_vccz .LBB7_416
; %bb.415:
	v_trunc_f64_e32 v[2:3], v[0:1]
	s_movk_i32 s8, 0xffe0
	v_ldexp_f64 v[6:7], v[2:3], s8
	v_floor_f64_e32 v[6:7], v[6:7]
	v_fmac_f64_e32 v[2:3], 0xc1f00000, v[6:7]
	v_cvt_i32_f64_e32 v11, v[6:7]
	v_cvt_u32_f64_e32 v10, v[2:3]
	s_mov_b64 s[8:9], 0
	global_store_dwordx2 v[4:5], v[10:11], off
.LBB7_416:
	s_andn2_b64 vcc, exec, s[8:9]
	s_cbranch_vccnz .LBB7_418
; %bb.417:
	v_cvt_i32_f64_e32 v2, v[0:1]
	global_store_dword v[4:5], v2, off
.LBB7_418:
	s_mov_b64 s[8:9], 0
.LBB7_419:
	s_andn2_b64 vcc, exec, s[8:9]
	s_cbranch_vccnz .LBB7_421
; %bb.420:
	v_cvt_i32_f64_e32 v2, v[0:1]
	global_store_short v[4:5], v2, off
.LBB7_421:
	s_mov_b64 s[8:9], 0
.LBB7_422:
	s_andn2_b64 vcc, exec, s[8:9]
	s_cbranch_vccnz .LBB7_427
; %bb.423:
	v_mov_b32_e32 v2, 0
	v_cmp_gt_i16_sdwa s[10:11], s77, v2 src0_sel:BYTE_0 src1_sel:DWORD
	s_mov_b64 s[8:9], -1
	s_and_b64 vcc, exec, s[10:11]
	s_cbranch_vccz .LBB7_425
; %bb.424:
	v_cvt_i32_f64_e32 v2, v[0:1]
	s_mov_b64 s[8:9], 0
	global_store_byte v[4:5], v2, off
.LBB7_425:
	s_andn2_b64 vcc, exec, s[8:9]
	s_cbranch_vccnz .LBB7_427
; %bb.426:
	v_trunc_f64_e32 v[0:1], v[0:1]
	s_movk_i32 s8, 0xffe0
	v_ldexp_f64 v[2:3], v[0:1], s8
	v_floor_f64_e32 v[2:3], v[2:3]
	v_fmac_f64_e32 v[0:1], 0xc1f00000, v[2:3]
	v_cvt_u32_f64_e32 v0, v[0:1]
	global_store_byte v[4:5], v0, off
.LBB7_427:
	s_mov_b64 s[8:9], -1
.LBB7_428:
	s_andn2_b64 vcc, exec, s[8:9]
	s_cbranch_vccnz .LBB7_430
; %bb.429:
	v_add_u32_e32 v12, 0x80, v12
	s_mov_b64 s[8:9], -1
	s_branch .LBB7_543
.LBB7_430:
	s_mov_b64 s[8:9], 0
	s_branch .LBB7_542
.LBB7_431:
	s_mov_b64 s[2:3], -1
                                        ; implicit-def: $vgpr4_vgpr5
.LBB7_432:
	s_mov_b64 s[8:9], 0
.LBB7_433:
	s_and_b64 vcc, exec, s[8:9]
	s_cbranch_vccz .LBB7_437
; %bb.434:
	v_cmp_eq_u16_e32 vcc, 29, v8
	s_cbranch_vccz .LBB7_436
; %bb.435:
	global_load_dwordx2 v[4:5], v[0:1], off
	s_mov_b64 s[0:1], -1
	s_mov_b64 s[2:3], 0
	s_mov_b64 s[8:9], 0
	s_waitcnt vmcnt(0)
	v_cvt_f64_u32_e32 v[6:7], v5
	v_cvt_f64_u32_e32 v[4:5], v4
	v_ldexp_f64 v[6:7], v[6:7], 32
	v_add_f64 v[4:5], v[6:7], v[4:5]
	s_branch .LBB7_438
.LBB7_436:
	s_mov_b64 s[2:3], -1
                                        ; implicit-def: $vgpr4_vgpr5
.LBB7_437:
	s_mov_b64 s[8:9], 0
.LBB7_438:
	s_and_b64 vcc, exec, s[8:9]
	s_cbranch_vccz .LBB7_456
; %bb.439:
	v_cmp_gt_i16_e32 vcc, 27, v8
	s_cbranch_vccnz .LBB7_442
; %bb.440:
	v_cmp_lt_i16_e32 vcc, 27, v8
	s_cbranch_vccz .LBB7_443
; %bb.441:
	global_load_dword v3, v[0:1], off
	s_mov_b64 s[0:1], 0
	s_waitcnt vmcnt(0)
	v_cvt_f64_u32_e32 v[4:5], v3
	s_branch .LBB7_444
.LBB7_442:
	s_mov_b64 s[0:1], -1
                                        ; implicit-def: $vgpr4_vgpr5
	s_branch .LBB7_447
.LBB7_443:
	s_mov_b64 s[0:1], -1
                                        ; implicit-def: $vgpr4_vgpr5
.LBB7_444:
	s_andn2_b64 vcc, exec, s[0:1]
	s_cbranch_vccnz .LBB7_446
; %bb.445:
	global_load_ushort v3, v[0:1], off
	s_waitcnt vmcnt(0)
	v_cvt_f64_u32_e32 v[4:5], v3
.LBB7_446:
	s_mov_b64 s[0:1], 0
.LBB7_447:
	s_andn2_b64 vcc, exec, s[0:1]
	s_cbranch_vccnz .LBB7_455
; %bb.448:
	global_load_ubyte v3, v[0:1], off
	s_movk_i32 s0, 0x7f
                                        ; implicit-def: $sgpr8_sgpr9
	s_waitcnt vmcnt(0)
	v_cmp_lt_i16_e32 vcc, s0, v3
	s_mov_b64 s[0:1], 0
	s_and_saveexec_b64 s[10:11], vcc
	s_xor_b64 s[10:11], exec, s[10:11]
	s_cbranch_execz .LBB7_469
; %bb.449:
	s_movk_i32 s0, 0x80
	v_cmp_eq_u16_e32 vcc, s0, v3
	s_mov_b64 s[12:13], -1
                                        ; implicit-def: $sgpr8_sgpr9
	s_and_saveexec_b64 s[0:1], vcc
; %bb.450:
	s_mov_b32 s9, 0x7ff80000
	s_brev_b32 s8, 4
	s_xor_b64 s[12:13], exec, -1
; %bb.451:
	s_or_b64 exec, exec, s[0:1]
	s_and_b64 s[0:1], s[12:13], exec
	s_or_saveexec_b64 s[10:11], s[10:11]
	v_pk_mov_b32 v[4:5], s[8:9], s[8:9] op_sel:[0,1]
	s_xor_b64 exec, exec, s[10:11]
	s_cbranch_execnz .LBB7_470
.LBB7_452:
	s_or_b64 exec, exec, s[10:11]
	s_and_saveexec_b64 s[8:9], s[0:1]
	s_cbranch_execz .LBB7_454
.LBB7_453:
	v_lshlrev_b32_e32 v4, 24, v3
	v_and_b32_e32 v3, 0xffff, v3
	v_and_b32_e32 v5, 7, v3
	v_ffbh_u32_e32 v7, v5
	v_min_u32_e32 v7, 32, v7
	v_subrev_u32_e32 v9, 28, v7
	v_bfe_u32 v6, v3, 3, 4
	v_lshlrev_b32_e32 v3, v9, v3
	v_sub_u32_e32 v7, 29, v7
	v_and_b32_e32 v3, 7, v3
	v_cmp_eq_u32_e32 vcc, 0, v6
	v_cndmask_b32_e32 v6, v6, v7, vcc
	v_cndmask_b32_e32 v3, v5, v3, vcc
	v_mov_b32_e32 v5, 0x3b800000
	v_lshlrev_b32_e32 v3, 20, v3
	v_and_b32_e32 v4, 0x80000000, v4
	v_lshl_add_u32 v5, v6, 23, v5
	v_or3_b32 v3, v4, v5, v3
	v_cvt_f64_f32_e32 v[4:5], v3
.LBB7_454:
	s_or_b64 exec, exec, s[8:9]
.LBB7_455:
	s_mov_b64 s[0:1], -1
.LBB7_456:
	s_mov_b64 s[8:9], 0
.LBB7_457:
	s_and_b64 vcc, exec, s[8:9]
	s_cbranch_vccz .LBB7_492
; %bb.458:
	v_cmp_lt_i16_e32 vcc, 22, v8
	s_cbranch_vccz .LBB7_468
; %bb.459:
	v_cmp_gt_i16_e32 vcc, 24, v8
	s_cbranch_vccnz .LBB7_471
; %bb.460:
	v_cmp_lt_i16_e32 vcc, 24, v8
	s_cbranch_vccz .LBB7_472
; %bb.461:
	global_load_ubyte v3, v[0:1], off
	s_movk_i32 s0, 0x7f
                                        ; implicit-def: $sgpr8_sgpr9
	s_waitcnt vmcnt(0)
	v_cmp_lt_i16_e32 vcc, s0, v3
	s_mov_b64 s[0:1], 0
	s_and_saveexec_b64 s[10:11], vcc
	s_xor_b64 s[10:11], exec, s[10:11]
	s_cbranch_execz .LBB7_484
; %bb.462:
	s_movk_i32 s0, 0x80
	v_cmp_eq_u16_e32 vcc, s0, v3
	s_mov_b64 s[12:13], -1
                                        ; implicit-def: $sgpr8_sgpr9
	s_and_saveexec_b64 s[0:1], vcc
; %bb.463:
	s_mov_b32 s9, 0x7ff80000
	s_brev_b32 s8, 4
	s_xor_b64 s[12:13], exec, -1
; %bb.464:
	s_or_b64 exec, exec, s[0:1]
	s_and_b64 s[0:1], s[12:13], exec
	s_or_saveexec_b64 s[10:11], s[10:11]
	v_pk_mov_b32 v[4:5], s[8:9], s[8:9] op_sel:[0,1]
	s_xor_b64 exec, exec, s[10:11]
	s_cbranch_execnz .LBB7_485
.LBB7_465:
	s_or_b64 exec, exec, s[10:11]
	s_and_saveexec_b64 s[8:9], s[0:1]
	s_cbranch_execz .LBB7_467
.LBB7_466:
	v_lshlrev_b32_e32 v4, 24, v3
	v_and_b32_e32 v3, 0xffff, v3
	v_and_b32_e32 v5, 3, v3
	v_ffbh_u32_e32 v7, v5
	v_min_u32_e32 v7, 32, v7
	v_subrev_u32_e32 v9, 29, v7
	v_bfe_u32 v6, v3, 2, 5
	v_lshlrev_b32_e32 v3, v9, v3
	v_sub_u32_e32 v7, 30, v7
	v_and_b32_e32 v3, 3, v3
	v_cmp_eq_u32_e32 vcc, 0, v6
	v_cndmask_b32_e32 v6, v6, v7, vcc
	v_cndmask_b32_e32 v3, v5, v3, vcc
	v_mov_b32_e32 v5, 0x37800000
	v_lshlrev_b32_e32 v3, 21, v3
	v_and_b32_e32 v4, 0x80000000, v4
	v_lshl_add_u32 v5, v6, 23, v5
	v_or3_b32 v3, v4, v5, v3
	v_cvt_f64_f32_e32 v[4:5], v3
.LBB7_467:
	s_or_b64 exec, exec, s[8:9]
	s_mov_b64 s[0:1], 0
	s_branch .LBB7_473
.LBB7_468:
	s_mov_b64 s[8:9], -1
                                        ; implicit-def: $vgpr4_vgpr5
	s_branch .LBB7_479
.LBB7_469:
	s_or_saveexec_b64 s[10:11], s[10:11]
	v_pk_mov_b32 v[4:5], s[8:9], s[8:9] op_sel:[0,1]
	s_xor_b64 exec, exec, s[10:11]
	s_cbranch_execz .LBB7_452
.LBB7_470:
	v_cmp_ne_u16_e32 vcc, 0, v3
	s_andn2_b64 s[0:1], s[0:1], exec
	s_and_b64 s[8:9], vcc, exec
	v_pk_mov_b32 v[4:5], 0, 0
	s_or_b64 s[0:1], s[0:1], s[8:9]
	s_or_b64 exec, exec, s[10:11]
	s_and_saveexec_b64 s[8:9], s[0:1]
	s_cbranch_execnz .LBB7_453
	s_branch .LBB7_454
.LBB7_471:
	s_mov_b64 s[0:1], -1
                                        ; implicit-def: $vgpr4_vgpr5
	s_branch .LBB7_476
.LBB7_472:
	s_mov_b64 s[0:1], -1
                                        ; implicit-def: $vgpr4_vgpr5
.LBB7_473:
	s_and_b64 vcc, exec, s[0:1]
	s_cbranch_vccz .LBB7_475
; %bb.474:
	global_load_ubyte v3, v[0:1], off
	s_mov_b32 s0, 0x7f800000
	s_waitcnt vmcnt(0)
	v_lshlrev_b32_e32 v3, 24, v3
	v_and_b32_e32 v4, 0x7f000000, v3
	v_ffbh_u32_e32 v5, v4
	v_min_u32_e32 v5, 32, v5
	v_sub_u32_e64 v5, v5, 4 clamp
	v_lshlrev_b32_e32 v7, v5, v4
	v_lshlrev_b32_e32 v5, 23, v5
	v_lshrrev_b32_e32 v7, 4, v7
	v_add_u32_e32 v6, 0x1000000, v4
	v_sub_u32_e32 v5, v7, v5
	v_ashrrev_i32_e32 v6, 8, v6
	v_add_u32_e32 v5, 0x3c000000, v5
	v_and_or_b32 v5, v6, s0, v5
	v_cmp_ne_u32_e32 vcc, 0, v4
	v_cndmask_b32_e32 v4, 0, v5, vcc
	s_brev_b32 s0, 1
	v_and_or_b32 v3, v3, s0, v4
	v_cvt_f64_f32_e32 v[4:5], v3
.LBB7_475:
	s_mov_b64 s[0:1], 0
.LBB7_476:
	s_andn2_b64 vcc, exec, s[0:1]
	s_cbranch_vccnz .LBB7_478
; %bb.477:
	global_load_ubyte v3, v[0:1], off
	s_movk_i32 s0, 0x7f00
	s_brev_b32 s1, 16
	s_waitcnt vmcnt(0)
	v_lshlrev_b16_e32 v4, 8, v3
	v_lshlrev_b32_e32 v3, 25, v3
	v_lshrrev_b32_e32 v5, 4, v3
	v_and_or_b32 v6, v4, s0, 0.5
	v_or_b32_e32 v5, 0x70000000, v5
	v_add_f32_e32 v6, -0.5, v6
	v_mul_f32_e32 v5, 0x7800000, v5
	v_cmp_gt_u32_e32 vcc, s1, v3
	v_bfe_i32 v4, v4, 0, 16
	v_cndmask_b32_e32 v3, v5, v6, vcc
	s_brev_b32 s0, 1
	v_and_or_b32 v3, v4, s0, v3
	v_cvt_f64_f32_e32 v[4:5], v3
.LBB7_478:
	s_mov_b64 s[8:9], 0
	s_mov_b64 s[0:1], -1
.LBB7_479:
	s_andn2_b64 vcc, exec, s[8:9]
	s_cbranch_vccnz .LBB7_492
; %bb.480:
	v_cmp_lt_i16_e32 vcc, 14, v8
	s_cbranch_vccz .LBB7_483
; %bb.481:
	v_cmp_eq_u16_e32 vcc, 15, v8
	s_cbranch_vccz .LBB7_486
; %bb.482:
	global_load_ushort v3, v[0:1], off
	s_mov_b64 s[0:1], -1
	s_mov_b64 s[2:3], 0
	s_waitcnt vmcnt(0)
	v_lshlrev_b32_e32 v3, 16, v3
	v_cvt_f64_f32_e32 v[4:5], v3
	s_branch .LBB7_487
.LBB7_483:
	s_mov_b64 s[8:9], -1
                                        ; implicit-def: $vgpr4_vgpr5
	s_branch .LBB7_488
.LBB7_484:
	s_or_saveexec_b64 s[10:11], s[10:11]
	v_pk_mov_b32 v[4:5], s[8:9], s[8:9] op_sel:[0,1]
	s_xor_b64 exec, exec, s[10:11]
	s_cbranch_execz .LBB7_465
.LBB7_485:
	v_cmp_ne_u16_e32 vcc, 0, v3
	s_andn2_b64 s[0:1], s[0:1], exec
	s_and_b64 s[8:9], vcc, exec
	v_pk_mov_b32 v[4:5], 0, 0
	s_or_b64 s[0:1], s[0:1], s[8:9]
	s_or_b64 exec, exec, s[10:11]
	s_and_saveexec_b64 s[8:9], s[0:1]
	s_cbranch_execnz .LBB7_466
	s_branch .LBB7_467
.LBB7_486:
	s_mov_b64 s[2:3], -1
                                        ; implicit-def: $vgpr4_vgpr5
.LBB7_487:
	s_mov_b64 s[8:9], 0
.LBB7_488:
	s_and_b64 vcc, exec, s[8:9]
	s_cbranch_vccz .LBB7_492
; %bb.489:
	v_cmp_eq_u16_e32 vcc, 11, v8
	s_cbranch_vccz .LBB7_491
; %bb.490:
	global_load_ubyte v3, v[0:1], off
	s_waitcnt vmcnt(1)
	v_mov_b32_e32 v5, 0x3ff00000
	v_mov_b32_e32 v4, 0
	s_mov_b64 s[0:1], -1
	s_mov_b64 s[2:3], 0
	s_waitcnt vmcnt(0)
	v_cmp_ne_u16_e32 vcc, 0, v3
	v_cndmask_b32_e32 v5, 0, v5, vcc
	s_branch .LBB7_492
.LBB7_491:
	s_mov_b64 s[2:3], -1
                                        ; implicit-def: $vgpr4_vgpr5
.LBB7_492:
	s_branch .LBB7_295
.LBB7_493:
	v_cmp_gt_i16_e32 vcc, 5, v8
	s_cbranch_vccnz .LBB7_498
; %bb.494:
	v_cmp_gt_i16_e32 vcc, 8, v8
	s_cbranch_vccnz .LBB7_499
; %bb.495:
	;; [unrolled: 3-line block ×3, first 2 shown]
	v_cmp_lt_i16_e32 vcc, 9, v8
	s_cbranch_vccz .LBB7_501
; %bb.497:
	global_load_dwordx2 v[4:5], v[0:1], off
	s_mov_b64 s[0:1], 0
	s_branch .LBB7_502
.LBB7_498:
	s_mov_b64 s[0:1], -1
                                        ; implicit-def: $vgpr4_vgpr5
	s_branch .LBB7_520
.LBB7_499:
	s_mov_b64 s[0:1], -1
                                        ; implicit-def: $vgpr4_vgpr5
	s_branch .LBB7_508
.LBB7_500:
	s_mov_b64 s[0:1], -1
                                        ; implicit-def: $vgpr4_vgpr5
	s_branch .LBB7_505
.LBB7_501:
	s_mov_b64 s[0:1], -1
                                        ; implicit-def: $vgpr4_vgpr5
.LBB7_502:
	s_andn2_b64 vcc, exec, s[0:1]
	s_cbranch_vccnz .LBB7_504
; %bb.503:
	global_load_dword v3, v[0:1], off
	s_waitcnt vmcnt(0)
	v_cvt_f64_f32_e32 v[4:5], v3
.LBB7_504:
	s_mov_b64 s[0:1], 0
.LBB7_505:
	s_andn2_b64 vcc, exec, s[0:1]
	s_cbranch_vccnz .LBB7_507
; %bb.506:
	global_load_dword v3, v[0:1], off
	s_waitcnt vmcnt(0)
	v_cvt_f32_f16_e32 v3, v3
	v_cvt_f64_f32_e32 v[4:5], v3
.LBB7_507:
	s_mov_b64 s[0:1], 0
.LBB7_508:
	s_andn2_b64 vcc, exec, s[0:1]
	s_cbranch_vccnz .LBB7_519
; %bb.509:
	v_cmp_gt_i16_e32 vcc, 6, v8
	s_cbranch_vccnz .LBB7_512
; %bb.510:
	v_cmp_lt_i16_e32 vcc, 6, v8
	s_cbranch_vccz .LBB7_513
; %bb.511:
	global_load_dwordx2 v[4:5], v[0:1], off
	s_mov_b64 s[0:1], 0
	s_branch .LBB7_514
.LBB7_512:
	s_mov_b64 s[0:1], -1
                                        ; implicit-def: $vgpr4_vgpr5
	s_branch .LBB7_517
.LBB7_513:
	s_mov_b64 s[0:1], -1
                                        ; implicit-def: $vgpr4_vgpr5
.LBB7_514:
	s_andn2_b64 vcc, exec, s[0:1]
	s_cbranch_vccnz .LBB7_516
; %bb.515:
	global_load_dword v3, v[0:1], off
	s_waitcnt vmcnt(0)
	v_cvt_f64_f32_e32 v[4:5], v3
.LBB7_516:
	s_mov_b64 s[0:1], 0
.LBB7_517:
	s_andn2_b64 vcc, exec, s[0:1]
	s_cbranch_vccnz .LBB7_519
; %bb.518:
	global_load_ushort v3, v[0:1], off
	s_waitcnt vmcnt(0)
	v_cvt_f32_f16_e32 v3, v3
	v_cvt_f64_f32_e32 v[4:5], v3
.LBB7_519:
	s_mov_b64 s[0:1], 0
.LBB7_520:
	s_andn2_b64 vcc, exec, s[0:1]
	s_cbranch_vccnz .LBB7_540
; %bb.521:
	v_cmp_gt_i16_e32 vcc, 2, v8
	s_cbranch_vccnz .LBB7_525
; %bb.522:
	v_cmp_gt_i16_e32 vcc, 3, v8
	s_cbranch_vccnz .LBB7_526
; %bb.523:
	v_cmp_lt_i16_e32 vcc, 3, v8
	s_cbranch_vccz .LBB7_527
; %bb.524:
	global_load_dwordx2 v[4:5], v[0:1], off
	s_mov_b64 s[0:1], 0
	s_waitcnt vmcnt(0)
	v_cvt_f64_i32_e32 v[6:7], v5
	v_cvt_f64_u32_e32 v[4:5], v4
	v_ldexp_f64 v[6:7], v[6:7], 32
	v_add_f64 v[4:5], v[6:7], v[4:5]
	s_branch .LBB7_528
.LBB7_525:
	s_mov_b64 s[0:1], -1
                                        ; implicit-def: $vgpr4_vgpr5
	s_branch .LBB7_534
.LBB7_526:
	s_mov_b64 s[0:1], -1
                                        ; implicit-def: $vgpr4_vgpr5
	s_branch .LBB7_531
.LBB7_527:
	s_mov_b64 s[0:1], -1
                                        ; implicit-def: $vgpr4_vgpr5
.LBB7_528:
	s_andn2_b64 vcc, exec, s[0:1]
	s_cbranch_vccnz .LBB7_530
; %bb.529:
	global_load_dword v3, v[0:1], off
	s_waitcnt vmcnt(0)
	v_cvt_f64_i32_e32 v[4:5], v3
.LBB7_530:
	s_mov_b64 s[0:1], 0
.LBB7_531:
	s_andn2_b64 vcc, exec, s[0:1]
	s_cbranch_vccnz .LBB7_533
; %bb.532:
	global_load_sshort v3, v[0:1], off
	s_waitcnt vmcnt(0)
	v_cvt_f64_i32_e32 v[4:5], v3
.LBB7_533:
	s_mov_b64 s[0:1], 0
.LBB7_534:
	s_andn2_b64 vcc, exec, s[0:1]
	s_cbranch_vccnz .LBB7_540
; %bb.535:
	v_cmp_lt_i16_e32 vcc, 0, v8
	s_cbranch_vccz .LBB7_537
; %bb.536:
	global_load_sbyte v3, v[0:1], off
	s_mov_b64 s[0:1], 0
	s_waitcnt vmcnt(0)
	v_cvt_f64_i32_e32 v[4:5], v3
	s_branch .LBB7_538
.LBB7_537:
	s_mov_b64 s[0:1], -1
                                        ; implicit-def: $vgpr4_vgpr5
.LBB7_538:
	s_andn2_b64 vcc, exec, s[0:1]
	s_cbranch_vccnz .LBB7_540
; %bb.539:
	global_load_ubyte v0, v[0:1], off
	s_waitcnt vmcnt(0)
	v_cvt_f64_u32_e32 v[4:5], v0
.LBB7_540:
	s_branch .LBB7_296
.LBB7_541:
	s_mov_b64 s[8:9], 0
	s_mov_b64 s[0:1], s[54:55]
.LBB7_542:
                                        ; implicit-def: $vgpr12
.LBB7_543:
	s_andn2_b64 s[10:11], s[54:55], exec
	s_and_b64 s[0:1], s[0:1], exec
	s_or_b64 s[62:63], s[10:11], s[0:1]
	s_andn2_b64 s[0:1], s[56:57], exec
	s_and_b64 s[2:3], s[2:3], exec
	s_or_b64 s[60:61], s[0:1], s[2:3]
	s_orn2_b64 s[0:1], s[8:9], exec
.LBB7_544:
	s_or_b64 exec, exec, s[64:65]
	s_mov_b64 s[2:3], 0
	s_mov_b64 s[8:9], 0
	;; [unrolled: 1-line block ×3, first 2 shown]
                                        ; implicit-def: $vgpr0_vgpr1
                                        ; implicit-def: $vgpr2
                                        ; implicit-def: $vgpr6_vgpr7
	s_and_saveexec_b64 s[64:65], s[0:1]
	s_cbranch_execz .LBB7_921
; %bb.545:
	v_cmp_gt_i32_e32 vcc, s74, v12
	s_mov_b64 s[2:3], -1
	s_mov_b64 s[68:69], s[60:61]
	s_mov_b64 s[70:71], s[62:63]
	s_and_saveexec_b64 s[66:67], vcc
	s_cbranch_execz .LBB7_820
; %bb.546:
	s_andn2_b64 vcc, exec, s[40:41]
	s_cbranch_vccnz .LBB7_552
; %bb.547:
	s_mov_b32 s68, 0
	s_andn2_b64 vcc, exec, s[52:53]
	v_mov_b32_e32 v0, 0
	v_mov_b32_e32 v2, 0
	s_cbranch_vccnz .LBB7_558
; %bb.548:
	s_add_i32 s78, s75, 1
	s_cmp_eq_u32 s76, 2
	s_cbranch_scc1 .LBB7_553
; %bb.549:
	s_and_b32 s68, s78, 28
	s_mov_b32 s69, 0
	v_mov_b32_e32 v2, 0
	s_mov_b64 s[70:71], s[34:35]
	s_mov_b64 s[72:73], s[50:51]
	v_mov_b32_e32 v1, v12
	v_mov_b32_e32 v0, 0
.LBB7_550:                              ; =>This Inner Loop Header: Depth=1
	s_load_dwordx8 s[16:23], s[70:71], 0x4
	s_load_dwordx4 s[0:3], s[70:71], 0x24
	s_load_dwordx8 s[8:15], s[72:73], 0x0
	s_add_u32 s70, s70, 48
	s_addc_u32 s71, s71, 0
	s_waitcnt lgkmcnt(0)
	v_mul_hi_u32 v3, s17, v1
	v_add_u32_e32 v3, v1, v3
	v_lshrrev_b32_e32 v3, s18, v3
	s_waitcnt vmcnt(0)
	v_mul_lo_u32 v4, v3, s16
	v_mul_hi_u32 v5, s20, v3
	v_sub_u32_e32 v1, v1, v4
	v_add_u32_e32 v4, v3, v5
	v_lshrrev_b32_e32 v4, s21, v4
	v_mul_lo_u32 v6, v4, s19
	v_mul_hi_u32 v7, s23, v4
	v_sub_u32_e32 v3, v3, v6
	v_add_u32_e32 v6, v4, v7
	v_mul_lo_u32 v5, v1, s9
	v_mul_lo_u32 v1, v1, s8
	;; [unrolled: 1-line block ×4, first 2 shown]
	v_lshrrev_b32_e32 v6, s0, v6
	v_add3_u32 v2, v1, v2, v3
	v_mul_lo_u32 v1, v6, s22
	v_mul_hi_u32 v3, s2, v6
	v_sub_u32_e32 v1, v4, v1
	v_add_u32_e32 v3, v6, v3
	v_add3_u32 v0, v5, v0, v7
	v_mul_lo_u32 v4, v1, s12
	v_mul_lo_u32 v5, v1, s13
	v_lshrrev_b32_e32 v1, s3, v3
	s_add_i32 s69, s69, 4
	v_mul_lo_u32 v3, v1, s1
	s_add_u32 s72, s72, 32
	v_sub_u32_e32 v3, v6, v3
	s_addc_u32 s73, s73, 0
	v_mul_lo_u32 v6, v3, s14
	v_mul_lo_u32 v3, v3, s15
	s_cmp_eq_u32 s68, s69
	v_add3_u32 v0, v5, v0, v3
	v_add3_u32 v2, v4, v2, v6
	s_cbranch_scc0 .LBB7_550
; %bb.551:
	v_mov_b32_e32 v3, v0
	s_branch .LBB7_554
.LBB7_552:
	s_mov_b64 s[0:1], -1
                                        ; implicit-def: $vgpr0
                                        ; implicit-def: $vgpr2
	s_branch .LBB7_559
.LBB7_553:
	s_mov_b32 s69, s68
	v_pk_mov_b32 v[2:3], s[68:69], s[68:69] op_sel:[0,1]
                                        ; implicit-def: $vgpr0
	v_mov_b32_e32 v1, v12
.LBB7_554:
	s_and_b32 s8, s78, 3
	s_cmp_eq_u32 s8, 0
	s_cbranch_scc1 .LBB7_558
; %bb.555:
	s_lshl_b32 s0, s68, 3
	s_add_u32 s0, s0, s34
	s_addc_u32 s1, s35, 0
	s_add_u32 s0, s0, 0xc4
	s_addc_u32 s1, s1, 0
	s_mul_i32 s2, s68, 12
	s_add_u32 s2, s34, s2
	s_addc_u32 s3, s35, 0
.LBB7_556:                              ; =>This Inner Loop Header: Depth=1
	s_load_dwordx2 s[10:11], s[2:3], 0x4
	s_load_dword s9, s[2:3], 0xc
	s_load_dwordx2 s[12:13], s[0:1], 0x0
	v_mov_b32_e32 v0, v3
	s_add_u32 s2, s2, 12
	s_waitcnt lgkmcnt(0)
	v_mul_hi_u32 v3, s11, v1
	v_add_u32_e32 v3, v1, v3
	v_lshrrev_b32_e32 v3, s9, v3
	s_addc_u32 s3, s3, 0
	s_waitcnt vmcnt(0)
	v_mul_lo_u32 v4, v3, s10
	s_add_u32 s0, s0, 8
	v_sub_u32_e32 v6, v1, v4
	v_mov_b32_e32 v1, v3
	s_addc_u32 s1, s1, 0
	s_add_i32 s8, s8, -1
	v_mad_u64_u32 v[4:5], s[10:11], v6, s13, v[0:1]
	v_mad_u64_u32 v[2:3], s[10:11], v6, s12, v[2:3]
	s_cmp_lg_u32 s8, 0
	v_mov_b32_e32 v3, v4
	s_cbranch_scc1 .LBB7_556
; %bb.557:
	v_mov_b32_e32 v0, v3
.LBB7_558:
	s_mov_b64 s[0:1], 0
.LBB7_559:
	s_andn2_b64 vcc, exec, s[0:1]
	s_cbranch_vccnz .LBB7_562
; %bb.560:
	v_mul_hi_u32 v0, s29, v12
	v_add_u32_e32 v0, v12, v0
	v_lshrrev_b32_e32 v1, s30, v0
	v_mul_lo_u32 v0, v1, s28
	v_sub_u32_e32 v2, v12, v0
	v_mul_lo_u32 v0, v2, s37
	s_andn2_b64 vcc, exec, s[48:49]
	v_mul_lo_u32 v2, v2, s36
	s_cbranch_vccnz .LBB7_562
; %bb.561:
	v_mul_hi_u32 v3, s46, v1
	v_add_u32_e32 v3, v1, v3
	v_lshrrev_b32_e32 v3, s47, v3
	v_mul_lo_u32 v3, v3, s31
	v_sub_u32_e32 v1, v1, v3
	v_mad_u64_u32 v[2:3], s[0:1], v1, s38, v[2:3]
	v_mad_u64_u32 v[0:1], s[0:1], v1, s39, v[0:1]
.LBB7_562:
	v_mov_b32_e32 v1, s27
	v_add_co_u32_e32 v0, vcc, s26, v0
	v_addc_co_u32_e32 v1, vcc, 0, v1, vcc
	v_cmp_gt_i16_e32 vcc, 11, v8
	s_cbranch_vccnz .LBB7_569
; %bb.563:
	v_cmp_lt_i16_e32 vcc, 25, v8
	s_cbranch_vccz .LBB7_570
; %bb.564:
	v_cmp_lt_i16_e32 vcc, 28, v8
	s_cbranch_vccz .LBB7_571
	;; [unrolled: 3-line block ×4, first 2 shown]
; %bb.567:
	v_cmp_eq_u16_e32 vcc, 46, v8
	s_mov_b64 s[8:9], 0
	s_cbranch_vccz .LBB7_578
; %bb.568:
	global_load_dword v3, v[0:1], off
	s_mov_b64 s[0:1], -1
	s_mov_b64 s[2:3], 0
	s_waitcnt vmcnt(0)
	v_lshlrev_b32_e32 v3, 16, v3
	v_cvt_f64_f32_e32 v[4:5], v3
	s_branch .LBB7_579
.LBB7_569:
	s_mov_b64 s[8:9], -1
	s_mov_b64 s[0:1], 0
                                        ; implicit-def: $vgpr4_vgpr5
	s_mov_b64 s[2:3], s[60:61]
	s_branch .LBB7_644
.LBB7_570:
	s_mov_b64 s[8:9], -1
	s_mov_b64 s[0:1], 0
	s_mov_b64 s[2:3], s[60:61]
                                        ; implicit-def: $vgpr4_vgpr5
	s_branch .LBB7_608
.LBB7_571:
	s_mov_b64 s[8:9], -1
	s_mov_b64 s[0:1], 0
	s_mov_b64 s[2:3], s[60:61]
                                        ; implicit-def: $vgpr4_vgpr5
	s_branch .LBB7_589
.LBB7_572:
	s_mov_b64 s[8:9], -1
	s_mov_b64 s[0:1], 0
	s_mov_b64 s[2:3], s[60:61]
                                        ; implicit-def: $vgpr4_vgpr5
	s_branch .LBB7_584
.LBB7_573:
	s_or_saveexec_b64 s[12:13], s[12:13]
                                        ; implicit-def: $sgpr14
	s_xor_b64 exec, exec, s[12:13]
	s_cbranch_execz .LBB7_341
.LBB7_574:
	s_mov_b32 s14, 0x46000000
	v_add_f32_e64 v3, |v2|, s14
	v_and_b32_e32 v3, 0xff, v3
	v_cmp_ne_u32_e32 vcc, 0, v3
	s_andn2_b64 s[10:11], s[10:11], exec
	s_and_b64 s[16:17], vcc, exec
	s_mov_b32 s14, 0
	s_or_b64 s[10:11], s[10:11], s[16:17]
	s_or_b64 exec, exec, s[12:13]
	v_mov_b32_e32 v6, s14
	s_and_saveexec_b64 s[12:13], s[10:11]
	s_cbranch_execnz .LBB7_342
	s_branch .LBB7_343
.LBB7_575:
	s_mov_b64 s[8:9], -1
	s_mov_b64 s[0:1], 0
	s_mov_b64 s[2:3], s[60:61]
                                        ; implicit-def: $vgpr4_vgpr5
	s_branch .LBB7_579
.LBB7_576:
	s_or_saveexec_b64 s[12:13], s[12:13]
                                        ; implicit-def: $sgpr14
	s_xor_b64 exec, exec, s[12:13]
	s_cbranch_execz .LBB7_354
.LBB7_577:
	s_mov_b32 s14, 0x42800000
	v_add_f32_e64 v3, |v2|, s14
	v_and_b32_e32 v3, 0xff, v3
	v_cmp_ne_u32_e32 vcc, 0, v3
	s_andn2_b64 s[10:11], s[10:11], exec
	s_and_b64 s[16:17], vcc, exec
	s_mov_b32 s14, 0
	s_or_b64 s[10:11], s[10:11], s[16:17]
	s_or_b64 exec, exec, s[12:13]
	v_mov_b32_e32 v6, s14
	s_and_saveexec_b64 s[12:13], s[10:11]
	s_cbranch_execnz .LBB7_355
	s_branch .LBB7_356
.LBB7_578:
	s_mov_b64 s[2:3], -1
                                        ; implicit-def: $vgpr4_vgpr5
	s_mov_b64 s[0:1], 0
.LBB7_579:
	s_and_b64 vcc, exec, s[8:9]
	s_cbranch_vccz .LBB7_583
; %bb.580:
	v_cmp_eq_u16_e32 vcc, 44, v8
	s_cbranch_vccz .LBB7_582
; %bb.581:
	global_load_ubyte v3, v[0:1], off
	s_movk_i32 s2, 0xff
	v_bfrev_b32_e32 v6, 4
	v_mov_b32_e32 v7, 0x7ff80000
	v_bfrev_b32_e32 v9, 28
	s_mov_b64 s[0:1], -1
	s_waitcnt vmcnt(0)
	v_lshlrev_b32_e32 v4, 23, v3
	v_cvt_f64_f32_e32 v[4:5], v4
	v_cmp_ne_u32_e32 vcc, s2, v3
	v_cndmask_b32_e32 v4, v6, v4, vcc
	v_cndmask_b32_e32 v5, v7, v5, vcc
	v_cmp_ne_u32_e32 vcc, 0, v3
	v_cndmask_b32_e32 v5, v9, v5, vcc
	v_cndmask_b32_e32 v4, 0, v4, vcc
	s_mov_b64 s[2:3], 0
	s_branch .LBB7_583
.LBB7_582:
	s_mov_b64 s[2:3], -1
                                        ; implicit-def: $vgpr4_vgpr5
.LBB7_583:
	s_mov_b64 s[8:9], 0
.LBB7_584:
	s_and_b64 vcc, exec, s[8:9]
	s_cbranch_vccz .LBB7_588
; %bb.585:
	v_cmp_eq_u16_e32 vcc, 29, v8
	s_cbranch_vccz .LBB7_587
; %bb.586:
	global_load_dwordx2 v[4:5], v[0:1], off
	s_mov_b64 s[0:1], -1
	s_mov_b64 s[2:3], 0
	s_mov_b64 s[8:9], 0
	s_waitcnt vmcnt(0)
	v_cvt_f64_u32_e32 v[6:7], v5
	v_cvt_f64_u32_e32 v[4:5], v4
	v_ldexp_f64 v[6:7], v[6:7], 32
	v_add_f64 v[4:5], v[6:7], v[4:5]
	s_branch .LBB7_589
.LBB7_587:
	s_mov_b64 s[2:3], -1
                                        ; implicit-def: $vgpr4_vgpr5
.LBB7_588:
	s_mov_b64 s[8:9], 0
.LBB7_589:
	s_and_b64 vcc, exec, s[8:9]
	s_cbranch_vccz .LBB7_607
; %bb.590:
	v_cmp_gt_i16_e32 vcc, 27, v8
	s_cbranch_vccnz .LBB7_593
; %bb.591:
	v_cmp_lt_i16_e32 vcc, 27, v8
	s_cbranch_vccz .LBB7_594
; %bb.592:
	global_load_dword v3, v[0:1], off
	s_mov_b64 s[0:1], 0
	s_waitcnt vmcnt(0)
	v_cvt_f64_u32_e32 v[4:5], v3
	s_branch .LBB7_595
.LBB7_593:
	s_mov_b64 s[0:1], -1
                                        ; implicit-def: $vgpr4_vgpr5
	s_branch .LBB7_598
.LBB7_594:
	s_mov_b64 s[0:1], -1
                                        ; implicit-def: $vgpr4_vgpr5
.LBB7_595:
	s_andn2_b64 vcc, exec, s[0:1]
	s_cbranch_vccnz .LBB7_597
; %bb.596:
	global_load_ushort v3, v[0:1], off
	s_waitcnt vmcnt(0)
	v_cvt_f64_u32_e32 v[4:5], v3
.LBB7_597:
	s_mov_b64 s[0:1], 0
.LBB7_598:
	s_andn2_b64 vcc, exec, s[0:1]
	s_cbranch_vccnz .LBB7_606
; %bb.599:
	global_load_ubyte v3, v[0:1], off
	s_movk_i32 s0, 0x7f
                                        ; implicit-def: $sgpr8_sgpr9
	s_waitcnt vmcnt(0)
	v_cmp_lt_i16_e32 vcc, s0, v3
	s_mov_b64 s[0:1], 0
	s_and_saveexec_b64 s[10:11], vcc
	s_xor_b64 s[10:11], exec, s[10:11]
	s_cbranch_execz .LBB7_620
; %bb.600:
	s_movk_i32 s0, 0x80
	v_cmp_eq_u16_e32 vcc, s0, v3
	s_mov_b64 s[12:13], -1
                                        ; implicit-def: $sgpr8_sgpr9
	s_and_saveexec_b64 s[0:1], vcc
; %bb.601:
	s_mov_b32 s9, 0x7ff80000
	s_brev_b32 s8, 4
	s_xor_b64 s[12:13], exec, -1
; %bb.602:
	s_or_b64 exec, exec, s[0:1]
	s_and_b64 s[0:1], s[12:13], exec
	s_or_saveexec_b64 s[10:11], s[10:11]
	v_pk_mov_b32 v[4:5], s[8:9], s[8:9] op_sel:[0,1]
	s_xor_b64 exec, exec, s[10:11]
	s_cbranch_execnz .LBB7_621
.LBB7_603:
	s_or_b64 exec, exec, s[10:11]
	s_and_saveexec_b64 s[8:9], s[0:1]
	s_cbranch_execz .LBB7_605
.LBB7_604:
	v_lshlrev_b32_e32 v4, 24, v3
	v_and_b32_e32 v3, 0xffff, v3
	v_and_b32_e32 v5, 7, v3
	v_ffbh_u32_e32 v7, v5
	v_min_u32_e32 v7, 32, v7
	v_subrev_u32_e32 v9, 28, v7
	v_bfe_u32 v6, v3, 3, 4
	v_lshlrev_b32_e32 v3, v9, v3
	v_sub_u32_e32 v7, 29, v7
	v_and_b32_e32 v3, 7, v3
	v_cmp_eq_u32_e32 vcc, 0, v6
	v_cndmask_b32_e32 v6, v6, v7, vcc
	v_cndmask_b32_e32 v3, v5, v3, vcc
	v_mov_b32_e32 v5, 0x3b800000
	v_lshlrev_b32_e32 v3, 20, v3
	v_and_b32_e32 v4, 0x80000000, v4
	v_lshl_add_u32 v5, v6, 23, v5
	v_or3_b32 v3, v4, v5, v3
	v_cvt_f64_f32_e32 v[4:5], v3
.LBB7_605:
	s_or_b64 exec, exec, s[8:9]
.LBB7_606:
	s_mov_b64 s[0:1], -1
.LBB7_607:
	s_mov_b64 s[8:9], 0
.LBB7_608:
	s_and_b64 vcc, exec, s[8:9]
	s_cbranch_vccz .LBB7_643
; %bb.609:
	v_cmp_lt_i16_e32 vcc, 22, v8
	s_cbranch_vccz .LBB7_619
; %bb.610:
	v_cmp_gt_i16_e32 vcc, 24, v8
	s_cbranch_vccnz .LBB7_622
; %bb.611:
	v_cmp_lt_i16_e32 vcc, 24, v8
	s_cbranch_vccz .LBB7_623
; %bb.612:
	global_load_ubyte v3, v[0:1], off
	s_movk_i32 s0, 0x7f
                                        ; implicit-def: $sgpr8_sgpr9
	s_waitcnt vmcnt(0)
	v_cmp_lt_i16_e32 vcc, s0, v3
	s_mov_b64 s[0:1], 0
	s_and_saveexec_b64 s[10:11], vcc
	s_xor_b64 s[10:11], exec, s[10:11]
	s_cbranch_execz .LBB7_635
; %bb.613:
	s_movk_i32 s0, 0x80
	v_cmp_eq_u16_e32 vcc, s0, v3
	s_mov_b64 s[12:13], -1
                                        ; implicit-def: $sgpr8_sgpr9
	s_and_saveexec_b64 s[0:1], vcc
; %bb.614:
	s_mov_b32 s9, 0x7ff80000
	s_brev_b32 s8, 4
	s_xor_b64 s[12:13], exec, -1
; %bb.615:
	s_or_b64 exec, exec, s[0:1]
	s_and_b64 s[0:1], s[12:13], exec
	s_or_saveexec_b64 s[10:11], s[10:11]
	v_pk_mov_b32 v[4:5], s[8:9], s[8:9] op_sel:[0,1]
	s_xor_b64 exec, exec, s[10:11]
	s_cbranch_execnz .LBB7_636
.LBB7_616:
	s_or_b64 exec, exec, s[10:11]
	s_and_saveexec_b64 s[8:9], s[0:1]
	s_cbranch_execz .LBB7_618
.LBB7_617:
	v_lshlrev_b32_e32 v4, 24, v3
	v_and_b32_e32 v3, 0xffff, v3
	v_and_b32_e32 v5, 3, v3
	v_ffbh_u32_e32 v7, v5
	v_min_u32_e32 v7, 32, v7
	v_subrev_u32_e32 v9, 29, v7
	v_bfe_u32 v6, v3, 2, 5
	v_lshlrev_b32_e32 v3, v9, v3
	v_sub_u32_e32 v7, 30, v7
	v_and_b32_e32 v3, 3, v3
	v_cmp_eq_u32_e32 vcc, 0, v6
	v_cndmask_b32_e32 v6, v6, v7, vcc
	v_cndmask_b32_e32 v3, v5, v3, vcc
	v_mov_b32_e32 v5, 0x37800000
	v_lshlrev_b32_e32 v3, 21, v3
	v_and_b32_e32 v4, 0x80000000, v4
	v_lshl_add_u32 v5, v6, 23, v5
	v_or3_b32 v3, v4, v5, v3
	v_cvt_f64_f32_e32 v[4:5], v3
.LBB7_618:
	s_or_b64 exec, exec, s[8:9]
	s_mov_b64 s[0:1], 0
	s_branch .LBB7_624
.LBB7_619:
	s_mov_b64 s[8:9], -1
                                        ; implicit-def: $vgpr4_vgpr5
	s_branch .LBB7_630
.LBB7_620:
	s_or_saveexec_b64 s[10:11], s[10:11]
	v_pk_mov_b32 v[4:5], s[8:9], s[8:9] op_sel:[0,1]
	s_xor_b64 exec, exec, s[10:11]
	s_cbranch_execz .LBB7_603
.LBB7_621:
	v_cmp_ne_u16_e32 vcc, 0, v3
	s_andn2_b64 s[0:1], s[0:1], exec
	s_and_b64 s[8:9], vcc, exec
	v_pk_mov_b32 v[4:5], 0, 0
	s_or_b64 s[0:1], s[0:1], s[8:9]
	s_or_b64 exec, exec, s[10:11]
	s_and_saveexec_b64 s[8:9], s[0:1]
	s_cbranch_execnz .LBB7_604
	s_branch .LBB7_605
.LBB7_622:
	s_mov_b64 s[0:1], -1
                                        ; implicit-def: $vgpr4_vgpr5
	s_branch .LBB7_627
.LBB7_623:
	s_mov_b64 s[0:1], -1
                                        ; implicit-def: $vgpr4_vgpr5
.LBB7_624:
	s_and_b64 vcc, exec, s[0:1]
	s_cbranch_vccz .LBB7_626
; %bb.625:
	global_load_ubyte v3, v[0:1], off
	s_mov_b32 s0, 0x7f800000
	s_waitcnt vmcnt(0)
	v_lshlrev_b32_e32 v3, 24, v3
	v_and_b32_e32 v4, 0x7f000000, v3
	v_ffbh_u32_e32 v5, v4
	v_min_u32_e32 v5, 32, v5
	v_sub_u32_e64 v5, v5, 4 clamp
	v_lshlrev_b32_e32 v7, v5, v4
	v_lshlrev_b32_e32 v5, 23, v5
	v_lshrrev_b32_e32 v7, 4, v7
	v_add_u32_e32 v6, 0x1000000, v4
	v_sub_u32_e32 v5, v7, v5
	v_ashrrev_i32_e32 v6, 8, v6
	v_add_u32_e32 v5, 0x3c000000, v5
	v_and_or_b32 v5, v6, s0, v5
	v_cmp_ne_u32_e32 vcc, 0, v4
	v_cndmask_b32_e32 v4, 0, v5, vcc
	s_brev_b32 s0, 1
	v_and_or_b32 v3, v3, s0, v4
	v_cvt_f64_f32_e32 v[4:5], v3
.LBB7_626:
	s_mov_b64 s[0:1], 0
.LBB7_627:
	s_andn2_b64 vcc, exec, s[0:1]
	s_cbranch_vccnz .LBB7_629
; %bb.628:
	global_load_ubyte v3, v[0:1], off
	s_movk_i32 s0, 0x7f00
	s_brev_b32 s1, 16
	s_waitcnt vmcnt(0)
	v_lshlrev_b16_e32 v4, 8, v3
	v_lshlrev_b32_e32 v3, 25, v3
	v_lshrrev_b32_e32 v5, 4, v3
	v_and_or_b32 v6, v4, s0, 0.5
	v_or_b32_e32 v5, 0x70000000, v5
	v_add_f32_e32 v6, -0.5, v6
	v_mul_f32_e32 v5, 0x7800000, v5
	v_cmp_gt_u32_e32 vcc, s1, v3
	v_bfe_i32 v4, v4, 0, 16
	v_cndmask_b32_e32 v3, v5, v6, vcc
	s_brev_b32 s0, 1
	v_and_or_b32 v3, v4, s0, v3
	v_cvt_f64_f32_e32 v[4:5], v3
.LBB7_629:
	s_mov_b64 s[8:9], 0
	s_mov_b64 s[0:1], -1
.LBB7_630:
	s_andn2_b64 vcc, exec, s[8:9]
	s_cbranch_vccnz .LBB7_643
; %bb.631:
	v_cmp_lt_i16_e32 vcc, 14, v8
	s_cbranch_vccz .LBB7_634
; %bb.632:
	v_cmp_eq_u16_e32 vcc, 15, v8
	s_cbranch_vccz .LBB7_637
; %bb.633:
	global_load_ushort v3, v[0:1], off
	s_mov_b64 s[0:1], -1
	s_mov_b64 s[2:3], 0
	s_waitcnt vmcnt(0)
	v_lshlrev_b32_e32 v3, 16, v3
	v_cvt_f64_f32_e32 v[4:5], v3
	s_branch .LBB7_638
.LBB7_634:
	s_mov_b64 s[8:9], -1
                                        ; implicit-def: $vgpr4_vgpr5
	s_branch .LBB7_639
.LBB7_635:
	s_or_saveexec_b64 s[10:11], s[10:11]
	v_pk_mov_b32 v[4:5], s[8:9], s[8:9] op_sel:[0,1]
	s_xor_b64 exec, exec, s[10:11]
	s_cbranch_execz .LBB7_616
.LBB7_636:
	v_cmp_ne_u16_e32 vcc, 0, v3
	s_andn2_b64 s[0:1], s[0:1], exec
	s_and_b64 s[8:9], vcc, exec
	v_pk_mov_b32 v[4:5], 0, 0
	s_or_b64 s[0:1], s[0:1], s[8:9]
	s_or_b64 exec, exec, s[10:11]
	s_and_saveexec_b64 s[8:9], s[0:1]
	s_cbranch_execnz .LBB7_617
	s_branch .LBB7_618
.LBB7_637:
	s_mov_b64 s[2:3], -1
                                        ; implicit-def: $vgpr4_vgpr5
.LBB7_638:
	s_mov_b64 s[8:9], 0
.LBB7_639:
	s_and_b64 vcc, exec, s[8:9]
	s_cbranch_vccz .LBB7_643
; %bb.640:
	v_cmp_eq_u16_e32 vcc, 11, v8
	s_cbranch_vccz .LBB7_642
; %bb.641:
	global_load_ubyte v3, v[0:1], off
	s_waitcnt vmcnt(1)
	v_mov_b32_e32 v5, 0x3ff00000
	v_mov_b32_e32 v4, 0
	s_mov_b64 s[0:1], -1
	s_mov_b64 s[2:3], 0
	s_waitcnt vmcnt(0)
	v_cmp_ne_u16_e32 vcc, 0, v3
	v_cndmask_b32_e32 v5, 0, v5, vcc
	s_branch .LBB7_643
.LBB7_642:
	s_mov_b64 s[2:3], -1
                                        ; implicit-def: $vgpr4_vgpr5
.LBB7_643:
	s_mov_b64 s[8:9], 0
.LBB7_644:
	s_and_b64 vcc, exec, s[8:9]
	s_cbranch_vccz .LBB7_693
; %bb.645:
	v_cmp_gt_i16_e32 vcc, 5, v8
	s_cbranch_vccnz .LBB7_650
; %bb.646:
	v_cmp_gt_i16_e32 vcc, 8, v8
	s_cbranch_vccnz .LBB7_651
	;; [unrolled: 3-line block ×3, first 2 shown]
; %bb.648:
	v_cmp_lt_i16_e32 vcc, 9, v8
	s_cbranch_vccz .LBB7_653
; %bb.649:
	global_load_dwordx2 v[4:5], v[0:1], off
	s_mov_b64 s[0:1], 0
	s_branch .LBB7_654
.LBB7_650:
	s_mov_b64 s[0:1], -1
                                        ; implicit-def: $vgpr4_vgpr5
	s_branch .LBB7_672
.LBB7_651:
	s_mov_b64 s[0:1], -1
                                        ; implicit-def: $vgpr4_vgpr5
	s_branch .LBB7_660
.LBB7_652:
	s_mov_b64 s[0:1], -1
                                        ; implicit-def: $vgpr4_vgpr5
	s_branch .LBB7_657
.LBB7_653:
	s_mov_b64 s[0:1], -1
                                        ; implicit-def: $vgpr4_vgpr5
.LBB7_654:
	s_andn2_b64 vcc, exec, s[0:1]
	s_cbranch_vccnz .LBB7_656
; %bb.655:
	global_load_dword v3, v[0:1], off
	s_waitcnt vmcnt(0)
	v_cvt_f64_f32_e32 v[4:5], v3
.LBB7_656:
	s_mov_b64 s[0:1], 0
.LBB7_657:
	s_andn2_b64 vcc, exec, s[0:1]
	s_cbranch_vccnz .LBB7_659
; %bb.658:
	global_load_dword v3, v[0:1], off
	s_waitcnt vmcnt(0)
	v_cvt_f32_f16_e32 v3, v3
	v_cvt_f64_f32_e32 v[4:5], v3
.LBB7_659:
	s_mov_b64 s[0:1], 0
.LBB7_660:
	s_andn2_b64 vcc, exec, s[0:1]
	s_cbranch_vccnz .LBB7_671
; %bb.661:
	v_cmp_gt_i16_e32 vcc, 6, v8
	s_cbranch_vccnz .LBB7_664
; %bb.662:
	v_cmp_lt_i16_e32 vcc, 6, v8
	s_cbranch_vccz .LBB7_665
; %bb.663:
	global_load_dwordx2 v[4:5], v[0:1], off
	s_mov_b64 s[0:1], 0
	s_branch .LBB7_666
.LBB7_664:
	s_mov_b64 s[0:1], -1
                                        ; implicit-def: $vgpr4_vgpr5
	s_branch .LBB7_669
.LBB7_665:
	s_mov_b64 s[0:1], -1
                                        ; implicit-def: $vgpr4_vgpr5
.LBB7_666:
	s_andn2_b64 vcc, exec, s[0:1]
	s_cbranch_vccnz .LBB7_668
; %bb.667:
	global_load_dword v3, v[0:1], off
	s_waitcnt vmcnt(0)
	v_cvt_f64_f32_e32 v[4:5], v3
.LBB7_668:
	s_mov_b64 s[0:1], 0
.LBB7_669:
	s_andn2_b64 vcc, exec, s[0:1]
	s_cbranch_vccnz .LBB7_671
; %bb.670:
	global_load_ushort v3, v[0:1], off
	s_waitcnt vmcnt(0)
	v_cvt_f32_f16_e32 v3, v3
	v_cvt_f64_f32_e32 v[4:5], v3
.LBB7_671:
	s_mov_b64 s[0:1], 0
.LBB7_672:
	s_andn2_b64 vcc, exec, s[0:1]
	s_cbranch_vccnz .LBB7_692
; %bb.673:
	v_cmp_gt_i16_e32 vcc, 2, v8
	s_cbranch_vccnz .LBB7_677
; %bb.674:
	v_cmp_gt_i16_e32 vcc, 3, v8
	s_cbranch_vccnz .LBB7_678
; %bb.675:
	v_cmp_lt_i16_e32 vcc, 3, v8
	s_cbranch_vccz .LBB7_679
; %bb.676:
	global_load_dwordx2 v[4:5], v[0:1], off
	s_mov_b64 s[0:1], 0
	s_waitcnt vmcnt(0)
	v_cvt_f64_i32_e32 v[6:7], v5
	v_cvt_f64_u32_e32 v[4:5], v4
	v_ldexp_f64 v[6:7], v[6:7], 32
	v_add_f64 v[4:5], v[6:7], v[4:5]
	s_branch .LBB7_680
.LBB7_677:
	s_mov_b64 s[0:1], -1
                                        ; implicit-def: $vgpr4_vgpr5
	s_branch .LBB7_686
.LBB7_678:
	s_mov_b64 s[0:1], -1
                                        ; implicit-def: $vgpr4_vgpr5
	s_branch .LBB7_683
.LBB7_679:
	s_mov_b64 s[0:1], -1
                                        ; implicit-def: $vgpr4_vgpr5
.LBB7_680:
	s_andn2_b64 vcc, exec, s[0:1]
	s_cbranch_vccnz .LBB7_682
; %bb.681:
	global_load_dword v3, v[0:1], off
	s_waitcnt vmcnt(0)
	v_cvt_f64_i32_e32 v[4:5], v3
.LBB7_682:
	s_mov_b64 s[0:1], 0
.LBB7_683:
	s_andn2_b64 vcc, exec, s[0:1]
	s_cbranch_vccnz .LBB7_685
; %bb.684:
	global_load_sshort v3, v[0:1], off
	s_waitcnt vmcnt(0)
	v_cvt_f64_i32_e32 v[4:5], v3
.LBB7_685:
	s_mov_b64 s[0:1], 0
.LBB7_686:
	s_andn2_b64 vcc, exec, s[0:1]
	s_cbranch_vccnz .LBB7_692
; %bb.687:
	v_cmp_lt_i16_e32 vcc, 0, v8
	s_cbranch_vccz .LBB7_689
; %bb.688:
	global_load_sbyte v3, v[0:1], off
	s_mov_b64 s[0:1], 0
	s_waitcnt vmcnt(0)
	v_cvt_f64_i32_e32 v[4:5], v3
	s_branch .LBB7_690
.LBB7_689:
	s_mov_b64 s[0:1], -1
                                        ; implicit-def: $vgpr4_vgpr5
.LBB7_690:
	s_andn2_b64 vcc, exec, s[0:1]
	s_cbranch_vccnz .LBB7_692
; %bb.691:
	global_load_ubyte v0, v[0:1], off
	s_waitcnt vmcnt(0)
	v_cvt_f64_u32_e32 v[4:5], v0
.LBB7_692:
	s_mov_b64 s[0:1], -1
.LBB7_693:
	s_andn2_b64 vcc, exec, s[0:1]
	s_cbranch_vccnz .LBB7_701
; %bb.694:
	s_waitcnt vmcnt(0)
	v_cmp_nge_f64_e64 s[0:1], v[4:5], -s[44:45]
	v_cmp_nge_f64_e32 vcc, s[44:45], v[4:5]
	s_or_b64 vcc, s[0:1], vcc
	v_cndmask_b32_e32 v1, 0, v5, vcc
	v_cndmask_b32_e32 v0, 0, v4, vcc
	v_mov_b32_e32 v3, s25
	v_add_co_u32_e32 v4, vcc, s24, v2
	v_mov_b32_e32 v2, 11
	v_addc_co_u32_e32 v5, vcc, 0, v3, vcc
	v_cmp_lt_i16_sdwa s[0:1], s77, v2 src0_sel:BYTE_0 src1_sel:DWORD
	s_and_b64 vcc, exec, s[0:1]
	s_cbranch_vccnz .LBB7_702
; %bb.695:
	v_mov_b32_e32 v2, 25
	v_cmp_gt_i16_sdwa s[0:1], s77, v2 src0_sel:BYTE_0 src1_sel:DWORD
	s_and_b64 vcc, exec, s[0:1]
	s_cbranch_vccz .LBB7_703
; %bb.696:
	v_mov_b32_e32 v2, 28
	v_cmp_gt_i16_sdwa s[0:1], s77, v2 src0_sel:BYTE_0 src1_sel:DWORD
	s_and_b64 vcc, exec, s[0:1]
	s_cbranch_vccz .LBB7_704
	;; [unrolled: 5-line block ×4, first 2 shown]
; %bb.699:
	v_mov_b32_e32 v2, 46
	v_cmp_eq_u16_sdwa s[8:9], s77, v2 src0_sel:BYTE_0 src1_sel:DWORD
	s_mov_b64 s[10:11], 0
	s_mov_b64 s[0:1], -1
	s_and_b64 vcc, exec, s[8:9]
	s_mov_b64 s[8:9], 0
	s_cbranch_vccz .LBB7_707
; %bb.700:
	v_cvt_f32_f64_e32 v2, v[0:1]
	v_bfe_u32 v3, v2, 16, 1
	s_movk_i32 s0, 0x7fff
	v_add3_u32 v3, v2, v3, s0
	v_lshrrev_b32_e32 v3, 16, v3
	v_mov_b32_e32 v6, 0x7fc0
	v_cmp_o_f32_e32 vcc, v2, v2
	v_cndmask_b32_e32 v2, v6, v3, vcc
	global_store_dword v[4:5], v2, off
	s_mov_b64 s[8:9], -1
	s_mov_b64 s[0:1], 0
	s_branch .LBB7_707
.LBB7_701:
	s_mov_b64 s[8:9], 0
	s_mov_b64 s[0:1], s[62:63]
	s_branch .LBB7_818
.LBB7_702:
	s_mov_b64 s[10:11], -1
	s_mov_b64 s[8:9], 0
	s_mov_b64 s[0:1], s[62:63]
	s_branch .LBB7_776
.LBB7_703:
	s_mov_b64 s[10:11], -1
	s_mov_b64 s[8:9], 0
	s_mov_b64 s[0:1], s[62:63]
	s_branch .LBB7_734
.LBB7_704:
	s_mov_b64 s[10:11], -1
	s_mov_b64 s[8:9], 0
	s_mov_b64 s[0:1], s[62:63]
	s_branch .LBB7_717
.LBB7_705:
	s_mov_b64 s[10:11], -1
	s_mov_b64 s[8:9], 0
	s_mov_b64 s[0:1], s[62:63]
	s_branch .LBB7_713
.LBB7_706:
	s_mov_b64 s[10:11], -1
	s_mov_b64 s[8:9], 0
	s_mov_b64 s[0:1], s[62:63]
.LBB7_707:
	s_and_b64 vcc, exec, s[10:11]
	s_cbranch_vccz .LBB7_712
; %bb.708:
	v_mov_b32_e32 v2, 44
	v_cmp_eq_u16_sdwa s[10:11], s77, v2 src0_sel:BYTE_0 src1_sel:DWORD
	s_mov_b64 s[0:1], -1
	s_and_b64 vcc, exec, s[10:11]
	s_cbranch_vccz .LBB7_712
; %bb.709:
	v_cvt_f32_f64_e32 v2, v[0:1]
	v_bfe_u32 v3, v2, 23, 8
	s_movk_i32 s0, 0xff
	v_cmp_ne_u32_e32 vcc, s0, v3
	v_mov_b32_e32 v6, 0xff
	s_and_saveexec_b64 s[8:9], vcc
; %bb.710:
	s_mov_b32 s0, 0x3fffff
	v_lshrrev_b32_e32 v6, 23, v2
	v_and_b32_e32 v7, 0x400000, v2
	v_and_or_b32 v2, v2, s0, v3
	v_cmp_ne_u32_e32 vcc, 0, v7
	v_cmp_ne_u32_e64 s[0:1], 0, v2
	s_and_b64 s[0:1], vcc, s[0:1]
	v_cndmask_b32_e64 v2, 0, 1, s[0:1]
	v_add_u32_e32 v6, v6, v2
; %bb.711:
	s_or_b64 exec, exec, s[8:9]
	s_mov_b64 s[8:9], -1
	s_mov_b64 s[0:1], 0
	global_store_byte v[4:5], v6, off
.LBB7_712:
	s_mov_b64 s[10:11], 0
.LBB7_713:
	s_and_b64 vcc, exec, s[10:11]
	s_cbranch_vccz .LBB7_716
; %bb.714:
	v_mov_b32_e32 v2, 29
	v_cmp_eq_u16_sdwa s[10:11], s77, v2 src0_sel:BYTE_0 src1_sel:DWORD
	s_mov_b64 s[0:1], -1
	s_and_b64 vcc, exec, s[10:11]
	s_cbranch_vccz .LBB7_716
; %bb.715:
	v_trunc_f64_e32 v[2:3], v[0:1]
	s_movk_i32 s0, 0xffe0
	v_ldexp_f64 v[6:7], v[2:3], s0
	v_floor_f64_e32 v[6:7], v[6:7]
	v_fmac_f64_e32 v[2:3], 0xc1f00000, v[6:7]
	v_cvt_u32_f64_e32 v11, v[6:7]
	v_cvt_u32_f64_e32 v10, v[2:3]
	global_store_dwordx2 v[4:5], v[10:11], off
	s_mov_b64 s[8:9], -1
	s_mov_b64 s[0:1], 0
.LBB7_716:
	s_mov_b64 s[10:11], 0
.LBB7_717:
	s_and_b64 vcc, exec, s[10:11]
	s_cbranch_vccz .LBB7_733
; %bb.718:
	v_mov_b32_e32 v2, 27
	v_cmp_lt_i16_sdwa s[10:11], s77, v2 src0_sel:BYTE_0 src1_sel:DWORD
	s_mov_b64 s[8:9], -1
	s_and_b64 vcc, exec, s[10:11]
	s_cbranch_vccnz .LBB7_724
; %bb.719:
	v_cmp_gt_i16_sdwa s[10:11], s77, v2 src0_sel:BYTE_0 src1_sel:DWORD
	s_and_b64 vcc, exec, s[10:11]
	v_cvt_u32_f64_e32 v2, v[0:1]
	s_cbranch_vccz .LBB7_721
; %bb.720:
	s_mov_b64 s[8:9], 0
	global_store_dword v[4:5], v2, off
.LBB7_721:
	s_andn2_b64 vcc, exec, s[8:9]
	s_cbranch_vccnz .LBB7_723
; %bb.722:
	global_store_short v[4:5], v2, off
.LBB7_723:
	s_mov_b64 s[8:9], 0
.LBB7_724:
	s_andn2_b64 vcc, exec, s[8:9]
	s_cbranch_vccnz .LBB7_732
; %bb.725:
	v_cvt_f32_f64_e32 v2, v[0:1]
	v_and_b32_e32 v3, 0x7fffffff, v2
	s_mov_b32 s8, 0x43800000
	v_cmp_gt_u32_e32 vcc, s8, v3
	v_mov_b32_e32 v6, 0x80
	s_and_saveexec_b64 s[8:9], vcc
	s_cbranch_execz .LBB7_731
; %bb.726:
	s_mov_b32 s10, 0x3bffffff
	v_cmp_lt_u32_e32 vcc, s10, v3
	s_mov_b64 s[10:11], 0
                                        ; implicit-def: $vgpr3
	s_and_saveexec_b64 s[12:13], vcc
	s_xor_b64 s[12:13], exec, s[12:13]
	s_cbranch_execz .LBB7_849
; %bb.727:
	v_bfe_u32 v3, v2, 20, 1
	s_mov_b32 s14, 0x487ffff
	v_add3_u32 v3, v2, v3, s14
	s_mov_b64 s[10:11], exec
	v_lshrrev_b32_e32 v3, 20, v3
	s_or_saveexec_b64 s[12:13], s[12:13]
                                        ; implicit-def: $sgpr14
	s_xor_b64 exec, exec, s[12:13]
	s_cbranch_execnz .LBB7_850
.LBB7_728:
	s_or_b64 exec, exec, s[12:13]
	v_mov_b32_e32 v6, s14
	s_and_saveexec_b64 s[12:13], s[10:11]
.LBB7_729:
	v_lshrrev_b32_e32 v2, 24, v2
	s_movk_i32 s10, 0x80
	v_and_or_b32 v6, v2, s10, v3
.LBB7_730:
	s_or_b64 exec, exec, s[12:13]
.LBB7_731:
	s_or_b64 exec, exec, s[8:9]
	global_store_byte v[4:5], v6, off
.LBB7_732:
	s_mov_b64 s[8:9], -1
.LBB7_733:
	s_mov_b64 s[10:11], 0
.LBB7_734:
	s_and_b64 vcc, exec, s[10:11]
	s_cbranch_vccz .LBB7_775
; %bb.735:
	v_mov_b32_e32 v2, 22
	v_cmp_gt_i16_sdwa s[12:13], s77, v2 src0_sel:BYTE_0 src1_sel:DWORD
	s_mov_b64 s[10:11], -1
	s_and_b64 vcc, exec, s[12:13]
	s_cbranch_vccz .LBB7_767
; %bb.736:
	v_mov_b32_e32 v2, 24
	v_cmp_lt_i16_sdwa s[10:11], s77, v2 src0_sel:BYTE_0 src1_sel:DWORD
	s_mov_b64 s[8:9], -1
	s_and_b64 vcc, exec, s[10:11]
	s_cbranch_vccnz .LBB7_756
; %bb.737:
	v_cmp_gt_i16_sdwa s[10:11], s77, v2 src0_sel:BYTE_0 src1_sel:DWORD
	s_and_b64 vcc, exec, s[10:11]
	s_cbranch_vccz .LBB7_745
; %bb.738:
	v_cvt_f32_f64_e32 v2, v[0:1]
	v_and_b32_e32 v3, 0x7fffffff, v2
	s_mov_b32 s8, 0x47800000
	v_cmp_gt_u32_e32 vcc, s8, v3
	v_mov_b32_e32 v6, 0x80
	s_and_saveexec_b64 s[8:9], vcc
	s_cbranch_execz .LBB7_744
; %bb.739:
	s_mov_b32 s10, 0x37ffffff
	v_cmp_lt_u32_e32 vcc, s10, v3
	s_mov_b64 s[10:11], 0
                                        ; implicit-def: $vgpr3
	s_and_saveexec_b64 s[12:13], vcc
	s_xor_b64 s[12:13], exec, s[12:13]
	s_cbranch_execz .LBB7_852
; %bb.740:
	v_bfe_u32 v3, v2, 21, 1
	s_mov_b32 s14, 0x88fffff
	v_add3_u32 v3, v2, v3, s14
	s_mov_b64 s[10:11], exec
	v_lshrrev_b32_e32 v3, 21, v3
	s_or_saveexec_b64 s[12:13], s[12:13]
                                        ; implicit-def: $sgpr14
	s_xor_b64 exec, exec, s[12:13]
	s_cbranch_execnz .LBB7_853
.LBB7_741:
	s_or_b64 exec, exec, s[12:13]
	v_mov_b32_e32 v6, s14
	s_and_saveexec_b64 s[12:13], s[10:11]
.LBB7_742:
	v_lshrrev_b32_e32 v2, 24, v2
	s_movk_i32 s10, 0x80
	v_and_or_b32 v6, v2, s10, v3
.LBB7_743:
	s_or_b64 exec, exec, s[12:13]
.LBB7_744:
	s_or_b64 exec, exec, s[8:9]
	s_mov_b64 s[8:9], 0
	global_store_byte v[4:5], v6, off
.LBB7_745:
	s_and_b64 vcc, exec, s[8:9]
	s_cbranch_vccz .LBB7_755
; %bb.746:
	v_cvt_f32_f64_e32 v2, v[0:1]
	v_and_b32_e32 v6, 0x7fffffff, v2
	s_mov_b32 s8, 0x43f00000
	v_cmp_gt_u32_e32 vcc, s8, v6
                                        ; implicit-def: $vgpr3
	s_and_saveexec_b64 s[8:9], vcc
	s_xor_b64 s[8:9], exec, s[8:9]
	s_cbranch_execz .LBB7_752
; %bb.747:
	s_mov_b32 s10, 0x3c7fffff
	v_cmp_lt_u32_e32 vcc, s10, v6
                                        ; implicit-def: $vgpr3
	s_and_saveexec_b64 s[10:11], vcc
	s_xor_b64 s[10:11], exec, s[10:11]
; %bb.748:
	v_bfe_u32 v3, v2, 20, 1
	s_mov_b32 s12, 0x407ffff
	v_add3_u32 v3, v2, v3, s12
	v_lshrrev_b32_e32 v6, 20, v3
	v_and_b32_e32 v3, 0xff00000, v3
	s_mov_b32 s12, 0x7f00000
	v_mov_b32_e32 v7, 0x7e
	v_cmp_ne_u32_e32 vcc, s12, v3
	v_cndmask_b32_e32 v3, v7, v6, vcc
; %bb.749:
	s_andn2_saveexec_b64 s[10:11], s[10:11]
; %bb.750:
	s_mov_b32 s12, 0x46800000
	v_add_f32_e64 v3, |v2|, s12
; %bb.751:
	s_or_b64 exec, exec, s[10:11]
                                        ; implicit-def: $vgpr6
.LBB7_752:
	s_andn2_saveexec_b64 s[8:9], s[8:9]
; %bb.753:
	s_mov_b32 s10, 0x7f800000
	v_mov_b32_e32 v3, 0x7e
	v_mov_b32_e32 v7, 0x7f
	v_cmp_lt_u32_e32 vcc, s10, v6
	v_cndmask_b32_e32 v3, v3, v7, vcc
; %bb.754:
	s_or_b64 exec, exec, s[8:9]
	v_lshrrev_b32_e32 v2, 24, v2
	s_movk_i32 s8, 0x80
	v_and_or_b32 v2, v2, s8, v3
	global_store_byte v[4:5], v2, off
.LBB7_755:
	s_mov_b64 s[8:9], 0
.LBB7_756:
	s_andn2_b64 vcc, exec, s[8:9]
	s_cbranch_vccnz .LBB7_766
; %bb.757:
	v_cvt_f32_f64_e32 v2, v[0:1]
	v_and_b32_e32 v6, 0x7fffffff, v2
	s_mov_b32 s8, 0x47800000
	v_cmp_gt_u32_e32 vcc, s8, v6
                                        ; implicit-def: $vgpr3
	s_and_saveexec_b64 s[8:9], vcc
	s_xor_b64 s[8:9], exec, s[8:9]
	s_cbranch_execz .LBB7_763
; %bb.758:
	s_mov_b32 s10, 0x387fffff
	v_cmp_lt_u32_e32 vcc, s10, v6
                                        ; implicit-def: $vgpr3
	s_and_saveexec_b64 s[10:11], vcc
	s_xor_b64 s[10:11], exec, s[10:11]
; %bb.759:
	v_bfe_u32 v3, v2, 21, 1
	s_mov_b32 s12, 0x80fffff
	v_add3_u32 v3, v2, v3, s12
	v_lshrrev_b32_e32 v3, 21, v3
; %bb.760:
	s_andn2_saveexec_b64 s[10:11], s[10:11]
; %bb.761:
	s_mov_b32 s12, 0x43000000
	v_add_f32_e64 v3, |v2|, s12
; %bb.762:
	s_or_b64 exec, exec, s[10:11]
                                        ; implicit-def: $vgpr6
.LBB7_763:
	s_andn2_saveexec_b64 s[8:9], s[8:9]
; %bb.764:
	s_mov_b32 s10, 0x7f800000
	v_mov_b32_e32 v3, 0x7c
	v_mov_b32_e32 v7, 0x7f
	v_cmp_lt_u32_e32 vcc, s10, v6
	v_cndmask_b32_e32 v3, v3, v7, vcc
; %bb.765:
	s_or_b64 exec, exec, s[8:9]
	v_lshrrev_b32_e32 v2, 24, v2
	s_movk_i32 s8, 0x80
	v_and_or_b32 v2, v2, s8, v3
	global_store_byte v[4:5], v2, off
.LBB7_766:
	s_mov_b64 s[10:11], 0
	s_mov_b64 s[8:9], -1
.LBB7_767:
	s_andn2_b64 vcc, exec, s[10:11]
	s_cbranch_vccnz .LBB7_775
; %bb.768:
	v_mov_b32_e32 v2, 14
	v_cmp_gt_i16_sdwa s[12:13], s77, v2 src0_sel:BYTE_0 src1_sel:DWORD
	s_mov_b64 s[10:11], -1
	s_and_b64 vcc, exec, s[12:13]
	s_cbranch_vccz .LBB7_772
; %bb.769:
	v_mov_b32_e32 v2, 15
	v_cmp_eq_u16_sdwa s[10:11], s77, v2 src0_sel:BYTE_0 src1_sel:DWORD
	s_mov_b64 s[0:1], -1
	s_and_b64 vcc, exec, s[10:11]
	s_cbranch_vccz .LBB7_771
; %bb.770:
	v_cvt_f32_f64_e32 v2, v[0:1]
	v_bfe_u32 v3, v2, 16, 1
	s_movk_i32 s0, 0x7fff
	v_add3_u32 v3, v2, v3, s0
	v_lshrrev_b32_e32 v3, 16, v3
	v_mov_b32_e32 v6, 0x7fc0
	v_cmp_o_f32_e32 vcc, v2, v2
	v_cndmask_b32_e32 v2, v6, v3, vcc
	global_store_short v[4:5], v2, off
	s_mov_b64 s[8:9], -1
	s_mov_b64 s[0:1], 0
.LBB7_771:
	s_mov_b64 s[10:11], 0
.LBB7_772:
	s_and_b64 vcc, exec, s[10:11]
	s_cbranch_vccz .LBB7_775
; %bb.773:
	v_mov_b32_e32 v2, 11
	v_cmp_eq_u16_sdwa s[10:11], s77, v2 src0_sel:BYTE_0 src1_sel:DWORD
	s_mov_b64 s[0:1], -1
	s_and_b64 vcc, exec, s[10:11]
	s_cbranch_vccz .LBB7_775
; %bb.774:
	v_cmp_neq_f64_e32 vcc, 0, v[0:1]
	s_mov_b64 s[0:1], 0
	v_cndmask_b32_e64 v2, 0, 1, vcc
	s_mov_b64 s[8:9], -1
	global_store_byte v[4:5], v2, off
.LBB7_775:
	s_mov_b64 s[10:11], 0
.LBB7_776:
	s_and_b64 vcc, exec, s[10:11]
	s_cbranch_vccz .LBB7_815
; %bb.777:
	v_mov_b32_e32 v2, 5
	v_cmp_lt_i16_sdwa s[10:11], s77, v2 src0_sel:BYTE_0 src1_sel:DWORD
	s_mov_b64 s[8:9], -1
	s_and_b64 vcc, exec, s[10:11]
	s_cbranch_vccnz .LBB7_798
; %bb.778:
	v_mov_b32_e32 v2, 8
	v_cmp_lt_i16_sdwa s[10:11], s77, v2 src0_sel:BYTE_0 src1_sel:DWORD
	s_and_b64 vcc, exec, s[10:11]
	s_cbranch_vccnz .LBB7_788
; %bb.779:
	v_mov_b32_e32 v2, 9
	v_cmp_lt_i16_sdwa s[10:11], s77, v2 src0_sel:BYTE_0 src1_sel:DWORD
	s_and_b64 vcc, exec, s[10:11]
	s_cbranch_vccnz .LBB7_785
; %bb.780:
	v_cmp_gt_i16_sdwa s[10:11], s77, v2 src0_sel:BYTE_0 src1_sel:DWORD
	s_and_b64 vcc, exec, s[10:11]
	s_cbranch_vccz .LBB7_782
; %bb.781:
	v_mov_b32_e32 v2, 0
	v_mov_b32_e32 v3, v2
	s_mov_b64 s[8:9], 0
	global_store_dwordx4 v[4:5], v[0:3], off
.LBB7_782:
	s_andn2_b64 vcc, exec, s[8:9]
	s_cbranch_vccnz .LBB7_784
; %bb.783:
	v_cvt_f32_f64_e32 v2, v[0:1]
	v_mov_b32_e32 v3, 0
	global_store_dwordx2 v[4:5], v[2:3], off
.LBB7_784:
	s_mov_b64 s[8:9], 0
.LBB7_785:
	s_andn2_b64 vcc, exec, s[8:9]
	s_cbranch_vccnz .LBB7_787
; %bb.786:
	v_cvt_f32_f64_e32 v2, v[0:1]
	v_cvt_f16_f32_e32 v2, v2
	global_store_dword v[4:5], v2, off
.LBB7_787:
	s_mov_b64 s[8:9], 0
.LBB7_788:
	s_andn2_b64 vcc, exec, s[8:9]
	s_cbranch_vccnz .LBB7_797
; %bb.789:
	v_mov_b32_e32 v2, 6
	v_cmp_lt_i16_sdwa s[10:11], s77, v2 src0_sel:BYTE_0 src1_sel:DWORD
	s_mov_b64 s[8:9], -1
	s_and_b64 vcc, exec, s[10:11]
	s_cbranch_vccnz .LBB7_795
; %bb.790:
	v_cmp_gt_i16_sdwa s[10:11], s77, v2 src0_sel:BYTE_0 src1_sel:DWORD
	s_and_b64 vcc, exec, s[10:11]
	s_cbranch_vccz .LBB7_792
; %bb.791:
	s_mov_b64 s[8:9], 0
	global_store_dwordx2 v[4:5], v[0:1], off
.LBB7_792:
	s_andn2_b64 vcc, exec, s[8:9]
	s_cbranch_vccnz .LBB7_794
; %bb.793:
	v_cvt_f32_f64_e32 v2, v[0:1]
	global_store_dword v[4:5], v2, off
.LBB7_794:
	s_mov_b64 s[8:9], 0
.LBB7_795:
	s_andn2_b64 vcc, exec, s[8:9]
	s_cbranch_vccnz .LBB7_797
; %bb.796:
	v_cvt_f32_f64_e32 v2, v[0:1]
	v_cvt_f16_f32_e32 v2, v2
	global_store_short v[4:5], v2, off
.LBB7_797:
	s_mov_b64 s[8:9], 0
.LBB7_798:
	s_andn2_b64 vcc, exec, s[8:9]
	s_cbranch_vccnz .LBB7_814
; %bb.799:
	v_mov_b32_e32 v2, 2
	v_cmp_lt_i16_sdwa s[10:11], s77, v2 src0_sel:BYTE_0 src1_sel:DWORD
	s_mov_b64 s[8:9], -1
	s_and_b64 vcc, exec, s[10:11]
	s_cbranch_vccnz .LBB7_809
; %bb.800:
	v_mov_b32_e32 v2, 3
	v_cmp_lt_i16_sdwa s[10:11], s77, v2 src0_sel:BYTE_0 src1_sel:DWORD
	s_and_b64 vcc, exec, s[10:11]
	s_cbranch_vccnz .LBB7_806
; %bb.801:
	v_cmp_gt_i16_sdwa s[10:11], s77, v2 src0_sel:BYTE_0 src1_sel:DWORD
	s_and_b64 vcc, exec, s[10:11]
	s_cbranch_vccz .LBB7_803
; %bb.802:
	v_trunc_f64_e32 v[2:3], v[0:1]
	s_movk_i32 s8, 0xffe0
	v_ldexp_f64 v[6:7], v[2:3], s8
	v_floor_f64_e32 v[6:7], v[6:7]
	v_fmac_f64_e32 v[2:3], 0xc1f00000, v[6:7]
	v_cvt_i32_f64_e32 v11, v[6:7]
	v_cvt_u32_f64_e32 v10, v[2:3]
	s_mov_b64 s[8:9], 0
	global_store_dwordx2 v[4:5], v[10:11], off
.LBB7_803:
	s_andn2_b64 vcc, exec, s[8:9]
	s_cbranch_vccnz .LBB7_805
; %bb.804:
	v_cvt_i32_f64_e32 v2, v[0:1]
	global_store_dword v[4:5], v2, off
.LBB7_805:
	s_mov_b64 s[8:9], 0
.LBB7_806:
	s_andn2_b64 vcc, exec, s[8:9]
	s_cbranch_vccnz .LBB7_808
; %bb.807:
	v_cvt_i32_f64_e32 v2, v[0:1]
	global_store_short v[4:5], v2, off
.LBB7_808:
	s_mov_b64 s[8:9], 0
.LBB7_809:
	s_andn2_b64 vcc, exec, s[8:9]
	s_cbranch_vccnz .LBB7_814
; %bb.810:
	v_mov_b32_e32 v2, 0
	v_cmp_gt_i16_sdwa s[10:11], s77, v2 src0_sel:BYTE_0 src1_sel:DWORD
	s_mov_b64 s[8:9], -1
	s_and_b64 vcc, exec, s[10:11]
	s_cbranch_vccz .LBB7_812
; %bb.811:
	v_cvt_i32_f64_e32 v2, v[0:1]
	s_mov_b64 s[8:9], 0
	global_store_byte v[4:5], v2, off
.LBB7_812:
	s_andn2_b64 vcc, exec, s[8:9]
	s_cbranch_vccnz .LBB7_814
; %bb.813:
	v_trunc_f64_e32 v[0:1], v[0:1]
	s_movk_i32 s8, 0xffe0
	v_ldexp_f64 v[2:3], v[0:1], s8
	v_floor_f64_e32 v[2:3], v[2:3]
	v_fmac_f64_e32 v[0:1], 0xc1f00000, v[2:3]
	v_cvt_u32_f64_e32 v0, v[0:1]
	global_store_byte v[4:5], v0, off
.LBB7_814:
	s_mov_b64 s[8:9], -1
.LBB7_815:
	s_andn2_b64 vcc, exec, s[8:9]
	s_cbranch_vccnz .LBB7_817
; %bb.816:
	v_add_u32_e32 v12, 0x80, v12
	s_mov_b64 s[8:9], -1
	s_branch .LBB7_819
.LBB7_817:
	s_mov_b64 s[8:9], 0
.LBB7_818:
                                        ; implicit-def: $vgpr12
.LBB7_819:
	s_andn2_b64 s[10:11], s[62:63], exec
	s_and_b64 s[0:1], s[0:1], exec
	s_or_b64 s[70:71], s[10:11], s[0:1]
	s_andn2_b64 s[0:1], s[60:61], exec
	s_and_b64 s[2:3], s[2:3], exec
	s_or_b64 s[68:69], s[0:1], s[2:3]
	s_orn2_b64 s[2:3], s[8:9], exec
.LBB7_820:
	s_or_b64 exec, exec, s[66:67]
	s_mov_b64 s[0:1], 0
	s_mov_b64 s[8:9], 0
	;; [unrolled: 1-line block ×3, first 2 shown]
                                        ; implicit-def: $vgpr0_vgpr1
                                        ; implicit-def: $vgpr2
                                        ; implicit-def: $vgpr6_vgpr7
	s_and_saveexec_b64 s[66:67], s[2:3]
	s_cbranch_execz .LBB7_920
; %bb.821:
	v_cmp_gt_i32_e32 vcc, s74, v12
	s_mov_b64 s[2:3], 0
	s_mov_b64 s[12:13], s[68:69]
                                        ; implicit-def: $vgpr0_vgpr1
                                        ; implicit-def: $vgpr2
                                        ; implicit-def: $vgpr6_vgpr7
	s_and_saveexec_b64 s[72:73], vcc
	s_cbranch_execz .LBB7_919
; %bb.822:
	s_andn2_b64 vcc, exec, s[40:41]
	s_cbranch_vccnz .LBB7_828
; %bb.823:
	s_mov_b32 s74, 0
	s_andn2_b64 vcc, exec, s[52:53]
	v_mov_b32_e32 v0, 0
	v_mov_b32_e32 v2, 0
	s_cbranch_vccnz .LBB7_834
; %bb.824:
	s_add_i32 s78, s75, 1
	s_cmp_eq_u32 s76, 2
	s_cbranch_scc1 .LBB7_829
; %bb.825:
	s_and_b32 s74, s78, 28
	s_mov_b32 s75, 0
	v_mov_b32_e32 v2, 0
	s_mov_b64 s[52:53], s[34:35]
	v_mov_b32_e32 v1, v12
	v_mov_b32_e32 v0, 0
.LBB7_826:                              ; =>This Inner Loop Header: Depth=1
	s_load_dwordx8 s[16:23], s[52:53], 0x4
	s_load_dwordx4 s[0:3], s[52:53], 0x24
	s_load_dwordx8 s[8:15], s[50:51], 0x0
	s_add_u32 s52, s52, 48
	s_addc_u32 s53, s53, 0
	s_waitcnt lgkmcnt(0)
	v_mul_hi_u32 v3, s17, v1
	v_add_u32_e32 v3, v1, v3
	v_lshrrev_b32_e32 v3, s18, v3
	s_waitcnt vmcnt(0)
	v_mul_lo_u32 v4, v3, s16
	v_mul_hi_u32 v5, s20, v3
	v_sub_u32_e32 v1, v1, v4
	v_add_u32_e32 v4, v3, v5
	v_lshrrev_b32_e32 v4, s21, v4
	v_mul_lo_u32 v6, v4, s19
	v_mul_hi_u32 v7, s23, v4
	v_sub_u32_e32 v3, v3, v6
	v_add_u32_e32 v6, v4, v7
	v_mul_lo_u32 v5, v1, s9
	v_mul_lo_u32 v1, v1, s8
	;; [unrolled: 1-line block ×4, first 2 shown]
	v_lshrrev_b32_e32 v6, s0, v6
	v_add3_u32 v2, v1, v2, v3
	v_mul_lo_u32 v1, v6, s22
	v_mul_hi_u32 v3, s2, v6
	v_sub_u32_e32 v1, v4, v1
	v_add_u32_e32 v3, v6, v3
	v_add3_u32 v0, v5, v0, v7
	v_mul_lo_u32 v4, v1, s12
	v_mul_lo_u32 v5, v1, s13
	v_lshrrev_b32_e32 v1, s3, v3
	s_add_i32 s75, s75, 4
	v_mul_lo_u32 v3, v1, s1
	s_add_u32 s50, s50, 32
	v_sub_u32_e32 v3, v6, v3
	s_addc_u32 s51, s51, 0
	v_mul_lo_u32 v6, v3, s14
	v_mul_lo_u32 v3, v3, s15
	s_cmp_eq_u32 s74, s75
	v_add3_u32 v0, v5, v0, v3
	v_add3_u32 v2, v4, v2, v6
	s_cbranch_scc0 .LBB7_826
; %bb.827:
	v_mov_b32_e32 v3, v0
	s_branch .LBB7_830
.LBB7_828:
	s_mov_b64 s[0:1], -1
                                        ; implicit-def: $vgpr0
                                        ; implicit-def: $vgpr2
	s_branch .LBB7_835
.LBB7_829:
	s_mov_b32 s75, s74
	v_pk_mov_b32 v[2:3], s[74:75], s[74:75] op_sel:[0,1]
                                        ; implicit-def: $vgpr0
	v_mov_b32_e32 v1, v12
.LBB7_830:
	s_and_b32 s8, s78, 3
	s_cmp_eq_u32 s8, 0
	s_cbranch_scc1 .LBB7_834
; %bb.831:
	s_lshl_b32 s0, s74, 3
	s_add_u32 s0, s0, s34
	s_addc_u32 s1, s35, 0
	s_add_u32 s0, s0, 0xc4
	s_addc_u32 s1, s1, 0
	s_mul_i32 s2, s74, 12
	s_add_u32 s2, s34, s2
	s_addc_u32 s3, s35, 0
.LBB7_832:                              ; =>This Inner Loop Header: Depth=1
	s_load_dwordx2 s[10:11], s[2:3], 0x4
	s_load_dword s9, s[2:3], 0xc
	s_load_dwordx2 s[12:13], s[0:1], 0x0
	v_mov_b32_e32 v0, v3
	s_add_u32 s2, s2, 12
	s_waitcnt lgkmcnt(0)
	v_mul_hi_u32 v3, s11, v1
	v_add_u32_e32 v3, v1, v3
	v_lshrrev_b32_e32 v3, s9, v3
	s_addc_u32 s3, s3, 0
	s_waitcnt vmcnt(0)
	v_mul_lo_u32 v4, v3, s10
	s_add_u32 s0, s0, 8
	v_sub_u32_e32 v6, v1, v4
	v_mov_b32_e32 v1, v3
	s_addc_u32 s1, s1, 0
	s_add_i32 s8, s8, -1
	v_mad_u64_u32 v[4:5], s[10:11], v6, s13, v[0:1]
	v_mad_u64_u32 v[2:3], s[10:11], v6, s12, v[2:3]
	s_cmp_lg_u32 s8, 0
	v_mov_b32_e32 v3, v4
	s_cbranch_scc1 .LBB7_832
; %bb.833:
	v_mov_b32_e32 v0, v3
.LBB7_834:
	s_mov_b64 s[0:1], 0
.LBB7_835:
	s_andn2_b64 vcc, exec, s[0:1]
	s_cbranch_vccnz .LBB7_838
; %bb.836:
	v_mul_hi_u32 v0, s29, v12
	v_add_u32_e32 v0, v12, v0
	v_lshrrev_b32_e32 v1, s30, v0
	v_mul_lo_u32 v0, v1, s28
	v_sub_u32_e32 v2, v12, v0
	v_mul_lo_u32 v0, v2, s37
	s_andn2_b64 vcc, exec, s[48:49]
	v_mul_lo_u32 v2, v2, s36
	s_cbranch_vccnz .LBB7_838
; %bb.837:
	v_mul_hi_u32 v3, s46, v1
	v_add_u32_e32 v3, v1, v3
	v_lshrrev_b32_e32 v3, s47, v3
	v_mul_lo_u32 v3, v3, s31
	v_sub_u32_e32 v1, v1, v3
	v_mad_u64_u32 v[2:3], s[0:1], v1, s38, v[2:3]
	v_mad_u64_u32 v[0:1], s[0:1], v1, s39, v[0:1]
.LBB7_838:
	v_mov_b32_e32 v1, s27
	v_add_co_u32_e32 v0, vcc, s26, v0
	v_addc_co_u32_e32 v1, vcc, 0, v1, vcc
	v_cmp_gt_i16_e32 vcc, 11, v8
	s_cbranch_vccnz .LBB7_845
; %bb.839:
	v_cmp_lt_i16_e32 vcc, 25, v8
	s_mov_b64 s[2:3], 0
	s_cbranch_vccz .LBB7_846
; %bb.840:
	v_cmp_lt_i16_e32 vcc, 28, v8
	s_cbranch_vccz .LBB7_847
; %bb.841:
	v_cmp_lt_i16_e32 vcc, 43, v8
	;; [unrolled: 3-line block ×3, first 2 shown]
	s_cbranch_vccz .LBB7_851
; %bb.843:
	v_cmp_eq_u16_e32 vcc, 46, v8
	s_mov_b64 s[10:11], 0
	s_cbranch_vccz .LBB7_854
; %bb.844:
	global_load_dword v3, v[0:1], off
	s_mov_b64 s[0:1], 0
	s_mov_b64 s[8:9], -1
	s_waitcnt vmcnt(0)
	v_lshlrev_b32_e32 v3, 16, v3
	v_cvt_f64_f32_e32 v[6:7], v3
	s_branch .LBB7_855
.LBB7_845:
	s_mov_b64 s[12:13], -1
	s_mov_b64 s[8:9], 0
	s_mov_b64 s[2:3], 0
	;; [unrolled: 1-line block ×3, first 2 shown]
                                        ; implicit-def: $vgpr6_vgpr7
	s_branch .LBB7_918
.LBB7_846:
	s_mov_b64 s[10:11], -1
	s_mov_b64 s[8:9], 0
	s_mov_b64 s[0:1], s[68:69]
                                        ; implicit-def: $vgpr6_vgpr7
	s_branch .LBB7_884
.LBB7_847:
	s_mov_b64 s[10:11], -1
	s_mov_b64 s[8:9], 0
	s_mov_b64 s[0:1], s[68:69]
                                        ; implicit-def: $vgpr6_vgpr7
	s_branch .LBB7_865
.LBB7_848:
	s_mov_b64 s[10:11], -1
	s_mov_b64 s[8:9], 0
	s_mov_b64 s[0:1], s[68:69]
                                        ; implicit-def: $vgpr6_vgpr7
	s_branch .LBB7_860
.LBB7_849:
	s_or_saveexec_b64 s[12:13], s[12:13]
                                        ; implicit-def: $sgpr14
	s_xor_b64 exec, exec, s[12:13]
	s_cbranch_execz .LBB7_728
.LBB7_850:
	s_mov_b32 s14, 0x46000000
	v_add_f32_e64 v3, |v2|, s14
	v_and_b32_e32 v3, 0xff, v3
	v_cmp_ne_u32_e32 vcc, 0, v3
	s_andn2_b64 s[10:11], s[10:11], exec
	s_and_b64 s[16:17], vcc, exec
	s_mov_b32 s14, 0
	s_or_b64 s[10:11], s[10:11], s[16:17]
	s_or_b64 exec, exec, s[12:13]
	v_mov_b32_e32 v6, s14
	s_and_saveexec_b64 s[12:13], s[10:11]
	s_cbranch_execnz .LBB7_729
	s_branch .LBB7_730
.LBB7_851:
	s_mov_b64 s[10:11], -1
	s_mov_b64 s[8:9], 0
	s_mov_b64 s[0:1], s[68:69]
                                        ; implicit-def: $vgpr6_vgpr7
	s_branch .LBB7_855
.LBB7_852:
	s_or_saveexec_b64 s[12:13], s[12:13]
                                        ; implicit-def: $sgpr14
	s_xor_b64 exec, exec, s[12:13]
	s_cbranch_execz .LBB7_741
.LBB7_853:
	s_mov_b32 s14, 0x42800000
	v_add_f32_e64 v3, |v2|, s14
	v_and_b32_e32 v3, 0xff, v3
	v_cmp_ne_u32_e32 vcc, 0, v3
	s_andn2_b64 s[10:11], s[10:11], exec
	s_and_b64 s[16:17], vcc, exec
	s_mov_b32 s14, 0
	s_or_b64 s[10:11], s[10:11], s[16:17]
	s_or_b64 exec, exec, s[12:13]
	v_mov_b32_e32 v6, s14
	s_and_saveexec_b64 s[12:13], s[10:11]
	s_cbranch_execnz .LBB7_742
	s_branch .LBB7_743
.LBB7_854:
	s_mov_b64 s[0:1], -1
                                        ; implicit-def: $vgpr6_vgpr7
	s_mov_b64 s[8:9], 0
.LBB7_855:
	s_and_b64 vcc, exec, s[10:11]
	s_cbranch_vccz .LBB7_859
; %bb.856:
	v_cmp_eq_u16_e32 vcc, 44, v8
	s_cbranch_vccz .LBB7_858
; %bb.857:
	global_load_ubyte v3, v[0:1], off
	s_movk_i32 s8, 0xff
	v_bfrev_b32_e32 v6, 4
	v_mov_b32_e32 v7, 0x7ff80000
	v_bfrev_b32_e32 v9, 28
	s_mov_b64 s[0:1], 0
	s_waitcnt vmcnt(0)
	v_lshlrev_b32_e32 v4, 23, v3
	v_cvt_f64_f32_e32 v[4:5], v4
	v_cmp_ne_u32_e32 vcc, s8, v3
	v_cndmask_b32_e32 v4, v6, v4, vcc
	v_cndmask_b32_e32 v5, v7, v5, vcc
	v_cmp_ne_u32_e32 vcc, 0, v3
	v_cndmask_b32_e32 v7, v9, v5, vcc
	v_cndmask_b32_e32 v6, 0, v4, vcc
	s_mov_b64 s[8:9], -1
	s_branch .LBB7_859
.LBB7_858:
	s_mov_b64 s[0:1], -1
                                        ; implicit-def: $vgpr6_vgpr7
.LBB7_859:
	s_mov_b64 s[10:11], 0
.LBB7_860:
	s_and_b64 vcc, exec, s[10:11]
	s_cbranch_vccz .LBB7_864
; %bb.861:
	v_cmp_eq_u16_e32 vcc, 29, v8
	s_cbranch_vccz .LBB7_863
; %bb.862:
	global_load_dwordx2 v[4:5], v[0:1], off
	s_mov_b64 s[0:1], 0
	s_mov_b64 s[8:9], -1
	s_mov_b64 s[10:11], 0
	s_waitcnt vmcnt(0)
	v_cvt_f64_u32_e32 v[6:7], v5
	v_cvt_f64_u32_e32 v[4:5], v4
	v_ldexp_f64 v[6:7], v[6:7], 32
	v_add_f64 v[6:7], v[6:7], v[4:5]
	s_branch .LBB7_865
.LBB7_863:
	s_mov_b64 s[0:1], -1
                                        ; implicit-def: $vgpr6_vgpr7
.LBB7_864:
	s_mov_b64 s[10:11], 0
.LBB7_865:
	s_and_b64 vcc, exec, s[10:11]
	s_cbranch_vccz .LBB7_883
; %bb.866:
	v_cmp_gt_i16_e32 vcc, 27, v8
	s_cbranch_vccnz .LBB7_869
; %bb.867:
	v_cmp_lt_i16_e32 vcc, 27, v8
	s_cbranch_vccz .LBB7_870
; %bb.868:
	global_load_dword v3, v[0:1], off
	s_mov_b64 s[8:9], 0
	s_waitcnt vmcnt(0)
	v_cvt_f64_u32_e32 v[6:7], v3
	s_branch .LBB7_871
.LBB7_869:
	s_mov_b64 s[8:9], -1
                                        ; implicit-def: $vgpr6_vgpr7
	s_branch .LBB7_874
.LBB7_870:
	s_mov_b64 s[8:9], -1
                                        ; implicit-def: $vgpr6_vgpr7
.LBB7_871:
	s_andn2_b64 vcc, exec, s[8:9]
	s_cbranch_vccnz .LBB7_873
; %bb.872:
	global_load_ushort v3, v[0:1], off
	s_waitcnt vmcnt(0)
	v_cvt_f64_u32_e32 v[6:7], v3
.LBB7_873:
	s_mov_b64 s[8:9], 0
.LBB7_874:
	s_andn2_b64 vcc, exec, s[8:9]
	s_cbranch_vccnz .LBB7_882
; %bb.875:
	global_load_ubyte v3, v[0:1], off
	s_movk_i32 s8, 0x7f
                                        ; implicit-def: $sgpr10_sgpr11
	s_waitcnt vmcnt(0)
	v_cmp_lt_i16_e32 vcc, s8, v3
	s_mov_b64 s[8:9], 0
	s_and_saveexec_b64 s[12:13], vcc
	s_xor_b64 s[12:13], exec, s[12:13]
	s_cbranch_execz .LBB7_896
; %bb.876:
	s_movk_i32 s8, 0x80
	v_cmp_eq_u16_e32 vcc, s8, v3
	s_mov_b64 s[14:15], -1
                                        ; implicit-def: $sgpr10_sgpr11
	s_and_saveexec_b64 s[8:9], vcc
; %bb.877:
	s_mov_b32 s11, 0x7ff80000
	s_brev_b32 s10, 4
	s_xor_b64 s[14:15], exec, -1
; %bb.878:
	s_or_b64 exec, exec, s[8:9]
	s_and_b64 s[8:9], s[14:15], exec
	s_or_saveexec_b64 s[12:13], s[12:13]
	v_pk_mov_b32 v[6:7], s[10:11], s[10:11] op_sel:[0,1]
	s_xor_b64 exec, exec, s[12:13]
	s_cbranch_execnz .LBB7_897
.LBB7_879:
	s_or_b64 exec, exec, s[12:13]
	s_and_saveexec_b64 s[10:11], s[8:9]
	s_cbranch_execz .LBB7_881
.LBB7_880:
	v_lshlrev_b32_e32 v4, 24, v3
	v_and_b32_e32 v3, 0xffff, v3
	v_and_b32_e32 v5, 7, v3
	v_ffbh_u32_e32 v7, v5
	v_min_u32_e32 v7, 32, v7
	v_subrev_u32_e32 v9, 28, v7
	v_bfe_u32 v6, v3, 3, 4
	v_lshlrev_b32_e32 v3, v9, v3
	v_sub_u32_e32 v7, 29, v7
	v_and_b32_e32 v3, 7, v3
	v_cmp_eq_u32_e32 vcc, 0, v6
	v_cndmask_b32_e32 v6, v6, v7, vcc
	v_cndmask_b32_e32 v3, v5, v3, vcc
	v_mov_b32_e32 v5, 0x3b800000
	v_lshlrev_b32_e32 v3, 20, v3
	v_and_b32_e32 v4, 0x80000000, v4
	v_lshl_add_u32 v5, v6, 23, v5
	v_or3_b32 v3, v4, v5, v3
	v_cvt_f64_f32_e32 v[6:7], v3
.LBB7_881:
	s_or_b64 exec, exec, s[10:11]
.LBB7_882:
	s_mov_b64 s[8:9], -1
.LBB7_883:
	s_mov_b64 s[10:11], 0
.LBB7_884:
	s_and_b64 vcc, exec, s[10:11]
	s_cbranch_vccz .LBB7_917
; %bb.885:
	v_cmp_lt_i16_e32 vcc, 22, v8
	s_cbranch_vccz .LBB7_895
; %bb.886:
	v_cmp_gt_i16_e32 vcc, 24, v8
	s_cbranch_vccnz .LBB7_898
; %bb.887:
	v_cmp_lt_i16_e32 vcc, 24, v8
	s_cbranch_vccz .LBB7_899
; %bb.888:
	global_load_ubyte v3, v[0:1], off
	s_movk_i32 s2, 0x7f
                                        ; implicit-def: $sgpr8_sgpr9
	s_waitcnt vmcnt(0)
	v_cmp_lt_i16_e32 vcc, s2, v3
	s_mov_b64 s[2:3], 0
	s_and_saveexec_b64 s[10:11], vcc
	s_xor_b64 s[10:11], exec, s[10:11]
	s_cbranch_execz .LBB7_911
; %bb.889:
	s_movk_i32 s2, 0x80
	v_cmp_eq_u16_e32 vcc, s2, v3
	s_mov_b64 s[12:13], -1
                                        ; implicit-def: $sgpr8_sgpr9
	s_and_saveexec_b64 s[2:3], vcc
; %bb.890:
	s_mov_b32 s9, 0x7ff80000
	s_brev_b32 s8, 4
	s_xor_b64 s[12:13], exec, -1
; %bb.891:
	s_or_b64 exec, exec, s[2:3]
	s_and_b64 s[2:3], s[12:13], exec
	s_or_saveexec_b64 s[10:11], s[10:11]
	v_pk_mov_b32 v[6:7], s[8:9], s[8:9] op_sel:[0,1]
	s_xor_b64 exec, exec, s[10:11]
	s_cbranch_execnz .LBB7_912
.LBB7_892:
	s_or_b64 exec, exec, s[10:11]
	s_and_saveexec_b64 s[8:9], s[2:3]
	s_cbranch_execz .LBB7_894
.LBB7_893:
	v_lshlrev_b32_e32 v4, 24, v3
	v_and_b32_e32 v3, 0xffff, v3
	v_and_b32_e32 v5, 3, v3
	v_ffbh_u32_e32 v7, v5
	v_min_u32_e32 v7, 32, v7
	v_subrev_u32_e32 v9, 29, v7
	v_bfe_u32 v6, v3, 2, 5
	v_lshlrev_b32_e32 v3, v9, v3
	v_sub_u32_e32 v7, 30, v7
	v_and_b32_e32 v3, 3, v3
	v_cmp_eq_u32_e32 vcc, 0, v6
	v_cndmask_b32_e32 v6, v6, v7, vcc
	v_cndmask_b32_e32 v3, v5, v3, vcc
	v_mov_b32_e32 v5, 0x37800000
	v_lshlrev_b32_e32 v3, 21, v3
	v_and_b32_e32 v4, 0x80000000, v4
	v_lshl_add_u32 v5, v6, 23, v5
	v_or3_b32 v3, v4, v5, v3
	v_cvt_f64_f32_e32 v[6:7], v3
.LBB7_894:
	s_or_b64 exec, exec, s[8:9]
	s_mov_b64 s[2:3], 0
	s_branch .LBB7_900
.LBB7_895:
	s_mov_b64 s[2:3], -1
                                        ; implicit-def: $vgpr6_vgpr7
	s_branch .LBB7_906
.LBB7_896:
	s_or_saveexec_b64 s[12:13], s[12:13]
	v_pk_mov_b32 v[6:7], s[10:11], s[10:11] op_sel:[0,1]
	s_xor_b64 exec, exec, s[12:13]
	s_cbranch_execz .LBB7_879
.LBB7_897:
	v_cmp_ne_u16_e32 vcc, 0, v3
	s_andn2_b64 s[8:9], s[8:9], exec
	s_and_b64 s[10:11], vcc, exec
	v_pk_mov_b32 v[6:7], 0, 0
	s_or_b64 s[8:9], s[8:9], s[10:11]
	s_or_b64 exec, exec, s[12:13]
	s_and_saveexec_b64 s[10:11], s[8:9]
	s_cbranch_execnz .LBB7_880
	s_branch .LBB7_881
.LBB7_898:
	s_mov_b64 s[2:3], -1
                                        ; implicit-def: $vgpr6_vgpr7
	s_branch .LBB7_903
.LBB7_899:
	s_mov_b64 s[2:3], -1
                                        ; implicit-def: $vgpr6_vgpr7
.LBB7_900:
	s_and_b64 vcc, exec, s[2:3]
	s_cbranch_vccz .LBB7_902
; %bb.901:
	global_load_ubyte v3, v[0:1], off
	s_mov_b32 s2, 0x7f800000
	s_waitcnt vmcnt(0)
	v_lshlrev_b32_e32 v3, 24, v3
	v_and_b32_e32 v4, 0x7f000000, v3
	v_ffbh_u32_e32 v5, v4
	v_min_u32_e32 v5, 32, v5
	v_sub_u32_e64 v5, v5, 4 clamp
	v_lshlrev_b32_e32 v7, v5, v4
	v_lshlrev_b32_e32 v5, 23, v5
	v_lshrrev_b32_e32 v7, 4, v7
	v_add_u32_e32 v6, 0x1000000, v4
	v_sub_u32_e32 v5, v7, v5
	v_ashrrev_i32_e32 v6, 8, v6
	v_add_u32_e32 v5, 0x3c000000, v5
	v_and_or_b32 v5, v6, s2, v5
	v_cmp_ne_u32_e32 vcc, 0, v4
	v_cndmask_b32_e32 v4, 0, v5, vcc
	s_brev_b32 s2, 1
	v_and_or_b32 v3, v3, s2, v4
	v_cvt_f64_f32_e32 v[6:7], v3
.LBB7_902:
	s_mov_b64 s[2:3], 0
.LBB7_903:
	s_andn2_b64 vcc, exec, s[2:3]
	s_cbranch_vccnz .LBB7_905
; %bb.904:
	global_load_ubyte v3, v[0:1], off
	s_movk_i32 s2, 0x7f00
	s_brev_b32 s3, 16
	s_waitcnt vmcnt(0)
	v_lshlrev_b16_e32 v4, 8, v3
	v_lshlrev_b32_e32 v3, 25, v3
	v_lshrrev_b32_e32 v5, 4, v3
	v_and_or_b32 v6, v4, s2, 0.5
	v_or_b32_e32 v5, 0x70000000, v5
	v_add_f32_e32 v6, -0.5, v6
	v_mul_f32_e32 v5, 0x7800000, v5
	v_cmp_gt_u32_e32 vcc, s3, v3
	v_bfe_i32 v4, v4, 0, 16
	v_cndmask_b32_e32 v3, v5, v6, vcc
	s_brev_b32 s2, 1
	v_and_or_b32 v3, v4, s2, v3
	v_cvt_f64_f32_e32 v[6:7], v3
.LBB7_905:
	s_mov_b64 s[2:3], 0
	s_mov_b64 s[8:9], -1
.LBB7_906:
	s_andn2_b64 vcc, exec, s[2:3]
	s_mov_b64 s[2:3], 0
	s_cbranch_vccnz .LBB7_917
; %bb.907:
	v_cmp_lt_i16_e32 vcc, 14, v8
	s_cbranch_vccz .LBB7_910
; %bb.908:
	v_cmp_eq_u16_e32 vcc, 15, v8
	s_cbranch_vccz .LBB7_913
; %bb.909:
	global_load_ushort v3, v[0:1], off
	s_mov_b64 s[0:1], 0
	s_mov_b64 s[8:9], -1
	s_waitcnt vmcnt(0)
	v_lshlrev_b32_e32 v3, 16, v3
	v_cvt_f64_f32_e32 v[6:7], v3
	s_branch .LBB7_914
.LBB7_910:
	s_mov_b64 s[10:11], -1
                                        ; implicit-def: $vgpr6_vgpr7
	s_branch .LBB7_915
.LBB7_911:
	s_or_saveexec_b64 s[10:11], s[10:11]
	v_pk_mov_b32 v[6:7], s[8:9], s[8:9] op_sel:[0,1]
	s_xor_b64 exec, exec, s[10:11]
	s_cbranch_execz .LBB7_892
.LBB7_912:
	v_cmp_ne_u16_e32 vcc, 0, v3
	s_andn2_b64 s[2:3], s[2:3], exec
	s_and_b64 s[8:9], vcc, exec
	v_pk_mov_b32 v[6:7], 0, 0
	s_or_b64 s[2:3], s[2:3], s[8:9]
	s_or_b64 exec, exec, s[10:11]
	s_and_saveexec_b64 s[8:9], s[2:3]
	s_cbranch_execnz .LBB7_893
	s_branch .LBB7_894
.LBB7_913:
	s_mov_b64 s[0:1], -1
                                        ; implicit-def: $vgpr6_vgpr7
.LBB7_914:
	s_mov_b64 s[10:11], 0
.LBB7_915:
	s_and_b64 vcc, exec, s[10:11]
	s_cbranch_vccz .LBB7_917
; %bb.916:
	v_cmp_ne_u16_e32 vcc, 11, v8
	s_andn2_b64 s[0:1], s[0:1], exec
	s_and_b64 s[10:11], vcc, exec
	s_mov_b64 s[2:3], -1
	s_or_b64 s[0:1], s[0:1], s[10:11]
                                        ; implicit-def: $vgpr6_vgpr7
.LBB7_917:
	s_mov_b64 s[12:13], 0
.LBB7_918:
	s_and_b64 s[10:11], s[8:9], exec
	s_and_b64 s[8:9], s[12:13], exec
	s_andn2_b64 s[12:13], s[68:69], exec
	s_and_b64 s[0:1], s[0:1], exec
	s_and_b64 s[2:3], s[2:3], exec
	s_or_b64 s[12:13], s[12:13], s[0:1]
.LBB7_919:
	s_or_b64 exec, exec, s[72:73]
	s_and_b64 s[0:1], s[2:3], exec
	s_andn2_b64 s[2:3], s[68:69], exec
	s_and_b64 s[12:13], s[12:13], exec
	s_and_b64 s[10:11], s[10:11], exec
	;; [unrolled: 1-line block ×3, first 2 shown]
	s_or_b64 s[68:69], s[2:3], s[12:13]
.LBB7_920:
	s_or_b64 exec, exec, s[66:67]
	s_andn2_b64 s[2:3], s[62:63], exec
	s_and_b64 s[12:13], s[70:71], exec
	s_or_b64 s[62:63], s[2:3], s[12:13]
	s_and_b64 s[2:3], s[0:1], exec
	s_andn2_b64 s[0:1], s[60:61], exec
	s_and_b64 s[12:13], s[68:69], exec
	s_and_b64 s[10:11], s[10:11], exec
	;; [unrolled: 1-line block ×3, first 2 shown]
	s_or_b64 s[60:61], s[0:1], s[12:13]
.LBB7_921:
	s_or_b64 exec, exec, s[64:65]
	s_andn2_b64 s[0:1], s[54:55], exec
	s_and_b64 s[12:13], s[62:63], exec
	s_or_b64 s[54:55], s[0:1], s[12:13]
	s_and_b64 s[0:1], s[10:11], exec
	s_and_b64 s[10:11], s[8:9], exec
	;; [unrolled: 1-line block ×3, first 2 shown]
	s_andn2_b64 s[2:3], s[56:57], exec
	s_and_b64 s[8:9], s[60:61], exec
	s_or_b64 s[56:57], s[2:3], s[8:9]
	s_or_b64 exec, exec, s[58:59]
	s_mov_b64 s[2:3], 0
	s_and_saveexec_b64 s[8:9], s[56:57]
	s_cbranch_execz .LBB7_276
.LBB7_922:
	s_mov_b64 s[2:3], exec
	s_andn2_b64 s[62:63], s[62:63], exec
	s_trap 2
                                        ; implicit-def: $vgpr6_vgpr7
	s_or_b64 exec, exec, s[8:9]
	s_and_saveexec_b64 s[8:9], s[62:63]
	s_xor_b64 s[8:9], exec, s[8:9]
	s_cbranch_execnz .LBB7_277
.LBB7_923:
	s_or_b64 exec, exec, s[8:9]
	s_and_saveexec_b64 s[8:9], s[10:11]
	s_cbranch_execz .LBB7_969
.LBB7_924:
	v_cmp_gt_i16_e32 vcc, 5, v8
	s_cbranch_vccnz .LBB7_929
; %bb.925:
	v_cmp_gt_i16_e32 vcc, 8, v8
	s_cbranch_vccnz .LBB7_930
; %bb.926:
	;; [unrolled: 3-line block ×3, first 2 shown]
	v_cmp_lt_i16_e32 vcc, 9, v8
	s_cbranch_vccz .LBB7_932
; %bb.928:
	global_load_dwordx2 v[6:7], v[0:1], off
	s_mov_b64 s[10:11], 0
	s_branch .LBB7_933
.LBB7_929:
                                        ; implicit-def: $vgpr6_vgpr7
	s_branch .LBB7_950
.LBB7_930:
                                        ; implicit-def: $vgpr6_vgpr7
	s_branch .LBB7_939
.LBB7_931:
	s_mov_b64 s[10:11], -1
                                        ; implicit-def: $vgpr6_vgpr7
	s_branch .LBB7_936
.LBB7_932:
	s_mov_b64 s[10:11], -1
                                        ; implicit-def: $vgpr6_vgpr7
.LBB7_933:
	s_andn2_b64 vcc, exec, s[10:11]
	s_cbranch_vccnz .LBB7_935
; %bb.934:
	global_load_dword v3, v[0:1], off
	s_waitcnt vmcnt(0)
	v_cvt_f64_f32_e32 v[6:7], v3
.LBB7_935:
	s_mov_b64 s[10:11], 0
.LBB7_936:
	s_andn2_b64 vcc, exec, s[10:11]
	s_cbranch_vccnz .LBB7_938
; %bb.937:
	global_load_dword v3, v[0:1], off
	s_waitcnt vmcnt(0)
	v_cvt_f32_f16_e32 v3, v3
	v_cvt_f64_f32_e32 v[6:7], v3
.LBB7_938:
	s_cbranch_execnz .LBB7_949
.LBB7_939:
	v_cmp_gt_i16_e32 vcc, 6, v8
	s_cbranch_vccnz .LBB7_942
; %bb.940:
	v_cmp_lt_i16_e32 vcc, 6, v8
	s_cbranch_vccz .LBB7_943
; %bb.941:
	global_load_dwordx2 v[6:7], v[0:1], off
	s_mov_b64 s[10:11], 0
	s_branch .LBB7_944
.LBB7_942:
	s_mov_b64 s[10:11], -1
                                        ; implicit-def: $vgpr6_vgpr7
	s_branch .LBB7_947
.LBB7_943:
	s_mov_b64 s[10:11], -1
                                        ; implicit-def: $vgpr6_vgpr7
.LBB7_944:
	s_andn2_b64 vcc, exec, s[10:11]
	s_cbranch_vccnz .LBB7_946
; %bb.945:
	global_load_dword v3, v[0:1], off
	s_waitcnt vmcnt(0)
	v_cvt_f64_f32_e32 v[6:7], v3
.LBB7_946:
	s_mov_b64 s[10:11], 0
.LBB7_947:
	s_andn2_b64 vcc, exec, s[10:11]
	s_cbranch_vccnz .LBB7_949
; %bb.948:
	global_load_ushort v3, v[0:1], off
	s_waitcnt vmcnt(0)
	v_cvt_f32_f16_e32 v3, v3
	v_cvt_f64_f32_e32 v[6:7], v3
.LBB7_949:
	s_cbranch_execnz .LBB7_968
.LBB7_950:
	v_cmp_gt_i16_e32 vcc, 2, v8
	s_cbranch_vccnz .LBB7_954
; %bb.951:
	v_cmp_gt_i16_e32 vcc, 3, v8
	s_cbranch_vccnz .LBB7_955
; %bb.952:
	v_cmp_lt_i16_e32 vcc, 3, v8
	s_cbranch_vccz .LBB7_956
; %bb.953:
	global_load_dwordx2 v[4:5], v[0:1], off
	s_mov_b64 s[10:11], 0
	s_waitcnt vmcnt(0)
	v_cvt_f64_i32_e32 v[6:7], v5
	v_cvt_f64_u32_e32 v[4:5], v4
	v_ldexp_f64 v[6:7], v[6:7], 32
	v_add_f64 v[6:7], v[6:7], v[4:5]
	s_branch .LBB7_957
.LBB7_954:
                                        ; implicit-def: $vgpr6_vgpr7
	s_branch .LBB7_963
.LBB7_955:
	s_mov_b64 s[10:11], -1
                                        ; implicit-def: $vgpr6_vgpr7
	s_branch .LBB7_960
.LBB7_956:
	s_mov_b64 s[10:11], -1
                                        ; implicit-def: $vgpr6_vgpr7
.LBB7_957:
	s_andn2_b64 vcc, exec, s[10:11]
	s_cbranch_vccnz .LBB7_959
; %bb.958:
	global_load_dword v3, v[0:1], off
	s_waitcnt vmcnt(0)
	v_cvt_f64_i32_e32 v[6:7], v3
.LBB7_959:
	s_mov_b64 s[10:11], 0
.LBB7_960:
	s_andn2_b64 vcc, exec, s[10:11]
	s_cbranch_vccnz .LBB7_962
; %bb.961:
	global_load_sshort v3, v[0:1], off
	s_waitcnt vmcnt(0)
	v_cvt_f64_i32_e32 v[6:7], v3
.LBB7_962:
	s_cbranch_execnz .LBB7_968
.LBB7_963:
	v_cmp_lt_i16_e32 vcc, 0, v8
	s_cbranch_vccz .LBB7_965
; %bb.964:
	global_load_sbyte v3, v[0:1], off
	s_mov_b64 s[10:11], 0
	s_waitcnt vmcnt(0)
	v_cvt_f64_i32_e32 v[6:7], v3
	s_branch .LBB7_966
.LBB7_965:
	s_mov_b64 s[10:11], -1
                                        ; implicit-def: $vgpr6_vgpr7
.LBB7_966:
	s_andn2_b64 vcc, exec, s[10:11]
	s_cbranch_vccnz .LBB7_968
; %bb.967:
	global_load_ubyte v0, v[0:1], off
	s_waitcnt vmcnt(0)
	v_cvt_f64_u32_e32 v[6:7], v0
.LBB7_968:
	s_or_b64 s[0:1], s[0:1], exec
.LBB7_969:
	s_or_b64 exec, exec, s[8:9]
	s_mov_b64 s[12:13], 0
	s_mov_b64 s[10:11], 0
                                        ; implicit-def: $vgpr8
                                        ; implicit-def: $vgpr4_vgpr5
                                        ; implicit-def: $vgpr0_vgpr1
	s_and_saveexec_b64 s[8:9], s[0:1]
	s_cbranch_execz .LBB7_1044
; %bb.970:
	s_waitcnt vmcnt(0)
	v_cmp_nge_f64_e64 s[0:1], v[6:7], -s[44:45]
	v_cmp_nge_f64_e32 vcc, s[44:45], v[6:7]
	s_or_b64 vcc, s[0:1], vcc
	v_cndmask_b32_e32 v1, 0, v7, vcc
	v_cndmask_b32_e32 v0, 0, v6, vcc
	v_mov_b32_e32 v3, s25
	v_add_co_u32_e32 v4, vcc, s24, v2
	v_mov_b32_e32 v2, 0xff
	v_addc_co_u32_e32 v5, vcc, 0, v3, vcc
	v_and_b32_e32 v8, s77, v2
	v_cmp_gt_i16_e32 vcc, 11, v8
	s_cbranch_vccnz .LBB7_1047
; %bb.971:
	v_cmp_lt_i16_e32 vcc, 25, v8
	s_mov_b64 s[12:13], -1
	s_mov_b64 s[0:1], s[54:55]
	s_cbranch_vccz .LBB7_1004
; %bb.972:
	v_cmp_lt_i16_e32 vcc, 28, v8
	s_mov_b64 s[10:11], -1
	s_mov_b64 s[0:1], s[54:55]
	s_cbranch_vccz .LBB7_988
; %bb.973:
	v_cmp_lt_i16_e32 vcc, 43, v8
	s_mov_b64 s[0:1], s[54:55]
	s_cbranch_vccz .LBB7_984
; %bb.974:
	v_cmp_lt_i16_e32 vcc, 45, v8
	s_mov_b64 s[0:1], s[54:55]
	s_cbranch_vccz .LBB7_978
; %bb.975:
	v_cmp_eq_u16_e32 vcc, 46, v8
	s_mov_b64 s[0:1], -1
	s_cbranch_vccz .LBB7_977
; %bb.976:
	v_cvt_f32_f64_e32 v2, v[0:1]
	v_bfe_u32 v3, v2, 16, 1
	s_movk_i32 s0, 0x7fff
	v_add3_u32 v3, v2, v3, s0
	v_lshrrev_b32_e32 v3, 16, v3
	v_mov_b32_e32 v6, 0x7fc0
	v_cmp_o_f32_e32 vcc, v2, v2
	v_cndmask_b32_e32 v2, v6, v3, vcc
	global_store_dword v[4:5], v2, off
	s_mov_b64 s[0:1], 0
.LBB7_977:
	s_mov_b64 s[10:11], 0
.LBB7_978:
	s_and_b64 vcc, exec, s[10:11]
	s_cbranch_vccz .LBB7_983
; %bb.979:
	v_cmp_eq_u16_e32 vcc, 44, v8
	s_mov_b64 s[0:1], -1
	s_cbranch_vccz .LBB7_983
; %bb.980:
	v_cvt_f32_f64_e32 v2, v[0:1]
	v_bfe_u32 v3, v2, 23, 8
	s_movk_i32 s0, 0xff
	v_cmp_ne_u32_e32 vcc, s0, v3
	v_mov_b32_e32 v6, 0xff
	s_and_saveexec_b64 s[10:11], vcc
; %bb.981:
	s_mov_b32 s0, 0x3fffff
	v_lshrrev_b32_e32 v6, 23, v2
	v_and_b32_e32 v7, 0x400000, v2
	v_and_or_b32 v2, v2, s0, v3
	v_cmp_ne_u32_e32 vcc, 0, v7
	v_cmp_ne_u32_e64 s[0:1], 0, v2
	s_and_b64 s[0:1], vcc, s[0:1]
	v_cndmask_b32_e64 v2, 0, 1, s[0:1]
	v_add_u32_e32 v6, v6, v2
; %bb.982:
	s_or_b64 exec, exec, s[10:11]
	s_mov_b64 s[0:1], 0
	global_store_byte v[4:5], v6, off
.LBB7_983:
	s_mov_b64 s[10:11], 0
.LBB7_984:
	s_and_b64 vcc, exec, s[10:11]
	s_cbranch_vccz .LBB7_987
; %bb.985:
	v_cmp_eq_u16_e32 vcc, 29, v8
	s_mov_b64 s[0:1], -1
	s_cbranch_vccz .LBB7_987
; %bb.986:
	v_trunc_f64_e32 v[2:3], v[0:1]
	s_movk_i32 s0, 0xffe0
	v_ldexp_f64 v[6:7], v[2:3], s0
	v_floor_f64_e32 v[6:7], v[6:7]
	v_fmac_f64_e32 v[2:3], 0xc1f00000, v[6:7]
	v_cvt_u32_f64_e32 v11, v[6:7]
	v_cvt_u32_f64_e32 v10, v[2:3]
	global_store_dwordx2 v[4:5], v[10:11], off
	s_mov_b64 s[0:1], 0
.LBB7_987:
	s_mov_b64 s[10:11], 0
.LBB7_988:
	s_and_b64 vcc, exec, s[10:11]
	s_cbranch_vccz .LBB7_1003
; %bb.989:
	v_cmp_gt_i16_e32 vcc, 27, v8
	s_mov_b64 s[10:11], -1
	s_cbranch_vccnz .LBB7_995
; %bb.990:
	v_cmp_lt_i16_e32 vcc, 27, v8
	s_cbranch_vccz .LBB7_992
; %bb.991:
	v_cvt_u32_f64_e32 v2, v[0:1]
	s_mov_b64 s[10:11], 0
	global_store_dword v[4:5], v2, off
.LBB7_992:
	s_andn2_b64 vcc, exec, s[10:11]
	s_cbranch_vccnz .LBB7_994
; %bb.993:
	v_cvt_u32_f64_e32 v2, v[0:1]
	global_store_short v[4:5], v2, off
.LBB7_994:
	s_mov_b64 s[10:11], 0
.LBB7_995:
	s_andn2_b64 vcc, exec, s[10:11]
	s_cbranch_vccnz .LBB7_1003
; %bb.996:
	v_cvt_f32_f64_e32 v2, v[0:1]
	v_and_b32_e32 v3, 0x7fffffff, v2
	s_mov_b32 s10, 0x43800000
	v_cmp_gt_u32_e32 vcc, s10, v3
	v_mov_b32_e32 v6, 0x80
	s_and_saveexec_b64 s[10:11], vcc
	s_cbranch_execz .LBB7_1002
; %bb.997:
	s_mov_b32 s12, 0x3bffffff
	v_cmp_lt_u32_e32 vcc, s12, v3
	s_mov_b64 s[12:13], 0
                                        ; implicit-def: $vgpr3
	s_and_saveexec_b64 s[14:15], vcc
	s_xor_b64 s[14:15], exec, s[14:15]
	s_cbranch_execz .LBB7_1160
; %bb.998:
	v_bfe_u32 v3, v2, 20, 1
	s_mov_b32 s16, 0x487ffff
	v_add3_u32 v3, v2, v3, s16
	s_mov_b64 s[12:13], exec
	v_lshrrev_b32_e32 v3, 20, v3
	s_or_saveexec_b64 s[14:15], s[14:15]
                                        ; implicit-def: $sgpr16
	s_xor_b64 exec, exec, s[14:15]
	s_cbranch_execnz .LBB7_1161
.LBB7_999:
	s_or_b64 exec, exec, s[14:15]
	v_mov_b32_e32 v6, s16
	s_and_saveexec_b64 s[14:15], s[12:13]
.LBB7_1000:
	v_lshrrev_b32_e32 v2, 24, v2
	s_movk_i32 s12, 0x80
	v_and_or_b32 v6, v2, s12, v3
.LBB7_1001:
	s_or_b64 exec, exec, s[14:15]
.LBB7_1002:
	s_or_b64 exec, exec, s[10:11]
	global_store_byte v[4:5], v6, off
.LBB7_1003:
	s_mov_b64 s[12:13], 0
.LBB7_1004:
	s_mov_b64 s[10:11], 0
	s_and_b64 vcc, exec, s[12:13]
	s_cbranch_vccz .LBB7_1048
; %bb.1005:
	v_cmp_lt_i16_e32 vcc, 22, v8
	s_mov_b64 s[12:13], -1
	s_cbranch_vccz .LBB7_1037
; %bb.1006:
	v_cmp_gt_i16_e32 vcc, 24, v8
	s_cbranch_vccnz .LBB7_1026
; %bb.1007:
	v_cmp_lt_i16_e32 vcc, 24, v8
	s_cbranch_vccz .LBB7_1015
; %bb.1008:
	v_cvt_f32_f64_e32 v2, v[0:1]
	v_and_b32_e32 v3, 0x7fffffff, v2
	s_mov_b32 s12, 0x47800000
	v_cmp_gt_u32_e32 vcc, s12, v3
	v_mov_b32_e32 v6, 0x80
	s_and_saveexec_b64 s[12:13], vcc
	s_cbranch_execz .LBB7_1014
; %bb.1009:
	s_mov_b32 s14, 0x37ffffff
	v_cmp_lt_u32_e32 vcc, s14, v3
	s_mov_b64 s[14:15], 0
                                        ; implicit-def: $vgpr3
	s_and_saveexec_b64 s[16:17], vcc
	s_xor_b64 s[16:17], exec, s[16:17]
	s_cbranch_execz .LBB7_1285
; %bb.1010:
	v_bfe_u32 v3, v2, 21, 1
	s_mov_b32 s18, 0x88fffff
	v_add3_u32 v3, v2, v3, s18
	s_mov_b64 s[14:15], exec
	v_lshrrev_b32_e32 v3, 21, v3
	s_or_saveexec_b64 s[16:17], s[16:17]
                                        ; implicit-def: $sgpr18
	s_xor_b64 exec, exec, s[16:17]
	s_cbranch_execnz .LBB7_1286
.LBB7_1011:
	s_or_b64 exec, exec, s[16:17]
	v_mov_b32_e32 v6, s18
	s_and_saveexec_b64 s[16:17], s[14:15]
.LBB7_1012:
	v_lshrrev_b32_e32 v2, 24, v2
	s_movk_i32 s14, 0x80
	v_and_or_b32 v6, v2, s14, v3
.LBB7_1013:
	s_or_b64 exec, exec, s[16:17]
.LBB7_1014:
	s_or_b64 exec, exec, s[12:13]
	s_mov_b64 s[12:13], 0
	global_store_byte v[4:5], v6, off
.LBB7_1015:
	s_and_b64 vcc, exec, s[12:13]
	s_cbranch_vccz .LBB7_1025
; %bb.1016:
	v_cvt_f32_f64_e32 v2, v[0:1]
	v_and_b32_e32 v6, 0x7fffffff, v2
	s_mov_b32 s12, 0x43f00000
	v_cmp_gt_u32_e32 vcc, s12, v6
                                        ; implicit-def: $vgpr3
	s_and_saveexec_b64 s[12:13], vcc
	s_xor_b64 s[12:13], exec, s[12:13]
	s_cbranch_execz .LBB7_1022
; %bb.1017:
	s_mov_b32 s14, 0x3c7fffff
	v_cmp_lt_u32_e32 vcc, s14, v6
                                        ; implicit-def: $vgpr3
	s_and_saveexec_b64 s[14:15], vcc
	s_xor_b64 s[14:15], exec, s[14:15]
; %bb.1018:
	v_bfe_u32 v3, v2, 20, 1
	s_mov_b32 s16, 0x407ffff
	v_add3_u32 v3, v2, v3, s16
	v_lshrrev_b32_e32 v6, 20, v3
	v_and_b32_e32 v3, 0xff00000, v3
	s_mov_b32 s16, 0x7f00000
	v_mov_b32_e32 v7, 0x7e
	v_cmp_ne_u32_e32 vcc, s16, v3
	v_cndmask_b32_e32 v3, v7, v6, vcc
; %bb.1019:
	s_andn2_saveexec_b64 s[14:15], s[14:15]
; %bb.1020:
	s_mov_b32 s16, 0x46800000
	v_add_f32_e64 v3, |v2|, s16
; %bb.1021:
	s_or_b64 exec, exec, s[14:15]
                                        ; implicit-def: $vgpr6
.LBB7_1022:
	s_andn2_saveexec_b64 s[12:13], s[12:13]
; %bb.1023:
	s_mov_b32 s14, 0x7f800000
	v_mov_b32_e32 v3, 0x7e
	v_mov_b32_e32 v7, 0x7f
	v_cmp_lt_u32_e32 vcc, s14, v6
	v_cndmask_b32_e32 v3, v3, v7, vcc
; %bb.1024:
	s_or_b64 exec, exec, s[12:13]
	v_lshrrev_b32_e32 v2, 24, v2
	s_movk_i32 s12, 0x80
	v_and_or_b32 v2, v2, s12, v3
	global_store_byte v[4:5], v2, off
.LBB7_1025:
	s_mov_b64 s[12:13], 0
.LBB7_1026:
	s_andn2_b64 vcc, exec, s[12:13]
	s_cbranch_vccnz .LBB7_1036
; %bb.1027:
	v_cvt_f32_f64_e32 v2, v[0:1]
	v_and_b32_e32 v6, 0x7fffffff, v2
	s_mov_b32 s12, 0x47800000
	v_cmp_gt_u32_e32 vcc, s12, v6
                                        ; implicit-def: $vgpr3
	s_and_saveexec_b64 s[12:13], vcc
	s_xor_b64 s[12:13], exec, s[12:13]
	s_cbranch_execz .LBB7_1033
; %bb.1028:
	s_mov_b32 s14, 0x387fffff
	v_cmp_lt_u32_e32 vcc, s14, v6
                                        ; implicit-def: $vgpr3
	s_and_saveexec_b64 s[14:15], vcc
	s_xor_b64 s[14:15], exec, s[14:15]
; %bb.1029:
	v_bfe_u32 v3, v2, 21, 1
	s_mov_b32 s16, 0x80fffff
	v_add3_u32 v3, v2, v3, s16
	v_lshrrev_b32_e32 v3, 21, v3
; %bb.1030:
	s_andn2_saveexec_b64 s[14:15], s[14:15]
; %bb.1031:
	s_mov_b32 s16, 0x43000000
	v_add_f32_e64 v3, |v2|, s16
; %bb.1032:
	s_or_b64 exec, exec, s[14:15]
                                        ; implicit-def: $vgpr6
.LBB7_1033:
	s_andn2_saveexec_b64 s[12:13], s[12:13]
; %bb.1034:
	s_mov_b32 s14, 0x7f800000
	v_mov_b32_e32 v3, 0x7c
	v_mov_b32_e32 v7, 0x7f
	v_cmp_lt_u32_e32 vcc, s14, v6
	v_cndmask_b32_e32 v3, v3, v7, vcc
; %bb.1035:
	s_or_b64 exec, exec, s[12:13]
	v_lshrrev_b32_e32 v2, 24, v2
	s_movk_i32 s12, 0x80
	v_and_or_b32 v2, v2, s12, v3
	global_store_byte v[4:5], v2, off
.LBB7_1036:
	s_mov_b64 s[12:13], 0
.LBB7_1037:
	s_andn2_b64 vcc, exec, s[12:13]
	s_mov_b64 s[12:13], 0
	s_cbranch_vccnz .LBB7_1049
; %bb.1038:
	v_cmp_lt_i16_e32 vcc, 14, v8
	s_mov_b64 s[14:15], -1
	s_cbranch_vccz .LBB7_1042
; %bb.1039:
	v_cmp_eq_u16_e32 vcc, 15, v8
	s_mov_b64 s[0:1], -1
	s_cbranch_vccz .LBB7_1041
; %bb.1040:
	v_cvt_f32_f64_e32 v2, v[0:1]
	v_bfe_u32 v3, v2, 16, 1
	s_movk_i32 s0, 0x7fff
	v_add3_u32 v3, v2, v3, s0
	v_lshrrev_b32_e32 v3, 16, v3
	v_mov_b32_e32 v6, 0x7fc0
	v_cmp_o_f32_e32 vcc, v2, v2
	v_cndmask_b32_e32 v2, v6, v3, vcc
	global_store_short v[4:5], v2, off
	s_mov_b64 s[0:1], 0
.LBB7_1041:
	s_mov_b64 s[14:15], 0
.LBB7_1042:
	s_and_b64 vcc, exec, s[14:15]
	s_cbranch_vccz .LBB7_1049
; %bb.1043:
	v_cmp_ne_u16_e32 vcc, 11, v8
	s_andn2_b64 s[0:1], s[0:1], exec
	s_and_b64 s[14:15], vcc, exec
	s_mov_b64 s[12:13], -1
	s_or_b64 s[0:1], s[0:1], s[14:15]
	s_branch .LBB7_1049
.LBB7_1044:
	s_or_b64 exec, exec, s[8:9]
	s_and_saveexec_b64 s[0:1], s[54:55]
	s_cbranch_execnz .LBB7_1050
.LBB7_1045:
	s_or_b64 exec, exec, s[0:1]
	s_and_saveexec_b64 s[0:1], s[12:13]
	s_xor_b64 s[0:1], exec, s[0:1]
	s_cbranch_execz .LBB7_1051
.LBB7_1046:
	v_cmp_neq_f64_e32 vcc, 0, v[0:1]
	v_cndmask_b32_e64 v2, 0, 1, vcc
	s_waitcnt vmcnt(0)
	global_store_byte v[4:5], v2, off
	s_or_b64 exec, exec, s[0:1]
	s_and_saveexec_b64 s[0:1], s[10:11]
	s_xor_b64 s[0:1], exec, s[0:1]
	s_cbranch_execz .LBB7_1089
	s_branch .LBB7_1052
.LBB7_1047:
	s_mov_b64 s[10:11], -1
	s_mov_b64 s[0:1], s[54:55]
	s_branch .LBB7_1049
.LBB7_1048:
	s_mov_b64 s[12:13], 0
.LBB7_1049:
	s_andn2_b64 s[14:15], s[54:55], exec
	s_and_b64 s[0:1], s[0:1], exec
	s_and_b64 s[10:11], s[10:11], exec
	;; [unrolled: 1-line block ×3, first 2 shown]
	s_or_b64 s[54:55], s[14:15], s[0:1]
	s_or_b64 exec, exec, s[8:9]
	s_and_saveexec_b64 s[0:1], s[54:55]
	s_cbranch_execz .LBB7_1045
.LBB7_1050:
	s_or_b64 s[2:3], s[2:3], exec
	s_andn2_b64 s[12:13], s[12:13], exec
	s_trap 2
	s_or_b64 exec, exec, s[0:1]
	s_and_saveexec_b64 s[0:1], s[12:13]
	s_xor_b64 s[0:1], exec, s[0:1]
	s_cbranch_execnz .LBB7_1046
.LBB7_1051:
	s_or_b64 exec, exec, s[0:1]
	s_and_saveexec_b64 s[0:1], s[10:11]
	s_xor_b64 s[0:1], exec, s[0:1]
	s_cbranch_execz .LBB7_1089
.LBB7_1052:
	v_cmp_gt_i16_e32 vcc, 5, v8
	s_mov_b64 s[8:9], -1
	s_cbranch_vccnz .LBB7_1073
; %bb.1053:
	v_cmp_gt_i16_e32 vcc, 8, v8
	s_cbranch_vccnz .LBB7_1063
; %bb.1054:
	v_cmp_gt_i16_e32 vcc, 9, v8
	s_cbranch_vccnz .LBB7_1060
; %bb.1055:
	v_cmp_lt_i16_e32 vcc, 9, v8
	s_cbranch_vccz .LBB7_1057
; %bb.1056:
	v_mov_b32_e32 v2, 0
	v_mov_b32_e32 v3, v2
	s_mov_b64 s[8:9], 0
	s_waitcnt vmcnt(0)
	global_store_dwordx4 v[4:5], v[0:3], off
.LBB7_1057:
	s_andn2_b64 vcc, exec, s[8:9]
	s_cbranch_vccnz .LBB7_1059
; %bb.1058:
	v_cvt_f32_f64_e32 v2, v[0:1]
	v_mov_b32_e32 v3, 0
	s_waitcnt vmcnt(0)
	global_store_dwordx2 v[4:5], v[2:3], off
.LBB7_1059:
	s_mov_b64 s[8:9], 0
.LBB7_1060:
	s_andn2_b64 vcc, exec, s[8:9]
	s_cbranch_vccnz .LBB7_1062
; %bb.1061:
	v_cvt_f32_f64_e32 v2, v[0:1]
	v_cvt_f16_f32_e32 v2, v2
	s_waitcnt vmcnt(0)
	global_store_dword v[4:5], v2, off
.LBB7_1062:
	s_mov_b64 s[8:9], 0
.LBB7_1063:
	s_andn2_b64 vcc, exec, s[8:9]
	s_cbranch_vccnz .LBB7_1072
; %bb.1064:
	v_cmp_gt_i16_e32 vcc, 6, v8
	s_mov_b64 s[8:9], -1
	s_cbranch_vccnz .LBB7_1070
; %bb.1065:
	v_cmp_lt_i16_e32 vcc, 6, v8
	s_cbranch_vccz .LBB7_1067
; %bb.1066:
	s_mov_b64 s[8:9], 0
	s_waitcnt vmcnt(0)
	global_store_dwordx2 v[4:5], v[0:1], off
.LBB7_1067:
	s_andn2_b64 vcc, exec, s[8:9]
	s_cbranch_vccnz .LBB7_1069
; %bb.1068:
	v_cvt_f32_f64_e32 v2, v[0:1]
	s_waitcnt vmcnt(0)
	global_store_dword v[4:5], v2, off
.LBB7_1069:
	s_mov_b64 s[8:9], 0
.LBB7_1070:
	s_andn2_b64 vcc, exec, s[8:9]
	s_cbranch_vccnz .LBB7_1072
; %bb.1071:
	v_cvt_f32_f64_e32 v2, v[0:1]
	v_cvt_f16_f32_e32 v2, v2
	s_waitcnt vmcnt(0)
	global_store_short v[4:5], v2, off
.LBB7_1072:
	s_mov_b64 s[8:9], 0
.LBB7_1073:
	s_andn2_b64 vcc, exec, s[8:9]
	s_cbranch_vccnz .LBB7_1089
; %bb.1074:
	v_cmp_gt_i16_e32 vcc, 2, v8
	s_mov_b64 s[8:9], -1
	s_cbranch_vccnz .LBB7_1084
; %bb.1075:
	v_cmp_gt_i16_e32 vcc, 3, v8
	s_cbranch_vccnz .LBB7_1081
; %bb.1076:
	v_cmp_lt_i16_e32 vcc, 3, v8
	s_cbranch_vccz .LBB7_1078
; %bb.1077:
	v_trunc_f64_e32 v[2:3], v[0:1]
	s_movk_i32 s8, 0xffe0
	s_waitcnt vmcnt(0)
	v_ldexp_f64 v[6:7], v[2:3], s8
	v_floor_f64_e32 v[6:7], v[6:7]
	v_fmac_f64_e32 v[2:3], 0xc1f00000, v[6:7]
	v_cvt_i32_f64_e32 v11, v[6:7]
	v_cvt_u32_f64_e32 v10, v[2:3]
	s_mov_b64 s[8:9], 0
	global_store_dwordx2 v[4:5], v[10:11], off
.LBB7_1078:
	s_andn2_b64 vcc, exec, s[8:9]
	s_cbranch_vccnz .LBB7_1080
; %bb.1079:
	v_cvt_i32_f64_e32 v2, v[0:1]
	s_waitcnt vmcnt(0)
	global_store_dword v[4:5], v2, off
.LBB7_1080:
	s_mov_b64 s[8:9], 0
.LBB7_1081:
	s_andn2_b64 vcc, exec, s[8:9]
	s_cbranch_vccnz .LBB7_1083
; %bb.1082:
	v_cvt_i32_f64_e32 v2, v[0:1]
	s_waitcnt vmcnt(0)
	global_store_short v[4:5], v2, off
.LBB7_1083:
	s_mov_b64 s[8:9], 0
.LBB7_1084:
	s_andn2_b64 vcc, exec, s[8:9]
	s_cbranch_vccnz .LBB7_1089
; %bb.1085:
	v_cmp_lt_i16_e32 vcc, 0, v8
	s_mov_b64 s[8:9], -1
	s_cbranch_vccz .LBB7_1087
; %bb.1086:
	v_cvt_i32_f64_e32 v2, v[0:1]
	s_mov_b64 s[8:9], 0
	s_waitcnt vmcnt(0)
	global_store_byte v[4:5], v2, off
.LBB7_1087:
	s_andn2_b64 vcc, exec, s[8:9]
	s_cbranch_vccnz .LBB7_1089
; %bb.1088:
	v_trunc_f64_e32 v[0:1], v[0:1]
	s_movk_i32 s8, 0xffe0
	v_ldexp_f64 v[2:3], v[0:1], s8
	v_floor_f64_e32 v[2:3], v[2:3]
	v_fmac_f64_e32 v[0:1], 0xc1f00000, v[2:3]
	v_cvt_u32_f64_e32 v0, v[0:1]
	s_waitcnt vmcnt(0)
	global_store_byte v[4:5], v0, off
.LBB7_1089:
	s_or_b64 exec, exec, s[0:1]
	s_and_b64 s[28:29], s[2:3], exec
                                        ; implicit-def: $vgpr15
                                        ; implicit-def: $vgpr12
.LBB7_1090:
	s_or_saveexec_b64 s[30:31], s[42:43]
	s_mov_b64 s[0:1], 0
                                        ; implicit-def: $vgpr4_vgpr5
                                        ; implicit-def: $sgpr18
                                        ; implicit-def: $vgpr0_vgpr1
	s_xor_b64 exec, exec, s[30:31]
	s_cbranch_execz .LBB7_2046
; %bb.1091:
	v_cndmask_b32_e64 v0, 0, 1, s[40:41]
	v_cmp_ne_u32_e64 s[0:1], 1, v0
	s_andn2_b64 vcc, exec, s[40:41]
	s_cbranch_vccnz .LBB7_1098
; %bb.1092:
	s_mov_b32 s2, 0
	s_cmp_lg_u32 s33, 0
	v_mov_b32_e32 v0, 0
	v_mov_b32_e32 v2, 0
	s_cbranch_scc0 .LBB7_1097
; %bb.1093:
	s_min_u32 s38, s76, 15
	s_add_i32 s38, s38, 1
	s_cmp_eq_u32 s76, 2
	s_cbranch_scc1 .LBB7_1099
; %bb.1094:
	s_add_u32 s6, s34, 0xc4
	s_addc_u32 s7, s35, 0
	s_and_b32 s2, s38, 28
	s_mov_b32 s3, 0
	v_mov_b32_e32 v2, 0
	s_mov_b64 s[36:37], s[34:35]
	v_mov_b32_e32 v1, v12
	v_mov_b32_e32 v0, 0
.LBB7_1095:                             ; =>This Inner Loop Header: Depth=1
	s_load_dwordx8 s[16:23], s[36:37], 0x4
	s_load_dwordx4 s[24:27], s[36:37], 0x24
	s_load_dwordx8 s[8:15], s[6:7], 0x0
	s_add_u32 s36, s36, 48
	s_addc_u32 s37, s37, 0
	s_waitcnt lgkmcnt(0)
	v_mul_hi_u32 v3, s17, v1
	v_add_u32_e32 v3, v1, v3
	v_lshrrev_b32_e32 v3, s18, v3
	s_waitcnt vmcnt(0)
	v_mul_lo_u32 v4, v3, s16
	v_mul_hi_u32 v5, s20, v3
	v_sub_u32_e32 v1, v1, v4
	v_add_u32_e32 v4, v3, v5
	v_lshrrev_b32_e32 v4, s21, v4
	v_mul_lo_u32 v6, v4, s19
	v_mul_hi_u32 v7, s23, v4
	v_sub_u32_e32 v3, v3, v6
	v_add_u32_e32 v6, v4, v7
	v_mul_lo_u32 v5, v1, s9
	v_mul_lo_u32 v1, v1, s8
	;; [unrolled: 1-line block ×4, first 2 shown]
	v_lshrrev_b32_e32 v6, s24, v6
	v_add3_u32 v2, v1, v2, v3
	v_mul_lo_u32 v1, v6, s22
	v_mul_hi_u32 v3, s26, v6
	v_sub_u32_e32 v1, v4, v1
	v_add_u32_e32 v3, v6, v3
	v_add3_u32 v0, v5, v0, v7
	v_mul_lo_u32 v4, v1, s12
	v_mul_lo_u32 v5, v1, s13
	v_lshrrev_b32_e32 v1, s27, v3
	s_add_i32 s3, s3, 4
	v_mul_lo_u32 v3, v1, s25
	s_add_u32 s6, s6, 32
	v_sub_u32_e32 v3, v6, v3
	s_addc_u32 s7, s7, 0
	v_mul_lo_u32 v6, v3, s14
	v_mul_lo_u32 v3, v3, s15
	s_cmp_lg_u32 s2, s3
	v_add3_u32 v0, v5, v0, v3
	v_add3_u32 v2, v4, v2, v6
	s_cbranch_scc1 .LBB7_1095
; %bb.1096:
	v_mov_b32_e32 v3, v0
	s_and_b32 s8, s38, 3
	s_cmp_eq_u32 s8, 0
	s_cbranch_scc0 .LBB7_1100
.LBB7_1097:
	s_cbranch_execz .LBB7_1103
	s_branch .LBB7_1105
.LBB7_1098:
                                        ; implicit-def: $vgpr0
                                        ; implicit-def: $vgpr2
	s_branch .LBB7_1103
.LBB7_1099:
	s_mov_b32 s3, s2
	v_pk_mov_b32 v[2:3], s[2:3], s[2:3] op_sel:[0,1]
                                        ; implicit-def: $vgpr0
	v_mov_b32_e32 v1, v12
	s_and_b32 s8, s38, 3
	s_cmp_eq_u32 s8, 0
	s_cbranch_scc1 .LBB7_1097
.LBB7_1100:
	s_lshl_b32 s3, s2, 3
	s_add_u32 s3, s3, s34
	s_addc_u32 s7, 0, s35
	s_add_u32 s6, s3, 0xc4
	s_addc_u32 s7, s7, 0
	s_mul_i32 s2, s2, 12
	s_add_u32 s2, s34, s2
	s_addc_u32 s3, 0, s35
.LBB7_1101:                             ; =>This Inner Loop Header: Depth=1
	s_load_dwordx2 s[10:11], s[2:3], 0x4
	s_load_dword s9, s[2:3], 0xc
	s_load_dwordx2 s[12:13], s[6:7], 0x0
	v_mov_b32_e32 v0, v3
	s_add_u32 s2, s2, 12
	s_waitcnt lgkmcnt(0)
	v_mul_hi_u32 v3, s11, v1
	v_add_u32_e32 v3, v1, v3
	v_lshrrev_b32_e32 v3, s9, v3
	s_addc_u32 s3, s3, 0
	s_waitcnt vmcnt(0)
	v_mul_lo_u32 v4, v3, s10
	s_add_u32 s6, s6, 8
	v_sub_u32_e32 v6, v1, v4
	v_mov_b32_e32 v1, v3
	s_addc_u32 s7, s7, 0
	s_add_i32 s8, s8, -1
	v_mad_u64_u32 v[4:5], s[10:11], v6, s13, v[0:1]
	v_mad_u64_u32 v[2:3], s[10:11], v6, s12, v[2:3]
	s_cmp_lg_u32 s8, 0
	v_mov_b32_e32 v3, v4
	s_cbranch_scc1 .LBB7_1101
; %bb.1102:
	v_mov_b32_e32 v0, v3
	s_cbranch_execnz .LBB7_1105
.LBB7_1103:
	s_load_dwordx4 s[8:11], s[34:35], 0x4
	s_load_dwordx2 s[2:3], s[34:35], 0xc4
	s_cmp_lt_u32 s33, 2
	s_waitcnt lgkmcnt(0)
	v_mul_hi_u32 v0, s9, v12
	v_add_u32_e32 v0, v12, v0
	v_lshrrev_b32_e32 v1, s10, v0
	v_mul_lo_u32 v0, v1, s8
	v_sub_u32_e32 v2, v12, v0
	v_mul_lo_u32 v0, v2, s3
	v_mul_lo_u32 v2, v2, s2
	s_cbranch_scc1 .LBB7_1105
; %bb.1104:
	s_load_dwordx4 s[8:11], s[34:35], 0x10
	s_load_dwordx2 s[2:3], s[34:35], 0xcc
	s_waitcnt lgkmcnt(0)
	v_mul_hi_u32 v3, s9, v1
	v_add_u32_e32 v3, v1, v3
	v_lshrrev_b32_e32 v3, s10, v3
	v_mul_lo_u32 v3, v3, s8
	v_sub_u32_e32 v1, v1, v3
	v_mad_u64_u32 v[2:3], s[6:7], v1, s2, v[2:3]
	v_mad_u64_u32 v[0:1], s[2:3], v1, s3, v[0:1]
.LBB7_1105:
	s_and_b64 vcc, exec, s[0:1]
	v_add_u32_e32 v1, 0x80, v12
	s_cbranch_vccnz .LBB7_1112
; %bb.1106:
	s_mov_b32 s2, 0
	s_cmp_lg_u32 s33, 0
	v_mov_b32_e32 v10, 0
	v_mov_b32_e32 v8, 0
	s_cbranch_scc0 .LBB7_1111
; %bb.1107:
	s_min_u32 s38, s76, 15
	s_add_i32 s38, s38, 1
	s_cmp_eq_u32 s76, 2
	s_cbranch_scc1 .LBB7_1113
; %bb.1108:
	s_add_u32 s6, s34, 0xc4
	s_addc_u32 s7, s35, 0
	s_and_b32 s2, s38, 28
	s_mov_b32 s3, 0
	v_mov_b32_e32 v8, 0
	s_mov_b64 s[36:37], s[34:35]
	v_mov_b32_e32 v3, v1
	v_mov_b32_e32 v10, 0
.LBB7_1109:                             ; =>This Inner Loop Header: Depth=1
	s_load_dwordx8 s[16:23], s[36:37], 0x4
	s_load_dwordx4 s[24:27], s[36:37], 0x24
	s_load_dwordx8 s[8:15], s[6:7], 0x0
	s_add_u32 s36, s36, 48
	s_addc_u32 s37, s37, 0
	s_waitcnt vmcnt(0) lgkmcnt(0)
	v_mul_hi_u32 v4, s17, v3
	v_add_u32_e32 v4, v3, v4
	v_lshrrev_b32_e32 v4, s18, v4
	v_mul_lo_u32 v5, v4, s16
	v_mul_hi_u32 v6, s20, v4
	v_sub_u32_e32 v3, v3, v5
	v_add_u32_e32 v5, v4, v6
	v_lshrrev_b32_e32 v5, s21, v5
	v_mul_lo_u32 v7, v5, s19
	v_mul_hi_u32 v9, s23, v5
	v_sub_u32_e32 v4, v4, v7
	v_add_u32_e32 v7, v5, v9
	v_mul_lo_u32 v6, v3, s9
	v_mul_lo_u32 v3, v3, s8
	;; [unrolled: 1-line block ×4, first 2 shown]
	v_lshrrev_b32_e32 v7, s24, v7
	v_add3_u32 v4, v3, v8, v4
	v_mul_lo_u32 v3, v7, s22
	v_mul_hi_u32 v8, s26, v7
	v_sub_u32_e32 v3, v5, v3
	v_add_u32_e32 v5, v7, v8
	v_add3_u32 v6, v6, v10, v9
	v_mul_lo_u32 v8, v3, s12
	v_mul_lo_u32 v9, v3, s13
	v_lshrrev_b32_e32 v3, s27, v5
	s_add_i32 s3, s3, 4
	v_mul_lo_u32 v5, v3, s25
	s_add_u32 s6, s6, 32
	v_sub_u32_e32 v5, v7, v5
	s_addc_u32 s7, s7, 0
	v_mul_lo_u32 v7, v5, s14
	v_mul_lo_u32 v5, v5, s15
	s_cmp_lg_u32 s2, s3
	v_add3_u32 v10, v9, v6, v5
	v_add3_u32 v8, v8, v4, v7
	s_cbranch_scc1 .LBB7_1109
; %bb.1110:
	v_mov_b32_e32 v9, v10
	s_and_b32 s8, s38, 3
	s_cmp_eq_u32 s8, 0
	s_cbranch_scc0 .LBB7_1114
.LBB7_1111:
	s_cbranch_execz .LBB7_1117
	s_branch .LBB7_1119
.LBB7_1112:
                                        ; implicit-def: $vgpr10
                                        ; implicit-def: $vgpr8
	s_branch .LBB7_1117
.LBB7_1113:
	s_mov_b32 s3, s2
	v_pk_mov_b32 v[8:9], s[2:3], s[2:3] op_sel:[0,1]
                                        ; implicit-def: $vgpr10
	v_mov_b32_e32 v3, v1
	s_and_b32 s8, s38, 3
	s_cmp_eq_u32 s8, 0
	s_cbranch_scc1 .LBB7_1111
.LBB7_1114:
	s_lshl_b32 s3, s2, 3
	s_add_u32 s3, s3, s34
	s_addc_u32 s7, 0, s35
	s_add_u32 s6, s3, 0xc4
	s_addc_u32 s7, s7, 0
	s_mul_i32 s2, s2, 12
	s_add_u32 s2, s34, s2
	s_addc_u32 s3, 0, s35
.LBB7_1115:                             ; =>This Inner Loop Header: Depth=1
	s_load_dwordx2 s[10:11], s[2:3], 0x4
	s_load_dword s9, s[2:3], 0xc
	s_load_dwordx2 s[12:13], s[6:7], 0x0
	s_add_u32 s2, s2, 12
	s_addc_u32 s3, s3, 0
	s_waitcnt vmcnt(0) lgkmcnt(0)
	v_mul_hi_u32 v5, s11, v3
	v_add_u32_e32 v5, v3, v5
	v_lshrrev_b32_e32 v5, s9, v5
	v_mul_lo_u32 v6, v5, s10
	v_mov_b32_e32 v4, v9
	s_add_u32 s6, s6, 8
	v_sub_u32_e32 v6, v3, v6
	s_addc_u32 s7, s7, 0
	s_add_i32 s8, s8, -1
	v_mov_b32_e32 v3, v5
	v_mad_u64_u32 v[4:5], s[10:11], v6, s13, v[4:5]
	v_mad_u64_u32 v[8:9], s[10:11], v6, s12, v[8:9]
	s_cmp_lg_u32 s8, 0
	v_mov_b32_e32 v9, v4
	s_cbranch_scc1 .LBB7_1115
; %bb.1116:
	v_mov_b32_e32 v10, v9
	s_cbranch_execnz .LBB7_1119
.LBB7_1117:
	s_load_dwordx4 s[8:11], s[34:35], 0x4
	s_load_dwordx2 s[2:3], s[34:35], 0xc4
	s_cmp_lt_u32 s33, 2
	s_waitcnt lgkmcnt(0)
	v_mul_hi_u32 v3, s9, v1
	v_add_u32_e32 v3, v1, v3
	v_lshrrev_b32_e32 v3, s10, v3
	s_waitcnt vmcnt(0)
	v_mul_lo_u32 v4, v3, s8
	v_sub_u32_e32 v1, v1, v4
	v_mul_lo_u32 v10, v1, s3
	v_mul_lo_u32 v8, v1, s2
	s_cbranch_scc1 .LBB7_1119
; %bb.1118:
	s_load_dwordx4 s[8:11], s[34:35], 0x10
	s_load_dwordx2 s[2:3], s[34:35], 0xcc
	s_waitcnt lgkmcnt(0)
	v_mul_hi_u32 v1, s9, v3
	v_add_u32_e32 v1, v3, v1
	v_lshrrev_b32_e32 v1, s10, v1
	v_mul_lo_u32 v1, v1, s8
	v_sub_u32_e32 v1, v3, v1
	v_mad_u64_u32 v[8:9], s[6:7], v1, s2, v[8:9]
	v_mad_u64_u32 v[10:11], s[2:3], v1, s3, v[10:11]
.LBB7_1119:
	s_and_b64 vcc, exec, s[0:1]
	v_add_u32_e32 v1, 0x100, v12
	s_cbranch_vccnz .LBB7_1126
; %bb.1120:
	s_mov_b32 s2, 0
	s_cmp_lg_u32 s33, 0
	v_mov_b32_e32 v12, 0
	s_waitcnt vmcnt(0)
	v_mov_b32_e32 v6, 0
	s_cbranch_scc0 .LBB7_1125
; %bb.1121:
	s_min_u32 s38, s76, 15
	s_add_i32 s38, s38, 1
	s_cmp_eq_u32 s76, 2
	s_cbranch_scc1 .LBB7_1127
; %bb.1122:
	s_add_u32 s6, s34, 0xc4
	s_addc_u32 s7, s35, 0
	s_and_b32 s2, s38, 28
	s_mov_b32 s3, 0
	v_mov_b32_e32 v6, 0
	s_mov_b64 s[36:37], s[34:35]
	v_mov_b32_e32 v3, v1
	v_mov_b32_e32 v12, 0
.LBB7_1123:                             ; =>This Inner Loop Header: Depth=1
	s_load_dwordx8 s[16:23], s[36:37], 0x4
	s_load_dwordx4 s[24:27], s[36:37], 0x24
	s_load_dwordx8 s[8:15], s[6:7], 0x0
	s_add_u32 s36, s36, 48
	s_addc_u32 s37, s37, 0
	s_waitcnt lgkmcnt(0)
	v_mul_hi_u32 v4, s17, v3
	v_add_u32_e32 v4, v3, v4
	v_lshrrev_b32_e32 v4, s18, v4
	v_mul_lo_u32 v5, v4, s16
	v_mul_hi_u32 v7, s20, v4
	v_sub_u32_e32 v3, v3, v5
	v_add_u32_e32 v5, v4, v7
	v_lshrrev_b32_e32 v5, s21, v5
	v_mul_lo_u32 v9, v5, s19
	v_mul_hi_u32 v11, s23, v5
	v_sub_u32_e32 v4, v4, v9
	v_add_u32_e32 v9, v5, v11
	v_mul_lo_u32 v7, v3, s9
	v_mul_lo_u32 v3, v3, s8
	;; [unrolled: 1-line block ×4, first 2 shown]
	v_lshrrev_b32_e32 v9, s24, v9
	v_add3_u32 v4, v3, v6, v4
	v_add3_u32 v6, v7, v12, v11
	v_mul_lo_u32 v3, v9, s22
	v_mul_hi_u32 v7, s26, v9
	v_sub_u32_e32 v3, v5, v3
	v_add_u32_e32 v5, v9, v7
	v_mul_lo_u32 v7, v3, s12
	v_mul_lo_u32 v11, v3, s13
	v_lshrrev_b32_e32 v3, s27, v5
	s_add_i32 s3, s3, 4
	v_mul_lo_u32 v5, v3, s25
	s_add_u32 s6, s6, 32
	v_sub_u32_e32 v5, v9, v5
	s_addc_u32 s7, s7, 0
	v_mul_lo_u32 v9, v5, s14
	v_mul_lo_u32 v5, v5, s15
	s_cmp_lg_u32 s2, s3
	v_add3_u32 v12, v11, v6, v5
	v_add3_u32 v6, v7, v4, v9
	s_cbranch_scc1 .LBB7_1123
; %bb.1124:
	v_mov_b32_e32 v7, v12
	s_and_b32 s8, s38, 3
	s_cmp_eq_u32 s8, 0
	s_cbranch_scc0 .LBB7_1128
.LBB7_1125:
	s_cbranch_execz .LBB7_1131
	s_branch .LBB7_1133
.LBB7_1126:
                                        ; implicit-def: $vgpr12
                                        ; implicit-def: $vgpr6
	s_branch .LBB7_1131
.LBB7_1127:
	s_mov_b32 s3, s2
	v_pk_mov_b32 v[6:7], s[2:3], s[2:3] op_sel:[0,1]
                                        ; implicit-def: $vgpr12
	v_mov_b32_e32 v3, v1
	s_and_b32 s8, s38, 3
	s_cmp_eq_u32 s8, 0
	s_cbranch_scc1 .LBB7_1125
.LBB7_1128:
	s_lshl_b32 s3, s2, 3
	s_add_u32 s3, s3, s34
	s_addc_u32 s7, 0, s35
	s_add_u32 s6, s3, 0xc4
	s_addc_u32 s7, s7, 0
	s_mul_i32 s2, s2, 12
	s_add_u32 s2, s34, s2
	s_addc_u32 s3, 0, s35
.LBB7_1129:                             ; =>This Inner Loop Header: Depth=1
	s_load_dwordx2 s[10:11], s[2:3], 0x4
	s_load_dword s9, s[2:3], 0xc
	s_load_dwordx2 s[12:13], s[6:7], 0x0
	s_add_u32 s2, s2, 12
	v_mov_b32_e32 v4, v7
	s_waitcnt lgkmcnt(0)
	v_mul_hi_u32 v5, s11, v3
	v_add_u32_e32 v5, v3, v5
	v_lshrrev_b32_e32 v5, s9, v5
	s_addc_u32 s3, s3, 0
	v_mul_lo_u32 v7, v5, s10
	s_add_u32 s6, s6, 8
	v_sub_u32_e32 v7, v3, v7
	s_addc_u32 s7, s7, 0
	s_add_i32 s8, s8, -1
	v_mov_b32_e32 v3, v5
	v_mad_u64_u32 v[4:5], s[10:11], v7, s13, v[4:5]
	v_mad_u64_u32 v[6:7], s[10:11], v7, s12, v[6:7]
	s_cmp_lg_u32 s8, 0
	v_mov_b32_e32 v7, v4
	s_cbranch_scc1 .LBB7_1129
; %bb.1130:
	v_mov_b32_e32 v12, v7
	s_cbranch_execnz .LBB7_1133
.LBB7_1131:
	s_load_dwordx4 s[8:11], s[34:35], 0x4
	s_load_dwordx2 s[2:3], s[34:35], 0xc4
	s_cmp_lt_u32 s33, 2
	s_waitcnt lgkmcnt(0)
	v_mul_hi_u32 v3, s9, v1
	v_add_u32_e32 v3, v1, v3
	v_lshrrev_b32_e32 v3, s10, v3
	s_waitcnt vmcnt(0)
	v_mul_lo_u32 v4, v3, s8
	v_sub_u32_e32 v1, v1, v4
	v_mul_lo_u32 v12, v1, s3
	v_mul_lo_u32 v6, v1, s2
	s_cbranch_scc1 .LBB7_1133
; %bb.1132:
	s_load_dwordx4 s[8:11], s[34:35], 0x10
	s_load_dwordx2 s[2:3], s[34:35], 0xcc
	s_waitcnt lgkmcnt(0)
	v_mul_hi_u32 v1, s9, v3
	v_add_u32_e32 v1, v3, v1
	v_lshrrev_b32_e32 v1, s10, v1
	v_mul_lo_u32 v1, v1, s8
	v_sub_u32_e32 v1, v3, v1
	v_mad_u64_u32 v[6:7], s[6:7], v1, s2, v[6:7]
	v_mad_u64_u32 v[12:13], s[2:3], v1, s3, v[12:13]
.LBB7_1133:
	s_and_b64 vcc, exec, s[0:1]
	s_cbranch_vccnz .LBB7_1140
; %bb.1134:
	s_mov_b32 s6, 0
	s_cmp_lg_u32 s33, 0
	v_mov_b32_e32 v14, 0
	s_waitcnt vmcnt(0)
	v_mov_b32_e32 v4, 0
	s_cbranch_scc0 .LBB7_1139
; %bb.1135:
	s_min_u32 s36, s76, 15
	s_add_i32 s36, s36, 1
	s_cmp_eq_u32 s76, 2
	s_cbranch_scc1 .LBB7_1141
; %bb.1136:
	s_add_u32 s24, s34, 0xc4
	s_addc_u32 s25, s35, 0
	s_and_b32 s6, s36, 28
	s_mov_b32 s7, 0
	v_mov_b32_e32 v4, 0
	s_mov_b64 s[26:27], s[34:35]
	v_mov_b32_e32 v1, v15
	v_mov_b32_e32 v14, 0
.LBB7_1137:                             ; =>This Inner Loop Header: Depth=1
	s_load_dwordx8 s[16:23], s[26:27], 0x4
	s_load_dwordx4 s[0:3], s[26:27], 0x24
	s_load_dwordx8 s[8:15], s[24:25], 0x0
	s_add_u32 s26, s26, 48
	s_addc_u32 s27, s27, 0
	s_waitcnt lgkmcnt(0)
	v_mul_hi_u32 v3, s17, v1
	v_add_u32_e32 v3, v1, v3
	v_lshrrev_b32_e32 v3, s18, v3
	v_mul_lo_u32 v5, v3, s16
	v_mul_hi_u32 v7, s20, v3
	v_sub_u32_e32 v1, v1, v5
	v_add_u32_e32 v5, v3, v7
	v_lshrrev_b32_e32 v5, s21, v5
	v_mul_lo_u32 v9, v5, s19
	v_mul_hi_u32 v11, s23, v5
	v_sub_u32_e32 v3, v3, v9
	v_add_u32_e32 v9, v5, v11
	v_mul_lo_u32 v7, v1, s9
	v_mul_lo_u32 v1, v1, s8
	;; [unrolled: 1-line block ×4, first 2 shown]
	v_lshrrev_b32_e32 v9, s0, v9
	v_add3_u32 v3, v1, v4, v3
	v_add3_u32 v4, v7, v14, v11
	v_mul_lo_u32 v1, v9, s22
	v_mul_hi_u32 v7, s2, v9
	v_sub_u32_e32 v1, v5, v1
	v_add_u32_e32 v5, v9, v7
	v_mul_lo_u32 v7, v1, s12
	v_mul_lo_u32 v11, v1, s13
	v_lshrrev_b32_e32 v1, s3, v5
	s_add_i32 s7, s7, 4
	v_mul_lo_u32 v5, v1, s1
	s_add_u32 s24, s24, 32
	v_sub_u32_e32 v5, v9, v5
	s_addc_u32 s25, s25, 0
	v_mul_lo_u32 v9, v5, s14
	v_mul_lo_u32 v5, v5, s15
	s_cmp_lg_u32 s6, s7
	v_add3_u32 v14, v11, v4, v5
	v_add3_u32 v4, v7, v3, v9
	s_cbranch_scc1 .LBB7_1137
; %bb.1138:
	v_mov_b32_e32 v5, v14
	s_and_b32 s7, s36, 3
	s_cmp_eq_u32 s7, 0
	s_cbranch_scc0 .LBB7_1142
.LBB7_1139:
	s_cbranch_execz .LBB7_1145
	s_branch .LBB7_1147
.LBB7_1140:
                                        ; implicit-def: $vgpr14
                                        ; implicit-def: $vgpr4
	s_branch .LBB7_1145
.LBB7_1141:
	s_mov_b32 s7, s6
	v_pk_mov_b32 v[4:5], s[6:7], s[6:7] op_sel:[0,1]
                                        ; implicit-def: $vgpr14
	v_mov_b32_e32 v1, v15
	s_and_b32 s7, s36, 3
	s_cmp_eq_u32 s7, 0
	s_cbranch_scc1 .LBB7_1139
.LBB7_1142:
	s_lshl_b32 s0, s6, 3
	s_add_u32 s0, s0, s34
	s_addc_u32 s1, 0, s35
	s_add_u32 s0, s0, 0xc4
	s_addc_u32 s1, s1, 0
	s_mul_i32 s2, s6, 12
	s_add_u32 s2, s34, s2
	s_addc_u32 s3, 0, s35
.LBB7_1143:                             ; =>This Inner Loop Header: Depth=1
	s_load_dwordx2 s[8:9], s[2:3], 0x4
	s_load_dword s6, s[2:3], 0xc
	s_load_dwordx2 s[10:11], s[0:1], 0x0
	s_add_u32 s2, s2, 12
	v_mov_b32_e32 v14, v5
	s_waitcnt lgkmcnt(0)
	v_mul_hi_u32 v3, s9, v1
	v_add_u32_e32 v3, v1, v3
	v_lshrrev_b32_e32 v3, s6, v3
	s_addc_u32 s3, s3, 0
	v_mul_lo_u32 v5, v3, s8
	s_add_u32 s0, s0, 8
	v_sub_u32_e32 v5, v1, v5
	s_addc_u32 s1, s1, 0
	s_add_i32 s7, s7, -1
	v_mad_u64_u32 v[16:17], s[8:9], v5, s11, v[14:15]
	v_mad_u64_u32 v[4:5], s[8:9], v5, s10, v[4:5]
	s_cmp_lg_u32 s7, 0
	v_mov_b32_e32 v1, v3
	v_mov_b32_e32 v5, v16
	s_cbranch_scc1 .LBB7_1143
; %bb.1144:
	v_mov_b32_e32 v14, v5
	s_cbranch_execnz .LBB7_1147
.LBB7_1145:
	s_load_dwordx4 s[0:3], s[34:35], 0x4
	s_load_dwordx2 s[6:7], s[34:35], 0xc4
	s_cmp_lt_u32 s33, 2
	s_waitcnt lgkmcnt(0)
	v_mul_hi_u32 v1, s1, v15
	v_add_u32_e32 v1, v15, v1
	v_lshrrev_b32_e32 v1, s2, v1
	v_mul_lo_u32 v3, v1, s0
	v_sub_u32_e32 v3, v15, v3
	v_mul_lo_u32 v14, v3, s7
	s_waitcnt vmcnt(0)
	v_mul_lo_u32 v4, v3, s6
	s_cbranch_scc1 .LBB7_1147
; %bb.1146:
	s_load_dwordx4 s[0:3], s[34:35], 0x10
	s_load_dwordx2 s[6:7], s[34:35], 0xcc
	s_waitcnt lgkmcnt(0)
	v_mul_hi_u32 v3, s1, v1
	v_add_u32_e32 v3, v1, v3
	v_lshrrev_b32_e32 v3, s2, v3
	v_mul_lo_u32 v3, v3, s0
	v_sub_u32_e32 v1, v1, v3
	v_mad_u64_u32 v[4:5], s[0:1], v1, s6, v[4:5]
	v_mad_u64_u32 v[14:15], s[0:1], v1, s7, v[14:15]
.LBB7_1147:
	s_load_dword s0, s[4:5], 0x168
	s_load_dwordx4 s[8:11], s[34:35], 0x148
	s_waitcnt lgkmcnt(0)
	s_lshr_b32 s18, s0, 8
	v_mov_b32_e32 v1, s11
	v_add_co_u32_e32 v16, vcc, s10, v0
	v_mov_b32_e32 v0, 11
	v_addc_co_u32_e32 v17, vcc, 0, v1, vcc
	v_cmp_lt_i16_sdwa s[0:1], s18, v0 src0_sel:BYTE_0 src1_sel:DWORD
	s_and_b64 vcc, exec, s[0:1]
	s_cbranch_vccnz .LBB7_1154
; %bb.1148:
	v_mov_b32_e32 v0, 25
	v_cmp_gt_i16_sdwa s[0:1], s18, v0 src0_sel:BYTE_0 src1_sel:DWORD
	s_mov_b64 s[4:5], 0
	s_and_b64 vcc, exec, s[0:1]
	s_cbranch_vccz .LBB7_1156
; %bb.1149:
	v_mov_b32_e32 v0, 28
	v_cmp_gt_i16_sdwa s[0:1], s18, v0 src0_sel:BYTE_0 src1_sel:DWORD
	s_and_b64 vcc, exec, s[0:1]
	s_cbranch_vccz .LBB7_1157
; %bb.1150:
	v_mov_b32_e32 v0, 43
	v_cmp_gt_i16_sdwa s[0:1], s18, v0 src0_sel:BYTE_0 src1_sel:DWORD
	;; [unrolled: 5-line block ×3, first 2 shown]
	s_and_b64 vcc, exec, s[0:1]
	s_cbranch_vccz .LBB7_1159
; %bb.1152:
	v_mov_b32_e32 v0, 46
	v_cmp_eq_u16_sdwa s[0:1], s18, v0 src0_sel:BYTE_0 src1_sel:DWORD
	s_mov_b64 s[2:3], 0
	s_and_b64 vcc, exec, s[0:1]
	s_cbranch_vccz .LBB7_1162
; %bb.1153:
	global_load_dword v0, v[16:17], off
	s_mov_b64 s[0:1], 0
	s_mov_b64 s[6:7], -1
	s_waitcnt vmcnt(0)
	v_lshlrev_b32_e32 v0, 16, v0
	v_cvt_f64_f32_e32 v[0:1], v0
	s_branch .LBB7_1163
.LBB7_1154:
	s_mov_b64 s[6:7], 0
                                        ; implicit-def: $vgpr0_vgpr1
	s_mov_b64 s[2:3], s[28:29]
	s_cbranch_execnz .LBB7_1226
.LBB7_1155:
	s_andn2_b64 vcc, exec, s[6:7]
	s_cbranch_vccz .LBB7_1271
	s_branch .LBB7_2044
.LBB7_1156:
	s_mov_b64 s[6:7], 0
	s_mov_b64 s[0:1], 0
                                        ; implicit-def: $vgpr0_vgpr1
	s_cbranch_execnz .LBB7_1191
	s_branch .LBB7_1222
.LBB7_1157:
	s_mov_b64 s[2:3], -1
	s_mov_b64 s[6:7], 0
	s_mov_b64 s[0:1], 0
                                        ; implicit-def: $vgpr0_vgpr1
	s_branch .LBB7_1172
.LBB7_1158:
	s_mov_b64 s[6:7], 0
	s_mov_b64 s[0:1], 0
                                        ; implicit-def: $vgpr0_vgpr1
	s_cbranch_execnz .LBB7_1168
	s_branch .LBB7_1171
.LBB7_1159:
	s_mov_b64 s[2:3], -1
	s_mov_b64 s[6:7], 0
	s_mov_b64 s[0:1], 0
                                        ; implicit-def: $vgpr0_vgpr1
	s_branch .LBB7_1163
.LBB7_1160:
	s_or_saveexec_b64 s[14:15], s[14:15]
                                        ; implicit-def: $sgpr16
	s_xor_b64 exec, exec, s[14:15]
	s_cbranch_execz .LBB7_999
.LBB7_1161:
	s_mov_b32 s16, 0x46000000
	v_add_f32_e64 v3, |v2|, s16
	v_and_b32_e32 v3, 0xff, v3
	v_cmp_ne_u32_e32 vcc, 0, v3
	s_andn2_b64 s[12:13], s[12:13], exec
	s_and_b64 s[18:19], vcc, exec
	s_mov_b32 s16, 0
	s_or_b64 s[12:13], s[12:13], s[18:19]
	s_or_b64 exec, exec, s[14:15]
	v_mov_b32_e32 v6, s16
	s_and_saveexec_b64 s[14:15], s[12:13]
	s_cbranch_execnz .LBB7_1000
	s_branch .LBB7_1001
.LBB7_1162:
	s_mov_b64 s[0:1], -1
                                        ; implicit-def: $vgpr0_vgpr1
	s_mov_b64 s[6:7], 0
.LBB7_1163:
	s_and_b64 vcc, exec, s[2:3]
	s_cbranch_vccz .LBB7_1166
; %bb.1164:
	v_mov_b32_e32 v0, 44
	v_cmp_eq_u16_sdwa s[0:1], s18, v0 src0_sel:BYTE_0 src1_sel:DWORD
	s_and_b64 vcc, exec, s[0:1]
	s_cbranch_vccz .LBB7_1167
; %bb.1165:
	global_load_ubyte v3, v[16:17], off
	s_movk_i32 s2, 0xff
	s_waitcnt vmcnt(1)
	v_bfrev_b32_e32 v5, 4
	v_mov_b32_e32 v7, 0x7ff80000
	v_bfrev_b32_e32 v9, 28
	s_mov_b64 s[0:1], 0
	s_mov_b64 s[6:7], -1
	s_waitcnt vmcnt(0)
	v_lshlrev_b32_e32 v0, 23, v3
	v_cvt_f64_f32_e32 v[0:1], v0
	v_cmp_ne_u32_e32 vcc, s2, v3
	v_cndmask_b32_e32 v0, v5, v0, vcc
	v_cndmask_b32_e32 v1, v7, v1, vcc
	v_cmp_ne_u32_e32 vcc, 0, v3
	v_cndmask_b32_e32 v1, v9, v1, vcc
	v_cndmask_b32_e32 v0, 0, v0, vcc
.LBB7_1166:
	s_branch .LBB7_1171
.LBB7_1167:
	s_mov_b64 s[0:1], -1
                                        ; implicit-def: $vgpr0_vgpr1
	s_branch .LBB7_1171
.LBB7_1168:
	v_mov_b32_e32 v0, 29
	v_cmp_eq_u16_sdwa s[0:1], s18, v0 src0_sel:BYTE_0 src1_sel:DWORD
	s_and_b64 vcc, exec, s[0:1]
	s_cbranch_vccz .LBB7_1170
; %bb.1169:
	global_load_dwordx2 v[0:1], v[16:17], off
	s_mov_b64 s[0:1], 0
	s_mov_b64 s[6:7], -1
	s_mov_b64 s[2:3], 0
	s_waitcnt vmcnt(0)
	v_cvt_f64_u32_e32 v[18:19], v1
	v_cvt_f64_u32_e32 v[0:1], v0
	v_ldexp_f64 v[18:19], v[18:19], 32
	v_add_f64 v[0:1], v[18:19], v[0:1]
	s_branch .LBB7_1172
.LBB7_1170:
	s_mov_b64 s[0:1], -1
                                        ; implicit-def: $vgpr0_vgpr1
.LBB7_1171:
	s_mov_b64 s[2:3], 0
.LBB7_1172:
	s_and_b64 vcc, exec, s[2:3]
	s_cbranch_vccz .LBB7_1190
; %bb.1173:
	v_mov_b32_e32 v0, 27
	v_cmp_lt_i16_sdwa s[2:3], s18, v0 src0_sel:BYTE_0 src1_sel:DWORD
	s_and_b64 vcc, exec, s[2:3]
	s_cbranch_vccnz .LBB7_1176
; %bb.1174:
	v_cmp_gt_i16_sdwa s[2:3], s18, v0 src0_sel:BYTE_0 src1_sel:DWORD
	s_and_b64 vcc, exec, s[2:3]
	s_cbranch_vccz .LBB7_1177
; %bb.1175:
	global_load_dword v0, v[16:17], off
	s_mov_b64 s[2:3], 0
	s_waitcnt vmcnt(0)
	v_cvt_f64_u32_e32 v[0:1], v0
	s_branch .LBB7_1178
.LBB7_1176:
	s_mov_b64 s[2:3], -1
                                        ; implicit-def: $vgpr0_vgpr1
	s_branch .LBB7_1181
.LBB7_1177:
	s_mov_b64 s[2:3], -1
                                        ; implicit-def: $vgpr0_vgpr1
.LBB7_1178:
	s_andn2_b64 vcc, exec, s[2:3]
	s_cbranch_vccnz .LBB7_1180
; %bb.1179:
	global_load_ushort v0, v[16:17], off
	s_waitcnt vmcnt(0)
	v_cvt_f64_u32_e32 v[0:1], v0
.LBB7_1180:
	s_mov_b64 s[2:3], 0
.LBB7_1181:
	s_andn2_b64 vcc, exec, s[2:3]
	s_cbranch_vccnz .LBB7_1189
; %bb.1182:
	global_load_ubyte v3, v[16:17], off
	s_movk_i32 s2, 0x7f
                                        ; implicit-def: $sgpr6_sgpr7
	s_waitcnt vmcnt(0)
	v_cmp_lt_i16_e32 vcc, s2, v3
	s_mov_b64 s[2:3], 0
	s_and_saveexec_b64 s[12:13], vcc
	s_xor_b64 s[12:13], exec, s[12:13]
	s_cbranch_execz .LBB7_1202
; %bb.1183:
	s_movk_i32 s2, 0x80
	v_cmp_eq_u16_e32 vcc, s2, v3
	s_mov_b64 s[14:15], -1
                                        ; implicit-def: $sgpr6_sgpr7
	s_and_saveexec_b64 s[2:3], vcc
; %bb.1184:
	s_mov_b32 s7, 0x7ff80000
	s_brev_b32 s6, 4
	s_xor_b64 s[14:15], exec, -1
; %bb.1185:
	s_or_b64 exec, exec, s[2:3]
	s_and_b64 s[2:3], s[14:15], exec
	s_or_saveexec_b64 s[12:13], s[12:13]
	v_pk_mov_b32 v[0:1], s[6:7], s[6:7] op_sel:[0,1]
	s_xor_b64 exec, exec, s[12:13]
	s_cbranch_execnz .LBB7_1203
.LBB7_1186:
	s_or_b64 exec, exec, s[12:13]
	s_and_saveexec_b64 s[6:7], s[2:3]
	s_cbranch_execz .LBB7_1188
.LBB7_1187:
	v_and_b32_e32 v1, 0xffff, v3
	v_lshlrev_b32_e32 v0, 24, v3
	v_and_b32_e32 v3, 7, v1
	v_ffbh_u32_e32 v7, v3
	v_min_u32_e32 v7, 32, v7
	v_subrev_u32_e32 v9, 28, v7
	v_bfe_u32 v5, v1, 3, 4
	v_lshlrev_b32_e32 v1, v9, v1
	v_sub_u32_e32 v7, 29, v7
	v_and_b32_e32 v1, 7, v1
	v_cmp_eq_u32_e32 vcc, 0, v5
	v_cndmask_b32_e32 v5, v5, v7, vcc
	v_cndmask_b32_e32 v1, v3, v1, vcc
	v_mov_b32_e32 v3, 0x3b800000
	v_lshlrev_b32_e32 v1, 20, v1
	v_and_b32_e32 v0, 0x80000000, v0
	v_lshl_add_u32 v3, v5, 23, v3
	v_or3_b32 v0, v0, v3, v1
	v_cvt_f64_f32_e32 v[0:1], v0
.LBB7_1188:
	s_or_b64 exec, exec, s[6:7]
.LBB7_1189:
	s_mov_b64 s[6:7], -1
.LBB7_1190:
	s_branch .LBB7_1222
.LBB7_1191:
	v_mov_b32_e32 v0, 22
	v_cmp_gt_i16_sdwa s[2:3], s18, v0 src0_sel:BYTE_0 src1_sel:DWORD
	s_and_b64 vcc, exec, s[2:3]
	s_cbranch_vccz .LBB7_1201
; %bb.1192:
	v_mov_b32_e32 v0, 24
	v_cmp_lt_i16_sdwa s[2:3], s18, v0 src0_sel:BYTE_0 src1_sel:DWORD
	s_and_b64 vcc, exec, s[2:3]
	s_cbranch_vccnz .LBB7_1204
; %bb.1193:
	v_cmp_gt_i16_sdwa s[2:3], s18, v0 src0_sel:BYTE_0 src1_sel:DWORD
	s_and_b64 vcc, exec, s[2:3]
	s_cbranch_vccz .LBB7_1205
; %bb.1194:
	global_load_ubyte v3, v[16:17], off
	s_movk_i32 s2, 0x7f
                                        ; implicit-def: $sgpr4_sgpr5
	s_waitcnt vmcnt(0)
	v_cmp_lt_i16_e32 vcc, s2, v3
	s_mov_b64 s[2:3], 0
	s_and_saveexec_b64 s[6:7], vcc
	s_xor_b64 s[6:7], exec, s[6:7]
	s_cbranch_execz .LBB7_1216
; %bb.1195:
	s_movk_i32 s2, 0x80
	v_cmp_eq_u16_e32 vcc, s2, v3
	s_mov_b64 s[12:13], -1
                                        ; implicit-def: $sgpr4_sgpr5
	s_and_saveexec_b64 s[2:3], vcc
; %bb.1196:
	s_mov_b32 s5, 0x7ff80000
	s_brev_b32 s4, 4
	s_xor_b64 s[12:13], exec, -1
; %bb.1197:
	s_or_b64 exec, exec, s[2:3]
	s_and_b64 s[2:3], s[12:13], exec
	s_or_saveexec_b64 s[6:7], s[6:7]
	v_pk_mov_b32 v[0:1], s[4:5], s[4:5] op_sel:[0,1]
	s_xor_b64 exec, exec, s[6:7]
	s_cbranch_execnz .LBB7_1217
.LBB7_1198:
	s_or_b64 exec, exec, s[6:7]
	s_and_saveexec_b64 s[4:5], s[2:3]
	s_cbranch_execz .LBB7_1200
.LBB7_1199:
	v_and_b32_e32 v1, 0xffff, v3
	v_lshlrev_b32_e32 v0, 24, v3
	v_and_b32_e32 v3, 3, v1
	v_ffbh_u32_e32 v7, v3
	v_min_u32_e32 v7, 32, v7
	v_subrev_u32_e32 v9, 29, v7
	v_bfe_u32 v5, v1, 2, 5
	v_lshlrev_b32_e32 v1, v9, v1
	v_sub_u32_e32 v7, 30, v7
	v_and_b32_e32 v1, 3, v1
	v_cmp_eq_u32_e32 vcc, 0, v5
	v_cndmask_b32_e32 v5, v5, v7, vcc
	v_cndmask_b32_e32 v1, v3, v1, vcc
	v_mov_b32_e32 v3, 0x37800000
	v_lshlrev_b32_e32 v1, 21, v1
	v_and_b32_e32 v0, 0x80000000, v0
	v_lshl_add_u32 v3, v5, 23, v3
	v_or3_b32 v0, v0, v3, v1
	v_cvt_f64_f32_e32 v[0:1], v0
.LBB7_1200:
	s_or_b64 exec, exec, s[4:5]
	s_mov_b64 s[2:3], 0
	s_branch .LBB7_1206
.LBB7_1201:
                                        ; implicit-def: $vgpr0_vgpr1
	s_mov_b64 s[4:5], 0
	s_branch .LBB7_1212
.LBB7_1202:
	s_or_saveexec_b64 s[12:13], s[12:13]
	v_pk_mov_b32 v[0:1], s[6:7], s[6:7] op_sel:[0,1]
	s_xor_b64 exec, exec, s[12:13]
	s_cbranch_execz .LBB7_1186
.LBB7_1203:
	v_cmp_ne_u16_e32 vcc, 0, v3
	s_andn2_b64 s[2:3], s[2:3], exec
	s_and_b64 s[6:7], vcc, exec
	v_pk_mov_b32 v[0:1], 0, 0
	s_or_b64 s[2:3], s[2:3], s[6:7]
	s_or_b64 exec, exec, s[12:13]
	s_and_saveexec_b64 s[6:7], s[2:3]
	s_cbranch_execnz .LBB7_1187
	s_branch .LBB7_1188
.LBB7_1204:
	s_mov_b64 s[2:3], -1
                                        ; implicit-def: $vgpr0_vgpr1
	s_branch .LBB7_1209
.LBB7_1205:
	s_mov_b64 s[2:3], -1
                                        ; implicit-def: $vgpr0_vgpr1
.LBB7_1206:
	s_and_b64 vcc, exec, s[2:3]
	s_cbranch_vccz .LBB7_1208
; %bb.1207:
	global_load_ubyte v0, v[16:17], off
	s_mov_b32 s2, 0x7f800000
	s_waitcnt vmcnt(0)
	v_lshlrev_b32_e32 v0, 24, v0
	v_and_b32_e32 v1, 0x7f000000, v0
	v_ffbh_u32_e32 v3, v1
	v_min_u32_e32 v3, 32, v3
	v_sub_u32_e64 v3, v3, 4 clamp
	v_lshlrev_b32_e32 v7, v3, v1
	v_lshlrev_b32_e32 v3, 23, v3
	v_lshrrev_b32_e32 v7, 4, v7
	v_add_u32_e32 v5, 0x1000000, v1
	v_sub_u32_e32 v3, v7, v3
	v_ashrrev_i32_e32 v5, 8, v5
	v_add_u32_e32 v3, 0x3c000000, v3
	v_and_or_b32 v3, v5, s2, v3
	v_cmp_ne_u32_e32 vcc, 0, v1
	v_cndmask_b32_e32 v1, 0, v3, vcc
	s_brev_b32 s2, 1
	v_and_or_b32 v0, v0, s2, v1
	v_cvt_f64_f32_e32 v[0:1], v0
.LBB7_1208:
	s_mov_b64 s[2:3], 0
.LBB7_1209:
	s_andn2_b64 vcc, exec, s[2:3]
	s_cbranch_vccnz .LBB7_1211
; %bb.1210:
	global_load_ubyte v0, v[16:17], off
	s_movk_i32 s2, 0x7f00
	s_brev_b32 s3, 16
	s_waitcnt vmcnt(0)
	v_lshlrev_b16_e32 v1, 8, v0
	v_lshlrev_b32_e32 v0, 25, v0
	v_lshrrev_b32_e32 v3, 4, v0
	v_and_or_b32 v5, v1, s2, 0.5
	v_or_b32_e32 v3, 0x70000000, v3
	v_add_f32_e32 v5, -0.5, v5
	v_mul_f32_e32 v3, 0x7800000, v3
	v_cmp_gt_u32_e32 vcc, s3, v0
	v_bfe_i32 v1, v1, 0, 16
	v_cndmask_b32_e32 v0, v3, v5, vcc
	s_brev_b32 s2, 1
	v_and_or_b32 v0, v1, s2, v0
	v_cvt_f64_f32_e32 v[0:1], v0
.LBB7_1211:
	s_mov_b64 s[6:7], -1
	s_mov_b64 s[4:5], 0
	s_cbranch_execnz .LBB7_1222
.LBB7_1212:
	v_mov_b32_e32 v0, 14
	v_cmp_gt_i16_sdwa s[2:3], s18, v0 src0_sel:BYTE_0 src1_sel:DWORD
	s_and_b64 vcc, exec, s[2:3]
	s_cbranch_vccz .LBB7_1215
; %bb.1213:
	v_mov_b32_e32 v0, 15
	v_cmp_eq_u16_sdwa s[0:1], s18, v0 src0_sel:BYTE_0 src1_sel:DWORD
	s_and_b64 vcc, exec, s[0:1]
	s_cbranch_vccz .LBB7_1218
; %bb.1214:
	global_load_ushort v0, v[16:17], off
	s_mov_b64 s[0:1], 0
	s_mov_b64 s[6:7], -1
	s_waitcnt vmcnt(0)
	v_lshlrev_b32_e32 v0, 16, v0
	v_cvt_f64_f32_e32 v[0:1], v0
	s_branch .LBB7_1219
.LBB7_1215:
	s_mov_b64 s[2:3], -1
                                        ; implicit-def: $vgpr0_vgpr1
	s_branch .LBB7_1220
.LBB7_1216:
	s_or_saveexec_b64 s[6:7], s[6:7]
	v_pk_mov_b32 v[0:1], s[4:5], s[4:5] op_sel:[0,1]
	s_xor_b64 exec, exec, s[6:7]
	s_cbranch_execz .LBB7_1198
.LBB7_1217:
	v_cmp_ne_u16_e32 vcc, 0, v3
	s_andn2_b64 s[2:3], s[2:3], exec
	s_and_b64 s[4:5], vcc, exec
	v_pk_mov_b32 v[0:1], 0, 0
	s_or_b64 s[2:3], s[2:3], s[4:5]
	s_or_b64 exec, exec, s[6:7]
	s_and_saveexec_b64 s[4:5], s[2:3]
	s_cbranch_execnz .LBB7_1199
	s_branch .LBB7_1200
.LBB7_1218:
	s_mov_b64 s[0:1], -1
                                        ; implicit-def: $vgpr0_vgpr1
.LBB7_1219:
	s_mov_b64 s[2:3], 0
.LBB7_1220:
	s_and_b64 vcc, exec, s[2:3]
	s_cbranch_vccz .LBB7_1222
; %bb.1221:
	v_mov_b32_e32 v0, 11
	v_cmp_ne_u16_sdwa s[0:1], s18, v0 src0_sel:BYTE_0 src1_sel:DWORD
	s_mov_b64 s[4:5], -1
                                        ; implicit-def: $vgpr0_vgpr1
.LBB7_1222:
	s_and_b64 vcc, exec, s[0:1]
	s_mov_b64 s[2:3], s[28:29]
	s_cbranch_vccnz .LBB7_1283
; %bb.1223:
	s_andn2_b64 vcc, exec, s[4:5]
	s_cbranch_vccnz .LBB7_1225
.LBB7_1224:
	global_load_ubyte v1, v[16:17], off
	v_mov_b32_e32 v3, 0x3ff00000
	v_mov_b32_e32 v0, 0
	s_mov_b64 s[6:7], -1
	s_waitcnt vmcnt(0)
	v_cmp_ne_u16_e32 vcc, 0, v1
	v_cndmask_b32_e32 v1, 0, v3, vcc
.LBB7_1225:
	s_branch .LBB7_1155
.LBB7_1226:
	v_mov_b32_e32 v0, 5
	v_cmp_lt_i16_sdwa s[0:1], s18, v0 src0_sel:BYTE_0 src1_sel:DWORD
	s_and_b64 vcc, exec, s[0:1]
	s_cbranch_vccnz .LBB7_1231
; %bb.1227:
	v_mov_b32_e32 v0, 8
	v_cmp_lt_i16_sdwa s[0:1], s18, v0 src0_sel:BYTE_0 src1_sel:DWORD
	s_and_b64 vcc, exec, s[0:1]
	s_cbranch_vccnz .LBB7_1232
; %bb.1228:
	;; [unrolled: 5-line block ×3, first 2 shown]
	v_cmp_gt_i16_sdwa s[0:1], s18, v0 src0_sel:BYTE_0 src1_sel:DWORD
	s_and_b64 vcc, exec, s[0:1]
	s_cbranch_vccz .LBB7_1234
; %bb.1230:
	global_load_dwordx2 v[0:1], v[16:17], off
	s_mov_b64 s[0:1], 0
	s_branch .LBB7_1235
.LBB7_1231:
                                        ; implicit-def: $vgpr0_vgpr1
	s_branch .LBB7_1252
.LBB7_1232:
                                        ; implicit-def: $vgpr0_vgpr1
	s_branch .LBB7_1241
.LBB7_1233:
	s_mov_b64 s[0:1], -1
                                        ; implicit-def: $vgpr0_vgpr1
	s_branch .LBB7_1238
.LBB7_1234:
	s_mov_b64 s[0:1], -1
                                        ; implicit-def: $vgpr0_vgpr1
.LBB7_1235:
	s_andn2_b64 vcc, exec, s[0:1]
	s_cbranch_vccnz .LBB7_1237
; %bb.1236:
	global_load_dword v0, v[16:17], off
	s_waitcnt vmcnt(0)
	v_cvt_f64_f32_e32 v[0:1], v0
.LBB7_1237:
	s_mov_b64 s[0:1], 0
.LBB7_1238:
	s_andn2_b64 vcc, exec, s[0:1]
	s_cbranch_vccnz .LBB7_1240
; %bb.1239:
	global_load_dword v0, v[16:17], off
	s_waitcnt vmcnt(0)
	v_cvt_f32_f16_e32 v0, v0
	v_cvt_f64_f32_e32 v[0:1], v0
.LBB7_1240:
	s_cbranch_execnz .LBB7_1251
.LBB7_1241:
	s_waitcnt vmcnt(0)
	v_mov_b32_e32 v0, 6
	v_cmp_lt_i16_sdwa s[0:1], s18, v0 src0_sel:BYTE_0 src1_sel:DWORD
	s_and_b64 vcc, exec, s[0:1]
	s_cbranch_vccnz .LBB7_1244
; %bb.1242:
	v_cmp_gt_i16_sdwa s[0:1], s18, v0 src0_sel:BYTE_0 src1_sel:DWORD
	s_and_b64 vcc, exec, s[0:1]
	s_cbranch_vccz .LBB7_1245
; %bb.1243:
	global_load_dwordx2 v[0:1], v[16:17], off
	s_mov_b64 s[0:1], 0
	s_branch .LBB7_1246
.LBB7_1244:
	s_mov_b64 s[0:1], -1
                                        ; implicit-def: $vgpr0_vgpr1
	s_branch .LBB7_1249
.LBB7_1245:
	s_mov_b64 s[0:1], -1
                                        ; implicit-def: $vgpr0_vgpr1
.LBB7_1246:
	s_andn2_b64 vcc, exec, s[0:1]
	s_cbranch_vccnz .LBB7_1248
; %bb.1247:
	global_load_dword v0, v[16:17], off
	s_waitcnt vmcnt(0)
	v_cvt_f64_f32_e32 v[0:1], v0
.LBB7_1248:
	s_mov_b64 s[0:1], 0
.LBB7_1249:
	s_andn2_b64 vcc, exec, s[0:1]
	s_cbranch_vccnz .LBB7_1251
; %bb.1250:
	global_load_ushort v0, v[16:17], off
	s_waitcnt vmcnt(0)
	v_cvt_f32_f16_e32 v0, v0
	v_cvt_f64_f32_e32 v[0:1], v0
.LBB7_1251:
	s_cbranch_execnz .LBB7_1270
.LBB7_1252:
	s_waitcnt vmcnt(0)
	v_mov_b32_e32 v0, 2
	v_cmp_lt_i16_sdwa s[0:1], s18, v0 src0_sel:BYTE_0 src1_sel:DWORD
	s_and_b64 vcc, exec, s[0:1]
	s_cbranch_vccnz .LBB7_1256
; %bb.1253:
	v_mov_b32_e32 v0, 3
	v_cmp_lt_i16_sdwa s[0:1], s18, v0 src0_sel:BYTE_0 src1_sel:DWORD
	s_and_b64 vcc, exec, s[0:1]
	s_cbranch_vccnz .LBB7_1257
; %bb.1254:
	v_cmp_gt_i16_sdwa s[0:1], s18, v0 src0_sel:BYTE_0 src1_sel:DWORD
	s_and_b64 vcc, exec, s[0:1]
	s_cbranch_vccz .LBB7_1258
; %bb.1255:
	global_load_dwordx2 v[0:1], v[16:17], off
	s_mov_b64 s[0:1], 0
	s_waitcnt vmcnt(0)
	v_cvt_f64_i32_e32 v[18:19], v1
	v_cvt_f64_u32_e32 v[0:1], v0
	v_ldexp_f64 v[18:19], v[18:19], 32
	v_add_f64 v[0:1], v[18:19], v[0:1]
	s_branch .LBB7_1259
.LBB7_1256:
                                        ; implicit-def: $vgpr0_vgpr1
	s_branch .LBB7_1265
.LBB7_1257:
	s_mov_b64 s[0:1], -1
                                        ; implicit-def: $vgpr0_vgpr1
	s_branch .LBB7_1262
.LBB7_1258:
	s_mov_b64 s[0:1], -1
                                        ; implicit-def: $vgpr0_vgpr1
.LBB7_1259:
	s_andn2_b64 vcc, exec, s[0:1]
	s_cbranch_vccnz .LBB7_1261
; %bb.1260:
	global_load_dword v0, v[16:17], off
	s_waitcnt vmcnt(0)
	v_cvt_f64_i32_e32 v[0:1], v0
.LBB7_1261:
	s_mov_b64 s[0:1], 0
.LBB7_1262:
	s_andn2_b64 vcc, exec, s[0:1]
	s_cbranch_vccnz .LBB7_1264
; %bb.1263:
	global_load_sshort v0, v[16:17], off
	s_waitcnt vmcnt(0)
	v_cvt_f64_i32_e32 v[0:1], v0
.LBB7_1264:
	s_cbranch_execnz .LBB7_1270
.LBB7_1265:
	v_mov_b32_e32 v0, 0
	v_cmp_gt_i16_sdwa s[0:1], s18, v0 src0_sel:BYTE_0 src1_sel:DWORD
	s_and_b64 vcc, exec, s[0:1]
	s_cbranch_vccz .LBB7_1267
; %bb.1266:
	global_load_sbyte v0, v[16:17], off
	s_mov_b64 s[0:1], 0
	s_waitcnt vmcnt(0)
	v_cvt_f64_i32_e32 v[0:1], v0
	s_branch .LBB7_1268
.LBB7_1267:
	s_mov_b64 s[0:1], -1
                                        ; implicit-def: $vgpr0_vgpr1
.LBB7_1268:
	s_andn2_b64 vcc, exec, s[0:1]
	s_cbranch_vccnz .LBB7_1270
; %bb.1269:
	global_load_ubyte v0, v[16:17], off
	s_waitcnt vmcnt(0)
	v_cvt_f64_u32_e32 v[0:1], v0
.LBB7_1270:
.LBB7_1271:
	v_mov_b32_e32 v3, s11
	v_add_co_u32_e32 v16, vcc, s10, v10
	v_addc_co_u32_e32 v17, vcc, 0, v3, vcc
	v_mov_b32_e32 v3, 11
	v_cmp_lt_i16_sdwa s[0:1], s18, v3 src0_sel:BYTE_0 src1_sel:DWORD
	s_and_b64 vcc, exec, s[0:1]
	s_cbranch_vccnz .LBB7_1278
; %bb.1272:
	v_mov_b32_e32 v3, 25
	v_cmp_gt_i16_sdwa s[0:1], s18, v3 src0_sel:BYTE_0 src1_sel:DWORD
	s_mov_b64 s[4:5], 0
	s_and_b64 vcc, exec, s[0:1]
	s_cbranch_vccz .LBB7_1280
; %bb.1273:
	v_mov_b32_e32 v3, 28
	v_cmp_gt_i16_sdwa s[0:1], s18, v3 src0_sel:BYTE_0 src1_sel:DWORD
	s_and_b64 vcc, exec, s[0:1]
	s_cbranch_vccz .LBB7_1281
; %bb.1274:
	v_mov_b32_e32 v3, 43
	v_cmp_gt_i16_sdwa s[0:1], s18, v3 src0_sel:BYTE_0 src1_sel:DWORD
	;; [unrolled: 5-line block ×3, first 2 shown]
	s_and_b64 vcc, exec, s[0:1]
	s_cbranch_vccz .LBB7_1284
; %bb.1276:
	v_mov_b32_e32 v3, 46
	v_cmp_eq_u16_sdwa s[0:1], s18, v3 src0_sel:BYTE_0 src1_sel:DWORD
	s_mov_b64 s[12:13], 0
	s_and_b64 vcc, exec, s[0:1]
	s_cbranch_vccz .LBB7_1287
; %bb.1277:
	global_load_dword v3, v[16:17], off
	s_mov_b64 s[0:1], 0
	s_mov_b64 s[6:7], -1
	s_waitcnt vmcnt(0)
	v_lshlrev_b32_e32 v3, 16, v3
	v_cvt_f64_f32_e32 v[10:11], v3
	s_branch .LBB7_1288
.LBB7_1278:
	s_mov_b64 s[6:7], 0
                                        ; implicit-def: $vgpr10_vgpr11
	s_cbranch_execnz .LBB7_1353
.LBB7_1279:
	s_andn2_b64 vcc, exec, s[6:7]
	s_cbranch_vccnz .LBB7_2044
	s_branch .LBB7_1400
.LBB7_1280:
	s_mov_b64 s[6:7], 0
	s_mov_b64 s[0:1], 0
                                        ; implicit-def: $vgpr10_vgpr11
	s_cbranch_execnz .LBB7_1317
	s_branch .LBB7_1349
.LBB7_1281:
	s_mov_b64 s[12:13], -1
	s_mov_b64 s[6:7], 0
	s_mov_b64 s[0:1], 0
                                        ; implicit-def: $vgpr10_vgpr11
	s_branch .LBB7_1298
.LBB7_1282:
	s_mov_b64 s[12:13], -1
	s_mov_b64 s[6:7], 0
	s_mov_b64 s[0:1], 0
                                        ; implicit-def: $vgpr10_vgpr11
	s_branch .LBB7_1293
.LBB7_1283:
	s_or_b64 s[2:3], s[28:29], exec
	s_trap 2
                                        ; implicit-def: $vgpr0_vgpr1
	s_cbranch_execz .LBB7_1224
	s_branch .LBB7_1225
.LBB7_1284:
	s_mov_b64 s[12:13], -1
	s_mov_b64 s[6:7], 0
	s_mov_b64 s[0:1], 0
                                        ; implicit-def: $vgpr10_vgpr11
	s_branch .LBB7_1288
.LBB7_1285:
	s_or_saveexec_b64 s[16:17], s[16:17]
                                        ; implicit-def: $sgpr18
	s_xor_b64 exec, exec, s[16:17]
	s_cbranch_execz .LBB7_1011
.LBB7_1286:
	s_mov_b32 s18, 0x42800000
	v_add_f32_e64 v3, |v2|, s18
	v_and_b32_e32 v3, 0xff, v3
	v_cmp_ne_u32_e32 vcc, 0, v3
	s_andn2_b64 s[14:15], s[14:15], exec
	s_and_b64 s[20:21], vcc, exec
	s_mov_b32 s18, 0
	s_or_b64 s[14:15], s[14:15], s[20:21]
	s_or_b64 exec, exec, s[16:17]
	v_mov_b32_e32 v6, s18
	s_and_saveexec_b64 s[16:17], s[14:15]
	s_cbranch_execnz .LBB7_1012
	s_branch .LBB7_1013
.LBB7_1287:
	s_mov_b64 s[0:1], -1
                                        ; implicit-def: $vgpr10_vgpr11
	s_mov_b64 s[6:7], 0
.LBB7_1288:
	s_and_b64 vcc, exec, s[12:13]
	s_cbranch_vccz .LBB7_1292
; %bb.1289:
	v_mov_b32_e32 v3, 44
	v_cmp_eq_u16_sdwa s[0:1], s18, v3 src0_sel:BYTE_0 src1_sel:DWORD
	s_and_b64 vcc, exec, s[0:1]
	s_cbranch_vccz .LBB7_1291
; %bb.1290:
	global_load_ubyte v3, v[16:17], off
	s_movk_i32 s6, 0xff
	s_waitcnt vmcnt(1)
	v_bfrev_b32_e32 v5, 4
	v_mov_b32_e32 v7, 0x7ff80000
	v_bfrev_b32_e32 v9, 28
	s_mov_b64 s[0:1], 0
	s_waitcnt vmcnt(0)
	v_lshlrev_b32_e32 v10, 23, v3
	v_cvt_f64_f32_e32 v[10:11], v10
	v_cmp_ne_u32_e32 vcc, s6, v3
	v_cndmask_b32_e32 v5, v5, v10, vcc
	v_cndmask_b32_e32 v7, v7, v11, vcc
	v_cmp_ne_u32_e32 vcc, 0, v3
	v_cndmask_b32_e32 v11, v9, v7, vcc
	v_cndmask_b32_e32 v10, 0, v5, vcc
	s_mov_b64 s[6:7], -1
	s_branch .LBB7_1292
.LBB7_1291:
	s_mov_b64 s[0:1], -1
                                        ; implicit-def: $vgpr10_vgpr11
.LBB7_1292:
	s_mov_b64 s[12:13], 0
.LBB7_1293:
	s_and_b64 vcc, exec, s[12:13]
	s_cbranch_vccz .LBB7_1297
; %bb.1294:
	v_mov_b32_e32 v3, 29
	v_cmp_eq_u16_sdwa s[0:1], s18, v3 src0_sel:BYTE_0 src1_sel:DWORD
	s_and_b64 vcc, exec, s[0:1]
	s_cbranch_vccz .LBB7_1296
; %bb.1295:
	global_load_dwordx2 v[10:11], v[16:17], off
	s_mov_b64 s[0:1], 0
	s_mov_b64 s[6:7], -1
	s_mov_b64 s[12:13], 0
	s_waitcnt vmcnt(0)
	v_cvt_f64_u32_e32 v[18:19], v11
	v_cvt_f64_u32_e32 v[10:11], v10
	v_ldexp_f64 v[18:19], v[18:19], 32
	v_add_f64 v[10:11], v[18:19], v[10:11]
	s_branch .LBB7_1298
.LBB7_1296:
	s_mov_b64 s[0:1], -1
                                        ; implicit-def: $vgpr10_vgpr11
.LBB7_1297:
	s_mov_b64 s[12:13], 0
.LBB7_1298:
	s_and_b64 vcc, exec, s[12:13]
	s_cbranch_vccz .LBB7_1316
; %bb.1299:
	v_mov_b32_e32 v3, 27
	v_cmp_lt_i16_sdwa s[6:7], s18, v3 src0_sel:BYTE_0 src1_sel:DWORD
	s_and_b64 vcc, exec, s[6:7]
	s_cbranch_vccnz .LBB7_1302
; %bb.1300:
	v_cmp_gt_i16_sdwa s[6:7], s18, v3 src0_sel:BYTE_0 src1_sel:DWORD
	s_and_b64 vcc, exec, s[6:7]
	s_cbranch_vccz .LBB7_1303
; %bb.1301:
	global_load_dword v3, v[16:17], off
	s_mov_b64 s[6:7], 0
	s_waitcnt vmcnt(0)
	v_cvt_f64_u32_e32 v[10:11], v3
	s_branch .LBB7_1304
.LBB7_1302:
	s_mov_b64 s[6:7], -1
                                        ; implicit-def: $vgpr10_vgpr11
	s_branch .LBB7_1307
.LBB7_1303:
	s_mov_b64 s[6:7], -1
                                        ; implicit-def: $vgpr10_vgpr11
.LBB7_1304:
	s_andn2_b64 vcc, exec, s[6:7]
	s_cbranch_vccnz .LBB7_1306
; %bb.1305:
	global_load_ushort v3, v[16:17], off
	s_waitcnt vmcnt(0)
	v_cvt_f64_u32_e32 v[10:11], v3
.LBB7_1306:
	s_mov_b64 s[6:7], 0
.LBB7_1307:
	s_andn2_b64 vcc, exec, s[6:7]
	s_cbranch_vccnz .LBB7_1315
; %bb.1308:
	global_load_ubyte v3, v[16:17], off
	s_movk_i32 s6, 0x7f
                                        ; implicit-def: $sgpr12_sgpr13
	s_waitcnt vmcnt(0)
	v_cmp_lt_i16_e32 vcc, s6, v3
	s_mov_b64 s[6:7], 0
	s_and_saveexec_b64 s[14:15], vcc
	s_xor_b64 s[14:15], exec, s[14:15]
	s_cbranch_execz .LBB7_1328
; %bb.1309:
	s_movk_i32 s6, 0x80
	v_cmp_eq_u16_e32 vcc, s6, v3
	s_mov_b64 s[16:17], -1
                                        ; implicit-def: $sgpr12_sgpr13
	s_and_saveexec_b64 s[6:7], vcc
; %bb.1310:
	s_mov_b32 s13, 0x7ff80000
	s_brev_b32 s12, 4
	s_xor_b64 s[16:17], exec, -1
; %bb.1311:
	s_or_b64 exec, exec, s[6:7]
	s_and_b64 s[6:7], s[16:17], exec
	s_or_saveexec_b64 s[14:15], s[14:15]
	v_pk_mov_b32 v[10:11], s[12:13], s[12:13] op_sel:[0,1]
	s_xor_b64 exec, exec, s[14:15]
	s_cbranch_execnz .LBB7_1329
.LBB7_1312:
	s_or_b64 exec, exec, s[14:15]
	s_and_saveexec_b64 s[12:13], s[6:7]
	s_cbranch_execz .LBB7_1314
.LBB7_1313:
	v_lshlrev_b32_e32 v5, 24, v3
	v_and_b32_e32 v3, 0xffff, v3
	v_and_b32_e32 v7, 7, v3
	v_ffbh_u32_e32 v10, v7
	v_min_u32_e32 v10, 32, v10
	v_subrev_u32_e32 v11, 28, v10
	v_bfe_u32 v9, v3, 3, 4
	v_lshlrev_b32_e32 v3, v11, v3
	v_sub_u32_e32 v10, 29, v10
	v_and_b32_e32 v3, 7, v3
	v_cmp_eq_u32_e32 vcc, 0, v9
	v_cndmask_b32_e32 v9, v9, v10, vcc
	v_cndmask_b32_e32 v3, v7, v3, vcc
	v_mov_b32_e32 v7, 0x3b800000
	v_lshlrev_b32_e32 v3, 20, v3
	v_and_b32_e32 v5, 0x80000000, v5
	v_lshl_add_u32 v7, v9, 23, v7
	v_or3_b32 v3, v5, v7, v3
	v_cvt_f64_f32_e32 v[10:11], v3
.LBB7_1314:
	s_or_b64 exec, exec, s[12:13]
.LBB7_1315:
	s_mov_b64 s[6:7], -1
.LBB7_1316:
	s_branch .LBB7_1349
.LBB7_1317:
	v_mov_b32_e32 v3, 22
	v_cmp_gt_i16_sdwa s[4:5], s18, v3 src0_sel:BYTE_0 src1_sel:DWORD
	s_and_b64 vcc, exec, s[4:5]
	s_cbranch_vccz .LBB7_1327
; %bb.1318:
	v_mov_b32_e32 v3, 24
	v_cmp_lt_i16_sdwa s[4:5], s18, v3 src0_sel:BYTE_0 src1_sel:DWORD
	s_and_b64 vcc, exec, s[4:5]
	s_cbranch_vccnz .LBB7_1330
; %bb.1319:
	v_cmp_gt_i16_sdwa s[4:5], s18, v3 src0_sel:BYTE_0 src1_sel:DWORD
	s_and_b64 vcc, exec, s[4:5]
	s_cbranch_vccz .LBB7_1331
; %bb.1320:
	global_load_ubyte v3, v[16:17], off
	s_movk_i32 s4, 0x7f
                                        ; implicit-def: $sgpr6_sgpr7
	s_waitcnt vmcnt(0)
	v_cmp_lt_i16_e32 vcc, s4, v3
	s_mov_b64 s[4:5], 0
	s_and_saveexec_b64 s[12:13], vcc
	s_xor_b64 s[12:13], exec, s[12:13]
	s_cbranch_execz .LBB7_1343
; %bb.1321:
	s_movk_i32 s4, 0x80
	v_cmp_eq_u16_e32 vcc, s4, v3
	s_mov_b64 s[14:15], -1
                                        ; implicit-def: $sgpr6_sgpr7
	s_and_saveexec_b64 s[4:5], vcc
; %bb.1322:
	s_mov_b32 s7, 0x7ff80000
	s_brev_b32 s6, 4
	s_xor_b64 s[14:15], exec, -1
; %bb.1323:
	s_or_b64 exec, exec, s[4:5]
	s_and_b64 s[4:5], s[14:15], exec
	s_or_saveexec_b64 s[12:13], s[12:13]
	v_pk_mov_b32 v[10:11], s[6:7], s[6:7] op_sel:[0,1]
	s_xor_b64 exec, exec, s[12:13]
	s_cbranch_execnz .LBB7_1344
.LBB7_1324:
	s_or_b64 exec, exec, s[12:13]
	s_and_saveexec_b64 s[6:7], s[4:5]
	s_cbranch_execz .LBB7_1326
.LBB7_1325:
	v_lshlrev_b32_e32 v5, 24, v3
	v_and_b32_e32 v3, 0xffff, v3
	v_and_b32_e32 v7, 3, v3
	v_ffbh_u32_e32 v10, v7
	v_min_u32_e32 v10, 32, v10
	v_subrev_u32_e32 v11, 29, v10
	v_bfe_u32 v9, v3, 2, 5
	v_lshlrev_b32_e32 v3, v11, v3
	v_sub_u32_e32 v10, 30, v10
	v_and_b32_e32 v3, 3, v3
	v_cmp_eq_u32_e32 vcc, 0, v9
	v_cndmask_b32_e32 v9, v9, v10, vcc
	v_cndmask_b32_e32 v3, v7, v3, vcc
	v_mov_b32_e32 v7, 0x37800000
	v_lshlrev_b32_e32 v3, 21, v3
	v_and_b32_e32 v5, 0x80000000, v5
	v_lshl_add_u32 v7, v9, 23, v7
	v_or3_b32 v3, v5, v7, v3
	v_cvt_f64_f32_e32 v[10:11], v3
.LBB7_1326:
	s_or_b64 exec, exec, s[6:7]
	s_mov_b64 s[4:5], 0
	s_branch .LBB7_1332
.LBB7_1327:
	s_mov_b64 s[4:5], -1
                                        ; implicit-def: $vgpr10_vgpr11
	s_branch .LBB7_1338
.LBB7_1328:
	s_or_saveexec_b64 s[14:15], s[14:15]
	v_pk_mov_b32 v[10:11], s[12:13], s[12:13] op_sel:[0,1]
	s_xor_b64 exec, exec, s[14:15]
	s_cbranch_execz .LBB7_1312
.LBB7_1329:
	v_cmp_ne_u16_e32 vcc, 0, v3
	s_andn2_b64 s[6:7], s[6:7], exec
	s_and_b64 s[12:13], vcc, exec
	v_pk_mov_b32 v[10:11], 0, 0
	s_or_b64 s[6:7], s[6:7], s[12:13]
	s_or_b64 exec, exec, s[14:15]
	s_and_saveexec_b64 s[12:13], s[6:7]
	s_cbranch_execnz .LBB7_1313
	s_branch .LBB7_1314
.LBB7_1330:
	s_mov_b64 s[4:5], -1
                                        ; implicit-def: $vgpr10_vgpr11
	s_branch .LBB7_1335
.LBB7_1331:
	s_mov_b64 s[4:5], -1
                                        ; implicit-def: $vgpr10_vgpr11
.LBB7_1332:
	s_and_b64 vcc, exec, s[4:5]
	s_cbranch_vccz .LBB7_1334
; %bb.1333:
	global_load_ubyte v3, v[16:17], off
	s_mov_b32 s4, 0x7f800000
	s_waitcnt vmcnt(0)
	v_lshlrev_b32_e32 v3, 24, v3
	v_and_b32_e32 v5, 0x7f000000, v3
	v_ffbh_u32_e32 v7, v5
	v_min_u32_e32 v7, 32, v7
	v_sub_u32_e64 v7, v7, 4 clamp
	v_lshlrev_b32_e32 v10, v7, v5
	v_lshlrev_b32_e32 v7, 23, v7
	v_lshrrev_b32_e32 v10, 4, v10
	v_add_u32_e32 v9, 0x1000000, v5
	v_sub_u32_e32 v7, v10, v7
	v_ashrrev_i32_e32 v9, 8, v9
	v_add_u32_e32 v7, 0x3c000000, v7
	v_and_or_b32 v7, v9, s4, v7
	v_cmp_ne_u32_e32 vcc, 0, v5
	v_cndmask_b32_e32 v5, 0, v7, vcc
	s_brev_b32 s4, 1
	v_and_or_b32 v3, v3, s4, v5
	v_cvt_f64_f32_e32 v[10:11], v3
.LBB7_1334:
	s_mov_b64 s[4:5], 0
.LBB7_1335:
	s_andn2_b64 vcc, exec, s[4:5]
	s_cbranch_vccnz .LBB7_1337
; %bb.1336:
	global_load_ubyte v3, v[16:17], off
	s_movk_i32 s4, 0x7f00
	s_brev_b32 s5, 16
	s_waitcnt vmcnt(0)
	v_lshlrev_b16_e32 v5, 8, v3
	v_lshlrev_b32_e32 v3, 25, v3
	v_lshrrev_b32_e32 v7, 4, v3
	v_and_or_b32 v9, v5, s4, 0.5
	v_or_b32_e32 v7, 0x70000000, v7
	v_add_f32_e32 v9, -0.5, v9
	v_mul_f32_e32 v7, 0x7800000, v7
	v_cmp_gt_u32_e32 vcc, s5, v3
	v_bfe_i32 v5, v5, 0, 16
	v_cndmask_b32_e32 v3, v7, v9, vcc
	s_brev_b32 s4, 1
	v_and_or_b32 v3, v5, s4, v3
	v_cvt_f64_f32_e32 v[10:11], v3
.LBB7_1337:
	s_mov_b64 s[4:5], 0
	s_mov_b64 s[6:7], -1
.LBB7_1338:
	s_andn2_b64 vcc, exec, s[4:5]
	s_mov_b64 s[4:5], 0
	s_cbranch_vccnz .LBB7_1349
; %bb.1339:
	v_mov_b32_e32 v3, 14
	v_cmp_gt_i16_sdwa s[4:5], s18, v3 src0_sel:BYTE_0 src1_sel:DWORD
	s_and_b64 vcc, exec, s[4:5]
	s_cbranch_vccz .LBB7_1342
; %bb.1340:
	v_mov_b32_e32 v3, 15
	v_cmp_eq_u16_sdwa s[0:1], s18, v3 src0_sel:BYTE_0 src1_sel:DWORD
	s_and_b64 vcc, exec, s[0:1]
	s_cbranch_vccz .LBB7_1345
; %bb.1341:
	global_load_ushort v3, v[16:17], off
	s_mov_b64 s[0:1], 0
	s_mov_b64 s[6:7], -1
	s_waitcnt vmcnt(0)
	v_lshlrev_b32_e32 v3, 16, v3
	v_cvt_f64_f32_e32 v[10:11], v3
	s_branch .LBB7_1346
.LBB7_1342:
	s_mov_b64 s[12:13], -1
                                        ; implicit-def: $vgpr10_vgpr11
	s_branch .LBB7_1347
.LBB7_1343:
	s_or_saveexec_b64 s[12:13], s[12:13]
	v_pk_mov_b32 v[10:11], s[6:7], s[6:7] op_sel:[0,1]
	s_xor_b64 exec, exec, s[12:13]
	s_cbranch_execz .LBB7_1324
.LBB7_1344:
	v_cmp_ne_u16_e32 vcc, 0, v3
	s_andn2_b64 s[4:5], s[4:5], exec
	s_and_b64 s[6:7], vcc, exec
	v_pk_mov_b32 v[10:11], 0, 0
	s_or_b64 s[4:5], s[4:5], s[6:7]
	s_or_b64 exec, exec, s[12:13]
	s_and_saveexec_b64 s[6:7], s[4:5]
	s_cbranch_execnz .LBB7_1325
	s_branch .LBB7_1326
.LBB7_1345:
	s_mov_b64 s[0:1], -1
                                        ; implicit-def: $vgpr10_vgpr11
.LBB7_1346:
	s_mov_b64 s[12:13], 0
.LBB7_1347:
	s_mov_b64 s[4:5], 0
	s_and_b64 vcc, exec, s[12:13]
	s_cbranch_vccz .LBB7_1349
; %bb.1348:
	v_mov_b32_e32 v3, 11
	v_cmp_ne_u16_sdwa s[0:1], s18, v3 src0_sel:BYTE_0 src1_sel:DWORD
	s_mov_b64 s[4:5], -1
                                        ; implicit-def: $vgpr10_vgpr11
.LBB7_1349:
	s_and_b64 vcc, exec, s[0:1]
	s_cbranch_vccnz .LBB7_1412
; %bb.1350:
	s_andn2_b64 vcc, exec, s[4:5]
	s_cbranch_vccnz .LBB7_1352
.LBB7_1351:
	global_load_ubyte v3, v[16:17], off
	s_waitcnt vmcnt(1)
	v_mov_b32_e32 v5, 0x3ff00000
	v_mov_b32_e32 v10, 0
	s_mov_b64 s[6:7], -1
	s_waitcnt vmcnt(0)
	v_cmp_ne_u16_e32 vcc, 0, v3
	v_cndmask_b32_e32 v11, 0, v5, vcc
.LBB7_1352:
	s_branch .LBB7_1279
.LBB7_1353:
	v_mov_b32_e32 v3, 5
	v_cmp_lt_i16_sdwa s[0:1], s18, v3 src0_sel:BYTE_0 src1_sel:DWORD
	s_and_b64 vcc, exec, s[0:1]
	s_cbranch_vccnz .LBB7_1358
; %bb.1354:
	v_mov_b32_e32 v3, 8
	v_cmp_lt_i16_sdwa s[0:1], s18, v3 src0_sel:BYTE_0 src1_sel:DWORD
	s_and_b64 vcc, exec, s[0:1]
	s_cbranch_vccnz .LBB7_1359
; %bb.1355:
	;; [unrolled: 5-line block ×3, first 2 shown]
	v_cmp_gt_i16_sdwa s[0:1], s18, v3 src0_sel:BYTE_0 src1_sel:DWORD
	s_and_b64 vcc, exec, s[0:1]
	s_cbranch_vccz .LBB7_1361
; %bb.1357:
	global_load_dwordx2 v[10:11], v[16:17], off
	s_mov_b64 s[0:1], 0
	s_branch .LBB7_1362
.LBB7_1358:
                                        ; implicit-def: $vgpr10_vgpr11
	s_branch .LBB7_1380
.LBB7_1359:
	s_mov_b64 s[0:1], -1
                                        ; implicit-def: $vgpr10_vgpr11
	s_branch .LBB7_1368
.LBB7_1360:
	s_mov_b64 s[0:1], -1
                                        ; implicit-def: $vgpr10_vgpr11
	s_branch .LBB7_1365
.LBB7_1361:
	s_mov_b64 s[0:1], -1
                                        ; implicit-def: $vgpr10_vgpr11
.LBB7_1362:
	s_andn2_b64 vcc, exec, s[0:1]
	s_cbranch_vccnz .LBB7_1364
; %bb.1363:
	global_load_dword v3, v[16:17], off
	s_waitcnt vmcnt(0)
	v_cvt_f64_f32_e32 v[10:11], v3
.LBB7_1364:
	s_mov_b64 s[0:1], 0
.LBB7_1365:
	s_andn2_b64 vcc, exec, s[0:1]
	s_cbranch_vccnz .LBB7_1367
; %bb.1366:
	global_load_dword v3, v[16:17], off
	s_waitcnt vmcnt(0)
	v_cvt_f32_f16_e32 v3, v3
	v_cvt_f64_f32_e32 v[10:11], v3
.LBB7_1367:
	s_mov_b64 s[0:1], 0
.LBB7_1368:
	s_andn2_b64 vcc, exec, s[0:1]
	s_cbranch_vccnz .LBB7_1379
; %bb.1369:
	v_mov_b32_e32 v3, 6
	v_cmp_lt_i16_sdwa s[0:1], s18, v3 src0_sel:BYTE_0 src1_sel:DWORD
	s_and_b64 vcc, exec, s[0:1]
	s_cbranch_vccnz .LBB7_1372
; %bb.1370:
	v_cmp_gt_i16_sdwa s[0:1], s18, v3 src0_sel:BYTE_0 src1_sel:DWORD
	s_and_b64 vcc, exec, s[0:1]
	s_cbranch_vccz .LBB7_1373
; %bb.1371:
	global_load_dwordx2 v[10:11], v[16:17], off
	s_mov_b64 s[0:1], 0
	s_branch .LBB7_1374
.LBB7_1372:
	s_mov_b64 s[0:1], -1
                                        ; implicit-def: $vgpr10_vgpr11
	s_branch .LBB7_1377
.LBB7_1373:
	s_mov_b64 s[0:1], -1
                                        ; implicit-def: $vgpr10_vgpr11
.LBB7_1374:
	s_andn2_b64 vcc, exec, s[0:1]
	s_cbranch_vccnz .LBB7_1376
; %bb.1375:
	global_load_dword v3, v[16:17], off
	s_waitcnt vmcnt(0)
	v_cvt_f64_f32_e32 v[10:11], v3
.LBB7_1376:
	s_mov_b64 s[0:1], 0
.LBB7_1377:
	s_andn2_b64 vcc, exec, s[0:1]
	s_cbranch_vccnz .LBB7_1379
; %bb.1378:
	global_load_ushort v3, v[16:17], off
	s_waitcnt vmcnt(0)
	v_cvt_f32_f16_e32 v3, v3
	v_cvt_f64_f32_e32 v[10:11], v3
.LBB7_1379:
	s_cbranch_execnz .LBB7_1399
.LBB7_1380:
	v_mov_b32_e32 v3, 2
	v_cmp_lt_i16_sdwa s[0:1], s18, v3 src0_sel:BYTE_0 src1_sel:DWORD
	s_and_b64 vcc, exec, s[0:1]
	s_cbranch_vccnz .LBB7_1384
; %bb.1381:
	v_mov_b32_e32 v3, 3
	v_cmp_lt_i16_sdwa s[0:1], s18, v3 src0_sel:BYTE_0 src1_sel:DWORD
	s_and_b64 vcc, exec, s[0:1]
	s_cbranch_vccnz .LBB7_1385
; %bb.1382:
	v_cmp_gt_i16_sdwa s[0:1], s18, v3 src0_sel:BYTE_0 src1_sel:DWORD
	s_and_b64 vcc, exec, s[0:1]
	s_cbranch_vccz .LBB7_1386
; %bb.1383:
	global_load_dwordx2 v[10:11], v[16:17], off
	s_mov_b64 s[0:1], 0
	s_waitcnt vmcnt(0)
	v_cvt_f64_i32_e32 v[18:19], v11
	v_cvt_f64_u32_e32 v[10:11], v10
	v_ldexp_f64 v[18:19], v[18:19], 32
	v_add_f64 v[10:11], v[18:19], v[10:11]
	s_branch .LBB7_1387
.LBB7_1384:
	s_mov_b64 s[0:1], -1
                                        ; implicit-def: $vgpr10_vgpr11
	s_branch .LBB7_1393
.LBB7_1385:
	s_mov_b64 s[0:1], -1
                                        ; implicit-def: $vgpr10_vgpr11
	s_branch .LBB7_1390
.LBB7_1386:
	s_mov_b64 s[0:1], -1
                                        ; implicit-def: $vgpr10_vgpr11
.LBB7_1387:
	s_andn2_b64 vcc, exec, s[0:1]
	s_cbranch_vccnz .LBB7_1389
; %bb.1388:
	global_load_dword v3, v[16:17], off
	s_waitcnt vmcnt(0)
	v_cvt_f64_i32_e32 v[10:11], v3
.LBB7_1389:
	s_mov_b64 s[0:1], 0
.LBB7_1390:
	s_andn2_b64 vcc, exec, s[0:1]
	s_cbranch_vccnz .LBB7_1392
; %bb.1391:
	global_load_sshort v3, v[16:17], off
	s_waitcnt vmcnt(0)
	v_cvt_f64_i32_e32 v[10:11], v3
.LBB7_1392:
	s_mov_b64 s[0:1], 0
.LBB7_1393:
	s_andn2_b64 vcc, exec, s[0:1]
	s_cbranch_vccnz .LBB7_1399
; %bb.1394:
	v_mov_b32_e32 v3, 0
	v_cmp_gt_i16_sdwa s[0:1], s18, v3 src0_sel:BYTE_0 src1_sel:DWORD
	s_and_b64 vcc, exec, s[0:1]
	s_cbranch_vccz .LBB7_1396
; %bb.1395:
	global_load_sbyte v3, v[16:17], off
	s_mov_b64 s[0:1], 0
	s_waitcnt vmcnt(0)
	v_cvt_f64_i32_e32 v[10:11], v3
	s_branch .LBB7_1397
.LBB7_1396:
	s_mov_b64 s[0:1], -1
                                        ; implicit-def: $vgpr10_vgpr11
.LBB7_1397:
	s_andn2_b64 vcc, exec, s[0:1]
	s_cbranch_vccnz .LBB7_1399
; %bb.1398:
	global_load_ubyte v3, v[16:17], off
	s_waitcnt vmcnt(0)
	v_cvt_f64_u32_e32 v[10:11], v3
.LBB7_1399:
.LBB7_1400:
	v_mov_b32_e32 v3, s11
	v_add_co_u32_e32 v16, vcc, s10, v12
	v_addc_co_u32_e32 v17, vcc, 0, v3, vcc
	v_mov_b32_e32 v3, 11
	v_cmp_lt_i16_sdwa s[0:1], s18, v3 src0_sel:BYTE_0 src1_sel:DWORD
	s_and_b64 vcc, exec, s[0:1]
	s_cbranch_vccnz .LBB7_1407
; %bb.1401:
	v_mov_b32_e32 v3, 25
	v_cmp_gt_i16_sdwa s[0:1], s18, v3 src0_sel:BYTE_0 src1_sel:DWORD
	s_mov_b64 s[4:5], 0
	s_and_b64 vcc, exec, s[0:1]
	s_cbranch_vccz .LBB7_1409
; %bb.1402:
	v_mov_b32_e32 v3, 28
	v_cmp_gt_i16_sdwa s[0:1], s18, v3 src0_sel:BYTE_0 src1_sel:DWORD
	s_and_b64 vcc, exec, s[0:1]
	s_cbranch_vccz .LBB7_1410
; %bb.1403:
	v_mov_b32_e32 v3, 43
	v_cmp_gt_i16_sdwa s[0:1], s18, v3 src0_sel:BYTE_0 src1_sel:DWORD
	;; [unrolled: 5-line block ×3, first 2 shown]
	s_and_b64 vcc, exec, s[0:1]
	s_cbranch_vccz .LBB7_1413
; %bb.1405:
	v_mov_b32_e32 v3, 46
	v_cmp_eq_u16_sdwa s[0:1], s18, v3 src0_sel:BYTE_0 src1_sel:DWORD
	s_mov_b64 s[12:13], 0
	s_and_b64 vcc, exec, s[0:1]
	s_cbranch_vccz .LBB7_1414
; %bb.1406:
	global_load_dword v3, v[16:17], off
	s_mov_b64 s[0:1], 0
	s_mov_b64 s[6:7], -1
	s_waitcnt vmcnt(0)
	v_lshlrev_b32_e32 v3, 16, v3
	v_cvt_f64_f32_e32 v[12:13], v3
	s_branch .LBB7_1415
.LBB7_1407:
	s_mov_b64 s[6:7], 0
                                        ; implicit-def: $vgpr12_vgpr13
	s_cbranch_execnz .LBB7_1481
.LBB7_1408:
	s_andn2_b64 vcc, exec, s[6:7]
	s_cbranch_vccnz .LBB7_2044
	s_branch .LBB7_1529
.LBB7_1409:
	s_mov_b64 s[12:13], -1
	s_mov_b64 s[6:7], 0
	s_mov_b64 s[0:1], 0
                                        ; implicit-def: $vgpr12_vgpr13
	s_branch .LBB7_1444
.LBB7_1410:
	s_mov_b64 s[12:13], -1
	s_mov_b64 s[6:7], 0
	s_mov_b64 s[0:1], 0
                                        ; implicit-def: $vgpr12_vgpr13
	s_branch .LBB7_1425
.LBB7_1411:
	s_mov_b64 s[12:13], -1
	s_mov_b64 s[6:7], 0
	s_mov_b64 s[0:1], 0
                                        ; implicit-def: $vgpr12_vgpr13
	s_branch .LBB7_1420
.LBB7_1412:
	s_trap 2
	s_or_b64 s[2:3], s[2:3], exec
                                        ; implicit-def: $vgpr10_vgpr11
	s_cbranch_execz .LBB7_1351
	s_branch .LBB7_1352
.LBB7_1413:
	s_mov_b64 s[12:13], -1
	s_mov_b64 s[6:7], 0
	s_mov_b64 s[0:1], 0
                                        ; implicit-def: $vgpr12_vgpr13
	s_branch .LBB7_1415
.LBB7_1414:
	s_mov_b64 s[0:1], -1
                                        ; implicit-def: $vgpr12_vgpr13
	s_mov_b64 s[6:7], 0
.LBB7_1415:
	s_and_b64 vcc, exec, s[12:13]
	s_cbranch_vccz .LBB7_1419
; %bb.1416:
	v_mov_b32_e32 v3, 44
	v_cmp_eq_u16_sdwa s[0:1], s18, v3 src0_sel:BYTE_0 src1_sel:DWORD
	s_and_b64 vcc, exec, s[0:1]
	s_cbranch_vccz .LBB7_1418
; %bb.1417:
	global_load_ubyte v3, v[16:17], off
	s_movk_i32 s6, 0xff
	s_waitcnt vmcnt(1)
	v_bfrev_b32_e32 v5, 4
	v_mov_b32_e32 v7, 0x7ff80000
	v_bfrev_b32_e32 v9, 28
	s_mov_b64 s[0:1], 0
	s_waitcnt vmcnt(0)
	v_lshlrev_b32_e32 v12, 23, v3
	v_cvt_f64_f32_e32 v[12:13], v12
	v_cmp_ne_u32_e32 vcc, s6, v3
	v_cndmask_b32_e32 v5, v5, v12, vcc
	v_cndmask_b32_e32 v7, v7, v13, vcc
	v_cmp_ne_u32_e32 vcc, 0, v3
	v_cndmask_b32_e32 v13, v9, v7, vcc
	v_cndmask_b32_e32 v12, 0, v5, vcc
	s_mov_b64 s[6:7], -1
	s_branch .LBB7_1419
.LBB7_1418:
	s_mov_b64 s[0:1], -1
                                        ; implicit-def: $vgpr12_vgpr13
.LBB7_1419:
	s_mov_b64 s[12:13], 0
.LBB7_1420:
	s_and_b64 vcc, exec, s[12:13]
	s_cbranch_vccz .LBB7_1424
; %bb.1421:
	v_mov_b32_e32 v3, 29
	v_cmp_eq_u16_sdwa s[0:1], s18, v3 src0_sel:BYTE_0 src1_sel:DWORD
	s_and_b64 vcc, exec, s[0:1]
	s_cbranch_vccz .LBB7_1423
; %bb.1422:
	global_load_dwordx2 v[12:13], v[16:17], off
	s_mov_b64 s[0:1], 0
	s_mov_b64 s[6:7], -1
	s_mov_b64 s[12:13], 0
	s_waitcnt vmcnt(0)
	v_cvt_f64_u32_e32 v[18:19], v13
	v_cvt_f64_u32_e32 v[12:13], v12
	v_ldexp_f64 v[18:19], v[18:19], 32
	v_add_f64 v[12:13], v[18:19], v[12:13]
	s_branch .LBB7_1425
.LBB7_1423:
	s_mov_b64 s[0:1], -1
                                        ; implicit-def: $vgpr12_vgpr13
.LBB7_1424:
	s_mov_b64 s[12:13], 0
.LBB7_1425:
	s_and_b64 vcc, exec, s[12:13]
	s_cbranch_vccz .LBB7_1443
; %bb.1426:
	v_mov_b32_e32 v3, 27
	v_cmp_lt_i16_sdwa s[6:7], s18, v3 src0_sel:BYTE_0 src1_sel:DWORD
	s_and_b64 vcc, exec, s[6:7]
	s_cbranch_vccnz .LBB7_1429
; %bb.1427:
	v_cmp_gt_i16_sdwa s[6:7], s18, v3 src0_sel:BYTE_0 src1_sel:DWORD
	s_and_b64 vcc, exec, s[6:7]
	s_cbranch_vccz .LBB7_1430
; %bb.1428:
	global_load_dword v3, v[16:17], off
	s_mov_b64 s[6:7], 0
	s_waitcnt vmcnt(0)
	v_cvt_f64_u32_e32 v[12:13], v3
	s_branch .LBB7_1431
.LBB7_1429:
	s_mov_b64 s[6:7], -1
                                        ; implicit-def: $vgpr12_vgpr13
	s_branch .LBB7_1434
.LBB7_1430:
	s_mov_b64 s[6:7], -1
                                        ; implicit-def: $vgpr12_vgpr13
.LBB7_1431:
	s_andn2_b64 vcc, exec, s[6:7]
	s_cbranch_vccnz .LBB7_1433
; %bb.1432:
	global_load_ushort v3, v[16:17], off
	s_waitcnt vmcnt(0)
	v_cvt_f64_u32_e32 v[12:13], v3
.LBB7_1433:
	s_mov_b64 s[6:7], 0
.LBB7_1434:
	s_andn2_b64 vcc, exec, s[6:7]
	s_cbranch_vccnz .LBB7_1442
; %bb.1435:
	global_load_ubyte v3, v[16:17], off
	s_movk_i32 s6, 0x7f
                                        ; implicit-def: $sgpr12_sgpr13
	s_waitcnt vmcnt(0)
	v_cmp_lt_i16_e32 vcc, s6, v3
	s_mov_b64 s[6:7], 0
	s_and_saveexec_b64 s[14:15], vcc
	s_xor_b64 s[14:15], exec, s[14:15]
	s_cbranch_execz .LBB7_1456
; %bb.1436:
	s_movk_i32 s6, 0x80
	v_cmp_eq_u16_e32 vcc, s6, v3
	s_mov_b64 s[16:17], -1
                                        ; implicit-def: $sgpr12_sgpr13
	s_and_saveexec_b64 s[6:7], vcc
; %bb.1437:
	s_mov_b32 s13, 0x7ff80000
	s_brev_b32 s12, 4
	s_xor_b64 s[16:17], exec, -1
; %bb.1438:
	s_or_b64 exec, exec, s[6:7]
	s_and_b64 s[6:7], s[16:17], exec
	s_or_saveexec_b64 s[14:15], s[14:15]
	v_pk_mov_b32 v[12:13], s[12:13], s[12:13] op_sel:[0,1]
	s_xor_b64 exec, exec, s[14:15]
	s_cbranch_execnz .LBB7_1457
.LBB7_1439:
	s_or_b64 exec, exec, s[14:15]
	s_and_saveexec_b64 s[12:13], s[6:7]
	s_cbranch_execz .LBB7_1441
.LBB7_1440:
	v_lshlrev_b32_e32 v5, 24, v3
	v_and_b32_e32 v3, 0xffff, v3
	v_and_b32_e32 v7, 7, v3
	v_ffbh_u32_e32 v12, v7
	v_min_u32_e32 v12, 32, v12
	v_subrev_u32_e32 v13, 28, v12
	v_bfe_u32 v9, v3, 3, 4
	v_lshlrev_b32_e32 v3, v13, v3
	v_sub_u32_e32 v12, 29, v12
	v_and_b32_e32 v3, 7, v3
	v_cmp_eq_u32_e32 vcc, 0, v9
	v_cndmask_b32_e32 v9, v9, v12, vcc
	v_cndmask_b32_e32 v3, v7, v3, vcc
	v_mov_b32_e32 v7, 0x3b800000
	v_lshlrev_b32_e32 v3, 20, v3
	v_and_b32_e32 v5, 0x80000000, v5
	v_lshl_add_u32 v7, v9, 23, v7
	v_or3_b32 v3, v5, v7, v3
	v_cvt_f64_f32_e32 v[12:13], v3
.LBB7_1441:
	s_or_b64 exec, exec, s[12:13]
.LBB7_1442:
	s_mov_b64 s[6:7], -1
.LBB7_1443:
	s_mov_b64 s[12:13], 0
.LBB7_1444:
	s_and_b64 vcc, exec, s[12:13]
	s_cbranch_vccz .LBB7_1477
; %bb.1445:
	v_mov_b32_e32 v3, 22
	v_cmp_gt_i16_sdwa s[4:5], s18, v3 src0_sel:BYTE_0 src1_sel:DWORD
	s_and_b64 vcc, exec, s[4:5]
	s_cbranch_vccz .LBB7_1455
; %bb.1446:
	v_mov_b32_e32 v3, 24
	v_cmp_lt_i16_sdwa s[4:5], s18, v3 src0_sel:BYTE_0 src1_sel:DWORD
	s_and_b64 vcc, exec, s[4:5]
	s_cbranch_vccnz .LBB7_1458
; %bb.1447:
	v_cmp_gt_i16_sdwa s[4:5], s18, v3 src0_sel:BYTE_0 src1_sel:DWORD
	s_and_b64 vcc, exec, s[4:5]
	s_cbranch_vccz .LBB7_1459
; %bb.1448:
	global_load_ubyte v3, v[16:17], off
	s_movk_i32 s4, 0x7f
                                        ; implicit-def: $sgpr6_sgpr7
	s_waitcnt vmcnt(0)
	v_cmp_lt_i16_e32 vcc, s4, v3
	s_mov_b64 s[4:5], 0
	s_and_saveexec_b64 s[12:13], vcc
	s_xor_b64 s[12:13], exec, s[12:13]
	s_cbranch_execz .LBB7_1471
; %bb.1449:
	s_movk_i32 s4, 0x80
	v_cmp_eq_u16_e32 vcc, s4, v3
	s_mov_b64 s[14:15], -1
                                        ; implicit-def: $sgpr6_sgpr7
	s_and_saveexec_b64 s[4:5], vcc
; %bb.1450:
	s_mov_b32 s7, 0x7ff80000
	s_brev_b32 s6, 4
	s_xor_b64 s[14:15], exec, -1
; %bb.1451:
	s_or_b64 exec, exec, s[4:5]
	s_and_b64 s[4:5], s[14:15], exec
	s_or_saveexec_b64 s[12:13], s[12:13]
	v_pk_mov_b32 v[12:13], s[6:7], s[6:7] op_sel:[0,1]
	s_xor_b64 exec, exec, s[12:13]
	s_cbranch_execnz .LBB7_1472
.LBB7_1452:
	s_or_b64 exec, exec, s[12:13]
	s_and_saveexec_b64 s[6:7], s[4:5]
	s_cbranch_execz .LBB7_1454
.LBB7_1453:
	v_lshlrev_b32_e32 v5, 24, v3
	v_and_b32_e32 v3, 0xffff, v3
	v_and_b32_e32 v7, 3, v3
	v_ffbh_u32_e32 v12, v7
	v_min_u32_e32 v12, 32, v12
	v_subrev_u32_e32 v13, 29, v12
	v_bfe_u32 v9, v3, 2, 5
	v_lshlrev_b32_e32 v3, v13, v3
	v_sub_u32_e32 v12, 30, v12
	v_and_b32_e32 v3, 3, v3
	v_cmp_eq_u32_e32 vcc, 0, v9
	v_cndmask_b32_e32 v9, v9, v12, vcc
	v_cndmask_b32_e32 v3, v7, v3, vcc
	v_mov_b32_e32 v7, 0x37800000
	v_lshlrev_b32_e32 v3, 21, v3
	v_and_b32_e32 v5, 0x80000000, v5
	v_lshl_add_u32 v7, v9, 23, v7
	v_or3_b32 v3, v5, v7, v3
	v_cvt_f64_f32_e32 v[12:13], v3
.LBB7_1454:
	s_or_b64 exec, exec, s[6:7]
	s_mov_b64 s[4:5], 0
	s_branch .LBB7_1460
.LBB7_1455:
	s_mov_b64 s[4:5], -1
                                        ; implicit-def: $vgpr12_vgpr13
	s_branch .LBB7_1466
.LBB7_1456:
	s_or_saveexec_b64 s[14:15], s[14:15]
	v_pk_mov_b32 v[12:13], s[12:13], s[12:13] op_sel:[0,1]
	s_xor_b64 exec, exec, s[14:15]
	s_cbranch_execz .LBB7_1439
.LBB7_1457:
	v_cmp_ne_u16_e32 vcc, 0, v3
	s_andn2_b64 s[6:7], s[6:7], exec
	s_and_b64 s[12:13], vcc, exec
	v_pk_mov_b32 v[12:13], 0, 0
	s_or_b64 s[6:7], s[6:7], s[12:13]
	s_or_b64 exec, exec, s[14:15]
	s_and_saveexec_b64 s[12:13], s[6:7]
	s_cbranch_execnz .LBB7_1440
	s_branch .LBB7_1441
.LBB7_1458:
	s_mov_b64 s[4:5], -1
                                        ; implicit-def: $vgpr12_vgpr13
	s_branch .LBB7_1463
.LBB7_1459:
	s_mov_b64 s[4:5], -1
                                        ; implicit-def: $vgpr12_vgpr13
.LBB7_1460:
	s_and_b64 vcc, exec, s[4:5]
	s_cbranch_vccz .LBB7_1462
; %bb.1461:
	global_load_ubyte v3, v[16:17], off
	s_mov_b32 s4, 0x7f800000
	s_waitcnt vmcnt(0)
	v_lshlrev_b32_e32 v3, 24, v3
	v_and_b32_e32 v5, 0x7f000000, v3
	v_ffbh_u32_e32 v7, v5
	v_min_u32_e32 v7, 32, v7
	v_sub_u32_e64 v7, v7, 4 clamp
	v_lshlrev_b32_e32 v12, v7, v5
	v_lshlrev_b32_e32 v7, 23, v7
	v_lshrrev_b32_e32 v12, 4, v12
	v_add_u32_e32 v9, 0x1000000, v5
	v_sub_u32_e32 v7, v12, v7
	v_ashrrev_i32_e32 v9, 8, v9
	v_add_u32_e32 v7, 0x3c000000, v7
	v_and_or_b32 v7, v9, s4, v7
	v_cmp_ne_u32_e32 vcc, 0, v5
	v_cndmask_b32_e32 v5, 0, v7, vcc
	s_brev_b32 s4, 1
	v_and_or_b32 v3, v3, s4, v5
	v_cvt_f64_f32_e32 v[12:13], v3
.LBB7_1462:
	s_mov_b64 s[4:5], 0
.LBB7_1463:
	s_andn2_b64 vcc, exec, s[4:5]
	s_cbranch_vccnz .LBB7_1465
; %bb.1464:
	global_load_ubyte v3, v[16:17], off
	s_movk_i32 s4, 0x7f00
	s_brev_b32 s5, 16
	s_waitcnt vmcnt(0)
	v_lshlrev_b16_e32 v5, 8, v3
	v_lshlrev_b32_e32 v3, 25, v3
	v_lshrrev_b32_e32 v7, 4, v3
	v_and_or_b32 v9, v5, s4, 0.5
	v_or_b32_e32 v7, 0x70000000, v7
	v_add_f32_e32 v9, -0.5, v9
	v_mul_f32_e32 v7, 0x7800000, v7
	v_cmp_gt_u32_e32 vcc, s5, v3
	v_bfe_i32 v5, v5, 0, 16
	v_cndmask_b32_e32 v3, v7, v9, vcc
	s_brev_b32 s4, 1
	v_and_or_b32 v3, v5, s4, v3
	v_cvt_f64_f32_e32 v[12:13], v3
.LBB7_1465:
	s_mov_b64 s[4:5], 0
	s_mov_b64 s[6:7], -1
.LBB7_1466:
	s_andn2_b64 vcc, exec, s[4:5]
	s_mov_b64 s[4:5], 0
	s_cbranch_vccnz .LBB7_1477
; %bb.1467:
	v_mov_b32_e32 v3, 14
	v_cmp_gt_i16_sdwa s[4:5], s18, v3 src0_sel:BYTE_0 src1_sel:DWORD
	s_and_b64 vcc, exec, s[4:5]
	s_cbranch_vccz .LBB7_1470
; %bb.1468:
	v_mov_b32_e32 v3, 15
	v_cmp_eq_u16_sdwa s[0:1], s18, v3 src0_sel:BYTE_0 src1_sel:DWORD
	s_and_b64 vcc, exec, s[0:1]
	s_cbranch_vccz .LBB7_1473
; %bb.1469:
	global_load_ushort v3, v[16:17], off
	s_mov_b64 s[0:1], 0
	s_mov_b64 s[6:7], -1
	s_waitcnt vmcnt(0)
	v_lshlrev_b32_e32 v3, 16, v3
	v_cvt_f64_f32_e32 v[12:13], v3
	s_branch .LBB7_1474
.LBB7_1470:
	s_mov_b64 s[12:13], -1
                                        ; implicit-def: $vgpr12_vgpr13
	s_branch .LBB7_1475
.LBB7_1471:
	s_or_saveexec_b64 s[12:13], s[12:13]
	v_pk_mov_b32 v[12:13], s[6:7], s[6:7] op_sel:[0,1]
	s_xor_b64 exec, exec, s[12:13]
	s_cbranch_execz .LBB7_1452
.LBB7_1472:
	v_cmp_ne_u16_e32 vcc, 0, v3
	s_andn2_b64 s[4:5], s[4:5], exec
	s_and_b64 s[6:7], vcc, exec
	v_pk_mov_b32 v[12:13], 0, 0
	s_or_b64 s[4:5], s[4:5], s[6:7]
	s_or_b64 exec, exec, s[12:13]
	s_and_saveexec_b64 s[6:7], s[4:5]
	s_cbranch_execnz .LBB7_1453
	s_branch .LBB7_1454
.LBB7_1473:
	s_mov_b64 s[0:1], -1
                                        ; implicit-def: $vgpr12_vgpr13
.LBB7_1474:
	s_mov_b64 s[12:13], 0
.LBB7_1475:
	s_mov_b64 s[4:5], 0
	s_and_b64 vcc, exec, s[12:13]
	s_cbranch_vccz .LBB7_1477
; %bb.1476:
	v_mov_b32_e32 v3, 11
	v_cmp_ne_u16_sdwa s[0:1], s18, v3 src0_sel:BYTE_0 src1_sel:DWORD
	s_mov_b64 s[4:5], -1
                                        ; implicit-def: $vgpr12_vgpr13
.LBB7_1477:
	s_and_b64 vcc, exec, s[0:1]
	s_cbranch_vccnz .LBB7_1540
; %bb.1478:
	s_andn2_b64 vcc, exec, s[4:5]
	s_cbranch_vccnz .LBB7_1480
.LBB7_1479:
	global_load_ubyte v3, v[16:17], off
	s_waitcnt vmcnt(1)
	v_mov_b32_e32 v5, 0x3ff00000
	v_mov_b32_e32 v12, 0
	s_mov_b64 s[6:7], -1
	s_waitcnt vmcnt(0)
	v_cmp_ne_u16_e32 vcc, 0, v3
	v_cndmask_b32_e32 v13, 0, v5, vcc
.LBB7_1480:
	s_branch .LBB7_1408
.LBB7_1481:
	v_mov_b32_e32 v3, 5
	v_cmp_lt_i16_sdwa s[0:1], s18, v3 src0_sel:BYTE_0 src1_sel:DWORD
	s_and_b64 vcc, exec, s[0:1]
	s_cbranch_vccnz .LBB7_1486
; %bb.1482:
	v_mov_b32_e32 v3, 8
	v_cmp_lt_i16_sdwa s[0:1], s18, v3 src0_sel:BYTE_0 src1_sel:DWORD
	s_and_b64 vcc, exec, s[0:1]
	s_cbranch_vccnz .LBB7_1487
; %bb.1483:
	;; [unrolled: 5-line block ×3, first 2 shown]
	v_cmp_gt_i16_sdwa s[0:1], s18, v3 src0_sel:BYTE_0 src1_sel:DWORD
	s_and_b64 vcc, exec, s[0:1]
	s_cbranch_vccz .LBB7_1489
; %bb.1485:
	global_load_dwordx2 v[12:13], v[16:17], off
	s_mov_b64 s[0:1], 0
	s_branch .LBB7_1490
.LBB7_1486:
	s_mov_b64 s[0:1], -1
                                        ; implicit-def: $vgpr12_vgpr13
	s_branch .LBB7_1508
.LBB7_1487:
	s_mov_b64 s[0:1], -1
                                        ; implicit-def: $vgpr12_vgpr13
	s_branch .LBB7_1496
.LBB7_1488:
	s_mov_b64 s[0:1], -1
                                        ; implicit-def: $vgpr12_vgpr13
	s_branch .LBB7_1493
.LBB7_1489:
	s_mov_b64 s[0:1], -1
                                        ; implicit-def: $vgpr12_vgpr13
.LBB7_1490:
	s_andn2_b64 vcc, exec, s[0:1]
	s_cbranch_vccnz .LBB7_1492
; %bb.1491:
	global_load_dword v3, v[16:17], off
	s_waitcnt vmcnt(0)
	v_cvt_f64_f32_e32 v[12:13], v3
.LBB7_1492:
	s_mov_b64 s[0:1], 0
.LBB7_1493:
	s_andn2_b64 vcc, exec, s[0:1]
	s_cbranch_vccnz .LBB7_1495
; %bb.1494:
	global_load_dword v3, v[16:17], off
	s_waitcnt vmcnt(0)
	v_cvt_f32_f16_e32 v3, v3
	v_cvt_f64_f32_e32 v[12:13], v3
.LBB7_1495:
	s_mov_b64 s[0:1], 0
.LBB7_1496:
	s_andn2_b64 vcc, exec, s[0:1]
	s_cbranch_vccnz .LBB7_1507
; %bb.1497:
	v_mov_b32_e32 v3, 6
	v_cmp_lt_i16_sdwa s[0:1], s18, v3 src0_sel:BYTE_0 src1_sel:DWORD
	s_and_b64 vcc, exec, s[0:1]
	s_cbranch_vccnz .LBB7_1500
; %bb.1498:
	v_cmp_gt_i16_sdwa s[0:1], s18, v3 src0_sel:BYTE_0 src1_sel:DWORD
	s_and_b64 vcc, exec, s[0:1]
	s_cbranch_vccz .LBB7_1501
; %bb.1499:
	global_load_dwordx2 v[12:13], v[16:17], off
	s_mov_b64 s[0:1], 0
	s_branch .LBB7_1502
.LBB7_1500:
	s_mov_b64 s[0:1], -1
                                        ; implicit-def: $vgpr12_vgpr13
	s_branch .LBB7_1505
.LBB7_1501:
	s_mov_b64 s[0:1], -1
                                        ; implicit-def: $vgpr12_vgpr13
.LBB7_1502:
	s_andn2_b64 vcc, exec, s[0:1]
	s_cbranch_vccnz .LBB7_1504
; %bb.1503:
	global_load_dword v3, v[16:17], off
	s_waitcnt vmcnt(0)
	v_cvt_f64_f32_e32 v[12:13], v3
.LBB7_1504:
	s_mov_b64 s[0:1], 0
.LBB7_1505:
	s_andn2_b64 vcc, exec, s[0:1]
	s_cbranch_vccnz .LBB7_1507
; %bb.1506:
	global_load_ushort v3, v[16:17], off
	s_waitcnt vmcnt(0)
	v_cvt_f32_f16_e32 v3, v3
	v_cvt_f64_f32_e32 v[12:13], v3
.LBB7_1507:
	s_mov_b64 s[0:1], 0
.LBB7_1508:
	s_andn2_b64 vcc, exec, s[0:1]
	s_cbranch_vccnz .LBB7_1528
; %bb.1509:
	v_mov_b32_e32 v3, 2
	v_cmp_lt_i16_sdwa s[0:1], s18, v3 src0_sel:BYTE_0 src1_sel:DWORD
	s_and_b64 vcc, exec, s[0:1]
	s_cbranch_vccnz .LBB7_1513
; %bb.1510:
	v_mov_b32_e32 v3, 3
	v_cmp_lt_i16_sdwa s[0:1], s18, v3 src0_sel:BYTE_0 src1_sel:DWORD
	s_and_b64 vcc, exec, s[0:1]
	s_cbranch_vccnz .LBB7_1514
; %bb.1511:
	v_cmp_gt_i16_sdwa s[0:1], s18, v3 src0_sel:BYTE_0 src1_sel:DWORD
	s_and_b64 vcc, exec, s[0:1]
	s_cbranch_vccz .LBB7_1515
; %bb.1512:
	global_load_dwordx2 v[12:13], v[16:17], off
	s_mov_b64 s[0:1], 0
	s_waitcnt vmcnt(0)
	v_cvt_f64_i32_e32 v[18:19], v13
	v_cvt_f64_u32_e32 v[12:13], v12
	v_ldexp_f64 v[18:19], v[18:19], 32
	v_add_f64 v[12:13], v[18:19], v[12:13]
	s_branch .LBB7_1516
.LBB7_1513:
	s_mov_b64 s[0:1], -1
                                        ; implicit-def: $vgpr12_vgpr13
	s_branch .LBB7_1522
.LBB7_1514:
	s_mov_b64 s[0:1], -1
                                        ; implicit-def: $vgpr12_vgpr13
	s_branch .LBB7_1519
.LBB7_1515:
	s_mov_b64 s[0:1], -1
                                        ; implicit-def: $vgpr12_vgpr13
.LBB7_1516:
	s_andn2_b64 vcc, exec, s[0:1]
	s_cbranch_vccnz .LBB7_1518
; %bb.1517:
	global_load_dword v3, v[16:17], off
	s_waitcnt vmcnt(0)
	v_cvt_f64_i32_e32 v[12:13], v3
.LBB7_1518:
	s_mov_b64 s[0:1], 0
.LBB7_1519:
	s_andn2_b64 vcc, exec, s[0:1]
	s_cbranch_vccnz .LBB7_1521
; %bb.1520:
	global_load_sshort v3, v[16:17], off
	s_waitcnt vmcnt(0)
	v_cvt_f64_i32_e32 v[12:13], v3
.LBB7_1521:
	s_mov_b64 s[0:1], 0
.LBB7_1522:
	s_andn2_b64 vcc, exec, s[0:1]
	s_cbranch_vccnz .LBB7_1528
; %bb.1523:
	v_mov_b32_e32 v3, 0
	v_cmp_gt_i16_sdwa s[0:1], s18, v3 src0_sel:BYTE_0 src1_sel:DWORD
	s_and_b64 vcc, exec, s[0:1]
	s_cbranch_vccz .LBB7_1525
; %bb.1524:
	global_load_sbyte v3, v[16:17], off
	s_mov_b64 s[0:1], 0
	s_waitcnt vmcnt(0)
	v_cvt_f64_i32_e32 v[12:13], v3
	s_branch .LBB7_1526
.LBB7_1525:
	s_mov_b64 s[0:1], -1
                                        ; implicit-def: $vgpr12_vgpr13
.LBB7_1526:
	s_andn2_b64 vcc, exec, s[0:1]
	s_cbranch_vccnz .LBB7_1528
; %bb.1527:
	global_load_ubyte v3, v[16:17], off
	s_waitcnt vmcnt(0)
	v_cvt_f64_u32_e32 v[12:13], v3
.LBB7_1528:
.LBB7_1529:
	v_mov_b32_e32 v3, s11
	v_add_co_u32_e32 v16, vcc, s10, v14
	v_addc_co_u32_e32 v17, vcc, 0, v3, vcc
	v_mov_b32_e32 v3, 11
	v_cmp_lt_i16_sdwa s[0:1], s18, v3 src0_sel:BYTE_0 src1_sel:DWORD
	s_and_b64 vcc, exec, s[0:1]
	s_cbranch_vccnz .LBB7_1536
; %bb.1530:
	v_mov_b32_e32 v3, 25
	v_cmp_gt_i16_sdwa s[0:1], s18, v3 src0_sel:BYTE_0 src1_sel:DWORD
	s_mov_b64 s[4:5], 0
	s_and_b64 vcc, exec, s[0:1]
	s_cbranch_vccz .LBB7_1537
; %bb.1531:
	v_mov_b32_e32 v3, 28
	v_cmp_gt_i16_sdwa s[0:1], s18, v3 src0_sel:BYTE_0 src1_sel:DWORD
	s_and_b64 vcc, exec, s[0:1]
	s_cbranch_vccz .LBB7_1538
; %bb.1532:
	v_mov_b32_e32 v3, 43
	v_cmp_gt_i16_sdwa s[0:1], s18, v3 src0_sel:BYTE_0 src1_sel:DWORD
	;; [unrolled: 5-line block ×3, first 2 shown]
	s_and_b64 vcc, exec, s[0:1]
	s_cbranch_vccz .LBB7_1541
; %bb.1534:
	v_mov_b32_e32 v3, 46
	v_cmp_eq_u16_sdwa s[0:1], s18, v3 src0_sel:BYTE_0 src1_sel:DWORD
	s_mov_b64 s[10:11], 0
	s_and_b64 vcc, exec, s[0:1]
	s_cbranch_vccz .LBB7_1542
; %bb.1535:
	global_load_dword v3, v[16:17], off
	s_mov_b64 s[0:1], 0
	s_mov_b64 s[6:7], -1
	s_waitcnt vmcnt(0)
	v_lshlrev_b32_e32 v3, 16, v3
	v_cvt_f64_f32_e32 v[14:15], v3
	s_branch .LBB7_1543
.LBB7_1536:
	s_mov_b64 s[0:1], -1
	s_mov_b64 s[6:7], 0
                                        ; implicit-def: $vgpr14_vgpr15
	s_branch .LBB7_1609
.LBB7_1537:
	s_mov_b64 s[10:11], -1
	s_mov_b64 s[6:7], 0
	s_mov_b64 s[0:1], 0
                                        ; implicit-def: $vgpr14_vgpr15
	s_branch .LBB7_1572
.LBB7_1538:
	s_mov_b64 s[10:11], -1
	s_mov_b64 s[6:7], 0
	s_mov_b64 s[0:1], 0
                                        ; implicit-def: $vgpr14_vgpr15
	s_branch .LBB7_1553
.LBB7_1539:
	s_mov_b64 s[10:11], -1
	s_mov_b64 s[6:7], 0
	s_mov_b64 s[0:1], 0
                                        ; implicit-def: $vgpr14_vgpr15
	s_branch .LBB7_1548
.LBB7_1540:
	s_trap 2
	s_or_b64 s[2:3], s[2:3], exec
                                        ; implicit-def: $vgpr12_vgpr13
	s_cbranch_execz .LBB7_1479
	s_branch .LBB7_1480
.LBB7_1541:
	s_mov_b64 s[10:11], -1
	s_mov_b64 s[6:7], 0
	s_mov_b64 s[0:1], 0
                                        ; implicit-def: $vgpr14_vgpr15
	s_branch .LBB7_1543
.LBB7_1542:
	s_mov_b64 s[0:1], -1
                                        ; implicit-def: $vgpr14_vgpr15
	s_mov_b64 s[6:7], 0
.LBB7_1543:
	s_and_b64 vcc, exec, s[10:11]
	s_cbranch_vccz .LBB7_1547
; %bb.1544:
	v_mov_b32_e32 v3, 44
	v_cmp_eq_u16_sdwa s[0:1], s18, v3 src0_sel:BYTE_0 src1_sel:DWORD
	s_and_b64 vcc, exec, s[0:1]
	s_cbranch_vccz .LBB7_1546
; %bb.1545:
	global_load_ubyte v3, v[16:17], off
	s_movk_i32 s6, 0xff
	s_waitcnt vmcnt(1)
	v_bfrev_b32_e32 v5, 4
	v_mov_b32_e32 v7, 0x7ff80000
	v_bfrev_b32_e32 v9, 28
	s_mov_b64 s[0:1], 0
	s_waitcnt vmcnt(0)
	v_lshlrev_b32_e32 v14, 23, v3
	v_cvt_f64_f32_e32 v[14:15], v14
	v_cmp_ne_u32_e32 vcc, s6, v3
	v_cndmask_b32_e32 v5, v5, v14, vcc
	v_cndmask_b32_e32 v7, v7, v15, vcc
	v_cmp_ne_u32_e32 vcc, 0, v3
	v_cndmask_b32_e32 v15, v9, v7, vcc
	v_cndmask_b32_e32 v14, 0, v5, vcc
	s_mov_b64 s[6:7], -1
	s_branch .LBB7_1547
.LBB7_1546:
	s_mov_b64 s[0:1], -1
                                        ; implicit-def: $vgpr14_vgpr15
.LBB7_1547:
	s_mov_b64 s[10:11], 0
.LBB7_1548:
	s_and_b64 vcc, exec, s[10:11]
	s_cbranch_vccz .LBB7_1552
; %bb.1549:
	v_mov_b32_e32 v3, 29
	v_cmp_eq_u16_sdwa s[0:1], s18, v3 src0_sel:BYTE_0 src1_sel:DWORD
	s_and_b64 vcc, exec, s[0:1]
	s_cbranch_vccz .LBB7_1551
; %bb.1550:
	global_load_dwordx2 v[14:15], v[16:17], off
	s_mov_b64 s[0:1], 0
	s_mov_b64 s[6:7], -1
	s_mov_b64 s[10:11], 0
	s_waitcnt vmcnt(0)
	v_cvt_f64_u32_e32 v[18:19], v15
	v_cvt_f64_u32_e32 v[14:15], v14
	v_ldexp_f64 v[18:19], v[18:19], 32
	v_add_f64 v[14:15], v[18:19], v[14:15]
	s_branch .LBB7_1553
.LBB7_1551:
	s_mov_b64 s[0:1], -1
                                        ; implicit-def: $vgpr14_vgpr15
.LBB7_1552:
	s_mov_b64 s[10:11], 0
.LBB7_1553:
	s_and_b64 vcc, exec, s[10:11]
	s_cbranch_vccz .LBB7_1571
; %bb.1554:
	v_mov_b32_e32 v3, 27
	v_cmp_lt_i16_sdwa s[6:7], s18, v3 src0_sel:BYTE_0 src1_sel:DWORD
	s_and_b64 vcc, exec, s[6:7]
	s_cbranch_vccnz .LBB7_1557
; %bb.1555:
	v_cmp_gt_i16_sdwa s[6:7], s18, v3 src0_sel:BYTE_0 src1_sel:DWORD
	s_and_b64 vcc, exec, s[6:7]
	s_cbranch_vccz .LBB7_1558
; %bb.1556:
	global_load_dword v3, v[16:17], off
	s_mov_b64 s[6:7], 0
	s_waitcnt vmcnt(0)
	v_cvt_f64_u32_e32 v[14:15], v3
	s_branch .LBB7_1559
.LBB7_1557:
	s_mov_b64 s[6:7], -1
                                        ; implicit-def: $vgpr14_vgpr15
	s_branch .LBB7_1562
.LBB7_1558:
	s_mov_b64 s[6:7], -1
                                        ; implicit-def: $vgpr14_vgpr15
.LBB7_1559:
	s_andn2_b64 vcc, exec, s[6:7]
	s_cbranch_vccnz .LBB7_1561
; %bb.1560:
	global_load_ushort v3, v[16:17], off
	s_waitcnt vmcnt(0)
	v_cvt_f64_u32_e32 v[14:15], v3
.LBB7_1561:
	s_mov_b64 s[6:7], 0
.LBB7_1562:
	s_andn2_b64 vcc, exec, s[6:7]
	s_cbranch_vccnz .LBB7_1570
; %bb.1563:
	global_load_ubyte v3, v[16:17], off
	s_movk_i32 s6, 0x7f
                                        ; implicit-def: $sgpr10_sgpr11
	s_waitcnt vmcnt(0)
	v_cmp_lt_i16_e32 vcc, s6, v3
	s_mov_b64 s[6:7], 0
	s_and_saveexec_b64 s[12:13], vcc
	s_xor_b64 s[12:13], exec, s[12:13]
	s_cbranch_execz .LBB7_1584
; %bb.1564:
	s_movk_i32 s6, 0x80
	v_cmp_eq_u16_e32 vcc, s6, v3
	s_mov_b64 s[14:15], -1
                                        ; implicit-def: $sgpr10_sgpr11
	s_and_saveexec_b64 s[6:7], vcc
; %bb.1565:
	s_mov_b32 s11, 0x7ff80000
	s_brev_b32 s10, 4
	s_xor_b64 s[14:15], exec, -1
; %bb.1566:
	s_or_b64 exec, exec, s[6:7]
	s_and_b64 s[6:7], s[14:15], exec
	s_or_saveexec_b64 s[12:13], s[12:13]
	v_pk_mov_b32 v[14:15], s[10:11], s[10:11] op_sel:[0,1]
	s_xor_b64 exec, exec, s[12:13]
	s_cbranch_execnz .LBB7_1585
.LBB7_1567:
	s_or_b64 exec, exec, s[12:13]
	s_and_saveexec_b64 s[10:11], s[6:7]
	s_cbranch_execz .LBB7_1569
.LBB7_1568:
	v_lshlrev_b32_e32 v5, 24, v3
	v_and_b32_e32 v3, 0xffff, v3
	v_and_b32_e32 v7, 7, v3
	v_ffbh_u32_e32 v14, v7
	v_min_u32_e32 v14, 32, v14
	v_subrev_u32_e32 v15, 28, v14
	v_bfe_u32 v9, v3, 3, 4
	v_lshlrev_b32_e32 v3, v15, v3
	v_sub_u32_e32 v14, 29, v14
	v_and_b32_e32 v3, 7, v3
	v_cmp_eq_u32_e32 vcc, 0, v9
	v_cndmask_b32_e32 v9, v9, v14, vcc
	v_cndmask_b32_e32 v3, v7, v3, vcc
	v_mov_b32_e32 v7, 0x3b800000
	v_lshlrev_b32_e32 v3, 20, v3
	v_and_b32_e32 v5, 0x80000000, v5
	v_lshl_add_u32 v7, v9, 23, v7
	v_or3_b32 v3, v5, v7, v3
	v_cvt_f64_f32_e32 v[14:15], v3
.LBB7_1569:
	s_or_b64 exec, exec, s[10:11]
.LBB7_1570:
	s_mov_b64 s[6:7], -1
.LBB7_1571:
	s_mov_b64 s[10:11], 0
.LBB7_1572:
	s_and_b64 vcc, exec, s[10:11]
	s_cbranch_vccz .LBB7_1605
; %bb.1573:
	v_mov_b32_e32 v3, 22
	v_cmp_gt_i16_sdwa s[4:5], s18, v3 src0_sel:BYTE_0 src1_sel:DWORD
	s_and_b64 vcc, exec, s[4:5]
	s_cbranch_vccz .LBB7_1583
; %bb.1574:
	v_mov_b32_e32 v3, 24
	v_cmp_lt_i16_sdwa s[4:5], s18, v3 src0_sel:BYTE_0 src1_sel:DWORD
	s_and_b64 vcc, exec, s[4:5]
	s_cbranch_vccnz .LBB7_1586
; %bb.1575:
	v_cmp_gt_i16_sdwa s[4:5], s18, v3 src0_sel:BYTE_0 src1_sel:DWORD
	s_and_b64 vcc, exec, s[4:5]
	s_cbranch_vccz .LBB7_1587
; %bb.1576:
	global_load_ubyte v3, v[16:17], off
	s_movk_i32 s4, 0x7f
                                        ; implicit-def: $sgpr6_sgpr7
	s_waitcnt vmcnt(0)
	v_cmp_lt_i16_e32 vcc, s4, v3
	s_mov_b64 s[4:5], 0
	s_and_saveexec_b64 s[10:11], vcc
	s_xor_b64 s[10:11], exec, s[10:11]
	s_cbranch_execz .LBB7_1599
; %bb.1577:
	s_movk_i32 s4, 0x80
	v_cmp_eq_u16_e32 vcc, s4, v3
	s_mov_b64 s[12:13], -1
                                        ; implicit-def: $sgpr6_sgpr7
	s_and_saveexec_b64 s[4:5], vcc
; %bb.1578:
	s_mov_b32 s7, 0x7ff80000
	s_brev_b32 s6, 4
	s_xor_b64 s[12:13], exec, -1
; %bb.1579:
	s_or_b64 exec, exec, s[4:5]
	s_and_b64 s[4:5], s[12:13], exec
	s_or_saveexec_b64 s[10:11], s[10:11]
	v_pk_mov_b32 v[14:15], s[6:7], s[6:7] op_sel:[0,1]
	s_xor_b64 exec, exec, s[10:11]
	s_cbranch_execnz .LBB7_1600
.LBB7_1580:
	s_or_b64 exec, exec, s[10:11]
	s_and_saveexec_b64 s[6:7], s[4:5]
	s_cbranch_execz .LBB7_1582
.LBB7_1581:
	v_lshlrev_b32_e32 v5, 24, v3
	v_and_b32_e32 v3, 0xffff, v3
	v_and_b32_e32 v7, 3, v3
	v_ffbh_u32_e32 v14, v7
	v_min_u32_e32 v14, 32, v14
	v_subrev_u32_e32 v15, 29, v14
	v_bfe_u32 v9, v3, 2, 5
	v_lshlrev_b32_e32 v3, v15, v3
	v_sub_u32_e32 v14, 30, v14
	v_and_b32_e32 v3, 3, v3
	v_cmp_eq_u32_e32 vcc, 0, v9
	v_cndmask_b32_e32 v9, v9, v14, vcc
	v_cndmask_b32_e32 v3, v7, v3, vcc
	v_mov_b32_e32 v7, 0x37800000
	v_lshlrev_b32_e32 v3, 21, v3
	v_and_b32_e32 v5, 0x80000000, v5
	v_lshl_add_u32 v7, v9, 23, v7
	v_or3_b32 v3, v5, v7, v3
	v_cvt_f64_f32_e32 v[14:15], v3
.LBB7_1582:
	s_or_b64 exec, exec, s[6:7]
	s_mov_b64 s[4:5], 0
	s_branch .LBB7_1588
.LBB7_1583:
	s_mov_b64 s[4:5], -1
                                        ; implicit-def: $vgpr14_vgpr15
	s_branch .LBB7_1594
.LBB7_1584:
	s_or_saveexec_b64 s[12:13], s[12:13]
	v_pk_mov_b32 v[14:15], s[10:11], s[10:11] op_sel:[0,1]
	s_xor_b64 exec, exec, s[12:13]
	s_cbranch_execz .LBB7_1567
.LBB7_1585:
	v_cmp_ne_u16_e32 vcc, 0, v3
	s_andn2_b64 s[6:7], s[6:7], exec
	s_and_b64 s[10:11], vcc, exec
	v_pk_mov_b32 v[14:15], 0, 0
	s_or_b64 s[6:7], s[6:7], s[10:11]
	s_or_b64 exec, exec, s[12:13]
	s_and_saveexec_b64 s[10:11], s[6:7]
	s_cbranch_execnz .LBB7_1568
	s_branch .LBB7_1569
.LBB7_1586:
	s_mov_b64 s[4:5], -1
                                        ; implicit-def: $vgpr14_vgpr15
	s_branch .LBB7_1591
.LBB7_1587:
	s_mov_b64 s[4:5], -1
                                        ; implicit-def: $vgpr14_vgpr15
.LBB7_1588:
	s_and_b64 vcc, exec, s[4:5]
	s_cbranch_vccz .LBB7_1590
; %bb.1589:
	global_load_ubyte v3, v[16:17], off
	s_mov_b32 s4, 0x7f800000
	s_waitcnt vmcnt(0)
	v_lshlrev_b32_e32 v3, 24, v3
	v_and_b32_e32 v5, 0x7f000000, v3
	v_ffbh_u32_e32 v7, v5
	v_min_u32_e32 v7, 32, v7
	v_sub_u32_e64 v7, v7, 4 clamp
	v_lshlrev_b32_e32 v14, v7, v5
	v_lshlrev_b32_e32 v7, 23, v7
	v_lshrrev_b32_e32 v14, 4, v14
	v_add_u32_e32 v9, 0x1000000, v5
	v_sub_u32_e32 v7, v14, v7
	v_ashrrev_i32_e32 v9, 8, v9
	v_add_u32_e32 v7, 0x3c000000, v7
	v_and_or_b32 v7, v9, s4, v7
	v_cmp_ne_u32_e32 vcc, 0, v5
	v_cndmask_b32_e32 v5, 0, v7, vcc
	s_brev_b32 s4, 1
	v_and_or_b32 v3, v3, s4, v5
	v_cvt_f64_f32_e32 v[14:15], v3
.LBB7_1590:
	s_mov_b64 s[4:5], 0
.LBB7_1591:
	s_andn2_b64 vcc, exec, s[4:5]
	s_cbranch_vccnz .LBB7_1593
; %bb.1592:
	global_load_ubyte v3, v[16:17], off
	s_movk_i32 s4, 0x7f00
	s_brev_b32 s5, 16
	s_waitcnt vmcnt(0)
	v_lshlrev_b16_e32 v5, 8, v3
	v_lshlrev_b32_e32 v3, 25, v3
	v_lshrrev_b32_e32 v7, 4, v3
	v_and_or_b32 v9, v5, s4, 0.5
	v_or_b32_e32 v7, 0x70000000, v7
	v_add_f32_e32 v9, -0.5, v9
	v_mul_f32_e32 v7, 0x7800000, v7
	v_cmp_gt_u32_e32 vcc, s5, v3
	v_bfe_i32 v5, v5, 0, 16
	v_cndmask_b32_e32 v3, v7, v9, vcc
	s_brev_b32 s4, 1
	v_and_or_b32 v3, v5, s4, v3
	v_cvt_f64_f32_e32 v[14:15], v3
.LBB7_1593:
	s_mov_b64 s[4:5], 0
	s_mov_b64 s[6:7], -1
.LBB7_1594:
	s_andn2_b64 vcc, exec, s[4:5]
	s_mov_b64 s[4:5], 0
	s_cbranch_vccnz .LBB7_1605
; %bb.1595:
	v_mov_b32_e32 v3, 14
	v_cmp_gt_i16_sdwa s[4:5], s18, v3 src0_sel:BYTE_0 src1_sel:DWORD
	s_and_b64 vcc, exec, s[4:5]
	s_cbranch_vccz .LBB7_1598
; %bb.1596:
	v_mov_b32_e32 v3, 15
	v_cmp_eq_u16_sdwa s[0:1], s18, v3 src0_sel:BYTE_0 src1_sel:DWORD
	s_and_b64 vcc, exec, s[0:1]
	s_cbranch_vccz .LBB7_1601
; %bb.1597:
	global_load_ushort v3, v[16:17], off
	s_mov_b64 s[0:1], 0
	s_mov_b64 s[6:7], -1
	s_waitcnt vmcnt(0)
	v_lshlrev_b32_e32 v3, 16, v3
	v_cvt_f64_f32_e32 v[14:15], v3
	s_branch .LBB7_1602
.LBB7_1598:
	s_mov_b64 s[10:11], -1
                                        ; implicit-def: $vgpr14_vgpr15
	s_branch .LBB7_1603
.LBB7_1599:
	s_or_saveexec_b64 s[10:11], s[10:11]
	v_pk_mov_b32 v[14:15], s[6:7], s[6:7] op_sel:[0,1]
	s_xor_b64 exec, exec, s[10:11]
	s_cbranch_execz .LBB7_1580
.LBB7_1600:
	v_cmp_ne_u16_e32 vcc, 0, v3
	s_andn2_b64 s[4:5], s[4:5], exec
	s_and_b64 s[6:7], vcc, exec
	v_pk_mov_b32 v[14:15], 0, 0
	s_or_b64 s[4:5], s[4:5], s[6:7]
	s_or_b64 exec, exec, s[10:11]
	s_and_saveexec_b64 s[6:7], s[4:5]
	s_cbranch_execnz .LBB7_1581
	s_branch .LBB7_1582
.LBB7_1601:
	s_mov_b64 s[0:1], -1
                                        ; implicit-def: $vgpr14_vgpr15
.LBB7_1602:
	s_mov_b64 s[10:11], 0
.LBB7_1603:
	s_mov_b64 s[4:5], 0
	s_and_b64 vcc, exec, s[10:11]
	s_cbranch_vccz .LBB7_1605
; %bb.1604:
	v_mov_b32_e32 v3, 11
	v_cmp_ne_u16_sdwa s[0:1], s18, v3 src0_sel:BYTE_0 src1_sel:DWORD
	s_mov_b64 s[4:5], -1
                                        ; implicit-def: $vgpr14_vgpr15
.LBB7_1605:
	s_and_b64 vcc, exec, s[0:1]
	s_cbranch_vccnz .LBB7_1669
; %bb.1606:
	s_andn2_b64 vcc, exec, s[4:5]
	s_cbranch_vccnz .LBB7_1608
.LBB7_1607:
	global_load_ubyte v3, v[16:17], off
	s_waitcnt vmcnt(1)
	v_mov_b32_e32 v5, 0x3ff00000
	v_mov_b32_e32 v14, 0
	s_mov_b64 s[6:7], -1
	s_waitcnt vmcnt(0)
	v_cmp_ne_u16_e32 vcc, 0, v3
	v_cndmask_b32_e32 v15, 0, v5, vcc
.LBB7_1608:
	s_mov_b64 s[0:1], 0
.LBB7_1609:
	s_and_b64 vcc, exec, s[0:1]
	s_cbranch_vccz .LBB7_1658
; %bb.1610:
	v_mov_b32_e32 v3, 5
	v_cmp_lt_i16_sdwa s[0:1], s18, v3 src0_sel:BYTE_0 src1_sel:DWORD
	s_and_b64 vcc, exec, s[0:1]
	s_cbranch_vccnz .LBB7_1615
; %bb.1611:
	v_mov_b32_e32 v3, 8
	v_cmp_lt_i16_sdwa s[0:1], s18, v3 src0_sel:BYTE_0 src1_sel:DWORD
	s_and_b64 vcc, exec, s[0:1]
	s_cbranch_vccnz .LBB7_1616
	;; [unrolled: 5-line block ×3, first 2 shown]
; %bb.1613:
	v_cmp_gt_i16_sdwa s[0:1], s18, v3 src0_sel:BYTE_0 src1_sel:DWORD
	s_and_b64 vcc, exec, s[0:1]
	s_cbranch_vccz .LBB7_1618
; %bb.1614:
	global_load_dwordx2 v[14:15], v[16:17], off
	s_mov_b64 s[0:1], 0
	s_branch .LBB7_1619
.LBB7_1615:
	s_mov_b64 s[0:1], -1
                                        ; implicit-def: $vgpr14_vgpr15
	s_branch .LBB7_1637
.LBB7_1616:
	s_mov_b64 s[0:1], -1
                                        ; implicit-def: $vgpr14_vgpr15
	s_branch .LBB7_1625
.LBB7_1617:
	s_mov_b64 s[0:1], -1
                                        ; implicit-def: $vgpr14_vgpr15
	s_branch .LBB7_1622
.LBB7_1618:
	s_mov_b64 s[0:1], -1
                                        ; implicit-def: $vgpr14_vgpr15
.LBB7_1619:
	s_andn2_b64 vcc, exec, s[0:1]
	s_cbranch_vccnz .LBB7_1621
; %bb.1620:
	global_load_dword v3, v[16:17], off
	s_waitcnt vmcnt(0)
	v_cvt_f64_f32_e32 v[14:15], v3
.LBB7_1621:
	s_mov_b64 s[0:1], 0
.LBB7_1622:
	s_andn2_b64 vcc, exec, s[0:1]
	s_cbranch_vccnz .LBB7_1624
; %bb.1623:
	global_load_dword v3, v[16:17], off
	s_waitcnt vmcnt(0)
	v_cvt_f32_f16_e32 v3, v3
	v_cvt_f64_f32_e32 v[14:15], v3
.LBB7_1624:
	s_mov_b64 s[0:1], 0
.LBB7_1625:
	s_andn2_b64 vcc, exec, s[0:1]
	s_cbranch_vccnz .LBB7_1636
; %bb.1626:
	v_mov_b32_e32 v3, 6
	v_cmp_lt_i16_sdwa s[0:1], s18, v3 src0_sel:BYTE_0 src1_sel:DWORD
	s_and_b64 vcc, exec, s[0:1]
	s_cbranch_vccnz .LBB7_1629
; %bb.1627:
	v_cmp_gt_i16_sdwa s[0:1], s18, v3 src0_sel:BYTE_0 src1_sel:DWORD
	s_and_b64 vcc, exec, s[0:1]
	s_cbranch_vccz .LBB7_1630
; %bb.1628:
	global_load_dwordx2 v[14:15], v[16:17], off
	s_mov_b64 s[0:1], 0
	s_branch .LBB7_1631
.LBB7_1629:
	s_mov_b64 s[0:1], -1
                                        ; implicit-def: $vgpr14_vgpr15
	s_branch .LBB7_1634
.LBB7_1630:
	s_mov_b64 s[0:1], -1
                                        ; implicit-def: $vgpr14_vgpr15
.LBB7_1631:
	s_andn2_b64 vcc, exec, s[0:1]
	s_cbranch_vccnz .LBB7_1633
; %bb.1632:
	global_load_dword v3, v[16:17], off
	s_waitcnt vmcnt(0)
	v_cvt_f64_f32_e32 v[14:15], v3
.LBB7_1633:
	s_mov_b64 s[0:1], 0
.LBB7_1634:
	s_andn2_b64 vcc, exec, s[0:1]
	s_cbranch_vccnz .LBB7_1636
; %bb.1635:
	global_load_ushort v3, v[16:17], off
	s_waitcnt vmcnt(0)
	v_cvt_f32_f16_e32 v3, v3
	v_cvt_f64_f32_e32 v[14:15], v3
.LBB7_1636:
	s_mov_b64 s[0:1], 0
.LBB7_1637:
	s_andn2_b64 vcc, exec, s[0:1]
	s_cbranch_vccnz .LBB7_1657
; %bb.1638:
	v_mov_b32_e32 v3, 2
	v_cmp_lt_i16_sdwa s[0:1], s18, v3 src0_sel:BYTE_0 src1_sel:DWORD
	s_and_b64 vcc, exec, s[0:1]
	s_cbranch_vccnz .LBB7_1642
; %bb.1639:
	v_mov_b32_e32 v3, 3
	v_cmp_lt_i16_sdwa s[0:1], s18, v3 src0_sel:BYTE_0 src1_sel:DWORD
	s_and_b64 vcc, exec, s[0:1]
	s_cbranch_vccnz .LBB7_1643
; %bb.1640:
	v_cmp_gt_i16_sdwa s[0:1], s18, v3 src0_sel:BYTE_0 src1_sel:DWORD
	s_and_b64 vcc, exec, s[0:1]
	s_cbranch_vccz .LBB7_1644
; %bb.1641:
	global_load_dwordx2 v[14:15], v[16:17], off
	s_mov_b64 s[0:1], 0
	s_waitcnt vmcnt(0)
	v_cvt_f64_i32_e32 v[18:19], v15
	v_cvt_f64_u32_e32 v[14:15], v14
	v_ldexp_f64 v[18:19], v[18:19], 32
	v_add_f64 v[14:15], v[18:19], v[14:15]
	s_branch .LBB7_1645
.LBB7_1642:
	s_mov_b64 s[0:1], -1
                                        ; implicit-def: $vgpr14_vgpr15
	s_branch .LBB7_1651
.LBB7_1643:
	s_mov_b64 s[0:1], -1
                                        ; implicit-def: $vgpr14_vgpr15
	s_branch .LBB7_1648
.LBB7_1644:
	s_mov_b64 s[0:1], -1
                                        ; implicit-def: $vgpr14_vgpr15
.LBB7_1645:
	s_andn2_b64 vcc, exec, s[0:1]
	s_cbranch_vccnz .LBB7_1647
; %bb.1646:
	global_load_dword v3, v[16:17], off
	s_waitcnt vmcnt(0)
	v_cvt_f64_i32_e32 v[14:15], v3
.LBB7_1647:
	s_mov_b64 s[0:1], 0
.LBB7_1648:
	s_andn2_b64 vcc, exec, s[0:1]
	s_cbranch_vccnz .LBB7_1650
; %bb.1649:
	global_load_sshort v3, v[16:17], off
	s_waitcnt vmcnt(0)
	v_cvt_f64_i32_e32 v[14:15], v3
.LBB7_1650:
	s_mov_b64 s[0:1], 0
.LBB7_1651:
	s_andn2_b64 vcc, exec, s[0:1]
	s_cbranch_vccnz .LBB7_1657
; %bb.1652:
	v_mov_b32_e32 v3, 0
	v_cmp_gt_i16_sdwa s[0:1], s18, v3 src0_sel:BYTE_0 src1_sel:DWORD
	s_and_b64 vcc, exec, s[0:1]
	s_cbranch_vccz .LBB7_1654
; %bb.1653:
	global_load_sbyte v3, v[16:17], off
	s_mov_b64 s[0:1], 0
	s_waitcnt vmcnt(0)
	v_cvt_f64_i32_e32 v[14:15], v3
	s_branch .LBB7_1655
.LBB7_1654:
	s_mov_b64 s[0:1], -1
                                        ; implicit-def: $vgpr14_vgpr15
.LBB7_1655:
	s_andn2_b64 vcc, exec, s[0:1]
	s_cbranch_vccnz .LBB7_1657
; %bb.1656:
	global_load_ubyte v3, v[16:17], off
	s_waitcnt vmcnt(0)
	v_cvt_f64_u32_e32 v[14:15], v3
.LBB7_1657:
	s_mov_b64 s[6:7], -1
.LBB7_1658:
	s_andn2_b64 vcc, exec, s[6:7]
	s_cbranch_vccnz .LBB7_2044
; %bb.1659:
	s_load_dword s0, s[34:35], 0x160
	s_load_dwordx2 s[4:5], s[34:35], 0x158
	v_mov_b32_e32 v3, s9
	s_waitcnt lgkmcnt(0)
	s_and_b32 s18, s0, 0xff
	s_waitcnt vmcnt(0)
	v_cmp_nge_f64_e64 s[0:1], v[0:1], -s[4:5]
	v_cmp_nge_f64_e32 vcc, s[4:5], v[0:1]
	s_or_b64 vcc, s[0:1], vcc
	v_cndmask_b32_e32 v1, 0, v1, vcc
	v_cndmask_b32_e32 v0, 0, v0, vcc
	v_add_co_u32_e32 v16, vcc, s8, v2
	v_addc_co_u32_e32 v17, vcc, 0, v3, vcc
	v_cmp_lt_i16_e64 s[6:7], s18, 11
	s_and_b64 vcc, exec, s[6:7]
	s_cbranch_vccnz .LBB7_1666
; %bb.1660:
	v_cmp_gt_i16_e64 s[0:1], s18, 25
	s_mov_b64 s[14:15], -1
	s_mov_b64 s[10:11], 0
	s_and_b64 vcc, exec, s[0:1]
	s_mov_b64 s[12:13], 0
	s_mov_b64 s[0:1], 0
	s_cbranch_vccz .LBB7_1698
; %bb.1661:
	v_cmp_gt_i16_e64 s[0:1], s18, 28
	s_and_b64 vcc, exec, s[0:1]
	s_cbranch_vccz .LBB7_1667
; %bb.1662:
	v_cmp_gt_i16_e64 s[0:1], s18, 43
	s_and_b64 vcc, exec, s[0:1]
	;; [unrolled: 4-line block ×3, first 2 shown]
	s_cbranch_vccz .LBB7_1670
; %bb.1664:
	v_cmp_eq_u16_e64 s[12:13], s18, 46
	s_mov_b64 s[0:1], -1
	s_mov_b64 s[14:15], 0
	s_and_b64 vcc, exec, s[12:13]
	s_mov_b64 s[12:13], 0
	s_cbranch_vccz .LBB7_1671
; %bb.1665:
	v_cvt_f32_f64_e32 v2, v[0:1]
	v_bfe_u32 v3, v2, 16, 1
	s_movk_i32 s0, 0x7fff
	v_add3_u32 v3, v2, v3, s0
	v_lshrrev_b32_e32 v3, 16, v3
	v_mov_b32_e32 v5, 0x7fc0
	v_cmp_o_f32_e32 vcc, v2, v2
	v_cndmask_b32_e32 v2, v5, v3, vcc
	global_store_dword v[16:17], v2, off
	s_mov_b64 s[0:1], 0
	s_mov_b64 s[12:13], -1
	s_branch .LBB7_1671
.LBB7_1666:
	s_mov_b64 s[0:1], -1
	s_mov_b64 s[12:13], 0
	s_branch .LBB7_1742
.LBB7_1667:
	s_mov_b64 s[0:1], 0
	s_branch .LBB7_1681
.LBB7_1668:
	s_mov_b64 s[0:1], 0
	s_branch .LBB7_1677
.LBB7_1669:
	s_trap 2
	s_or_b64 s[2:3], s[2:3], exec
                                        ; implicit-def: $vgpr14_vgpr15
	s_cbranch_execz .LBB7_1607
	s_branch .LBB7_1608
.LBB7_1670:
	s_mov_b64 s[0:1], 0
.LBB7_1671:
	s_and_b64 vcc, exec, s[14:15]
	s_cbranch_vccz .LBB7_1676
; %bb.1672:
	v_cmp_eq_u16_e64 s[14:15], s18, 44
	s_mov_b64 s[0:1], -1
	s_and_b64 vcc, exec, s[14:15]
	s_cbranch_vccz .LBB7_1676
; %bb.1673:
	v_cvt_f32_f64_e32 v2, v[0:1]
	v_bfe_u32 v3, v2, 23, 8
	s_movk_i32 s0, 0xff
	v_cmp_ne_u32_e32 vcc, s0, v3
	v_mov_b32_e32 v5, 0xff
	s_and_saveexec_b64 s[12:13], vcc
; %bb.1674:
	s_mov_b32 s0, 0x3fffff
	v_lshrrev_b32_e32 v5, 23, v2
	v_and_b32_e32 v7, 0x400000, v2
	v_and_or_b32 v2, v2, s0, v3
	v_cmp_ne_u32_e32 vcc, 0, v7
	v_cmp_ne_u32_e64 s[0:1], 0, v2
	s_and_b64 s[0:1], vcc, s[0:1]
	v_cndmask_b32_e64 v2, 0, 1, s[0:1]
	v_add_u32_e32 v5, v5, v2
; %bb.1675:
	s_or_b64 exec, exec, s[12:13]
	s_mov_b64 s[0:1], 0
	s_mov_b64 s[12:13], -1
	global_store_byte v[16:17], v5, off
.LBB7_1676:
	s_mov_b64 s[14:15], 0
.LBB7_1677:
	s_and_b64 vcc, exec, s[14:15]
	s_cbranch_vccz .LBB7_1680
; %bb.1678:
	v_cmp_eq_u16_e64 s[14:15], s18, 29
	s_mov_b64 s[0:1], -1
	s_and_b64 vcc, exec, s[14:15]
	s_cbranch_vccz .LBB7_1680
; %bb.1679:
	v_trunc_f64_e32 v[2:3], v[0:1]
	s_movk_i32 s0, 0xffe0
	v_ldexp_f64 v[18:19], v[2:3], s0
	v_floor_f64_e32 v[18:19], v[18:19]
	v_fmac_f64_e32 v[2:3], 0xc1f00000, v[18:19]
	v_cvt_u32_f64_e32 v21, v[18:19]
	v_cvt_u32_f64_e32 v20, v[2:3]
	global_store_dwordx2 v[16:17], v[20:21], off
	s_mov_b64 s[0:1], 0
	s_mov_b64 s[12:13], -1
.LBB7_1680:
	s_mov_b64 s[14:15], 0
.LBB7_1681:
	s_and_b64 vcc, exec, s[14:15]
	s_cbranch_vccz .LBB7_1697
; %bb.1682:
	v_cmp_lt_i16_e64 s[14:15], s18, 27
	s_mov_b64 s[12:13], -1
	s_and_b64 vcc, exec, s[14:15]
	s_cbranch_vccnz .LBB7_1688
; %bb.1683:
	v_cmp_gt_i16_e64 s[14:15], s18, 27
	s_and_b64 vcc, exec, s[14:15]
	v_cvt_u32_f64_e32 v2, v[0:1]
	s_cbranch_vccz .LBB7_1685
; %bb.1684:
	s_mov_b64 s[12:13], 0
	global_store_dword v[16:17], v2, off
.LBB7_1685:
	s_andn2_b64 vcc, exec, s[12:13]
	s_cbranch_vccnz .LBB7_1687
; %bb.1686:
	global_store_short v[16:17], v2, off
.LBB7_1687:
	s_mov_b64 s[12:13], 0
.LBB7_1688:
	s_andn2_b64 vcc, exec, s[12:13]
	s_cbranch_vccnz .LBB7_1696
; %bb.1689:
	v_cvt_f32_f64_e32 v2, v[0:1]
	v_and_b32_e32 v3, 0x7fffffff, v2
	s_mov_b32 s12, 0x43800000
	v_cmp_gt_u32_e32 vcc, s12, v3
	v_mov_b32_e32 v5, 0x80
	s_and_saveexec_b64 s[12:13], vcc
	s_cbranch_execz .LBB7_1695
; %bb.1690:
	s_mov_b32 s14, 0x3bffffff
	v_cmp_lt_u32_e32 vcc, s14, v3
	s_mov_b64 s[14:15], 0
                                        ; implicit-def: $vgpr3
	s_and_saveexec_b64 s[16:17], vcc
	s_xor_b64 s[16:17], exec, s[16:17]
	s_cbranch_execz .LBB7_1791
; %bb.1691:
	v_bfe_u32 v3, v2, 20, 1
	s_mov_b32 s19, 0x487ffff
	v_add3_u32 v3, v2, v3, s19
	s_mov_b64 s[14:15], exec
	v_lshrrev_b32_e32 v3, 20, v3
	s_or_saveexec_b64 s[16:17], s[16:17]
                                        ; implicit-def: $sgpr19
	s_xor_b64 exec, exec, s[16:17]
	s_cbranch_execnz .LBB7_1792
.LBB7_1692:
	s_or_b64 exec, exec, s[16:17]
	v_mov_b32_e32 v5, s19
	s_and_saveexec_b64 s[16:17], s[14:15]
.LBB7_1693:
	v_lshrrev_b32_e32 v2, 24, v2
	s_movk_i32 s14, 0x80
	v_and_or_b32 v5, v2, s14, v3
.LBB7_1694:
	s_or_b64 exec, exec, s[16:17]
.LBB7_1695:
	s_or_b64 exec, exec, s[12:13]
	global_store_byte v[16:17], v5, off
.LBB7_1696:
	s_mov_b64 s[12:13], -1
.LBB7_1697:
	s_mov_b64 s[14:15], 0
.LBB7_1698:
	s_and_b64 vcc, exec, s[14:15]
	s_cbranch_vccz .LBB7_1738
; %bb.1699:
	v_cmp_gt_i16_e64 s[14:15], s18, 22
	s_mov_b64 s[10:11], -1
	s_and_b64 vcc, exec, s[14:15]
	s_cbranch_vccz .LBB7_1731
; %bb.1700:
	v_cmp_lt_i16_e64 s[12:13], s18, 24
	s_and_b64 vcc, exec, s[12:13]
	s_cbranch_vccnz .LBB7_1720
; %bb.1701:
	v_cmp_gt_i16_e64 s[12:13], s18, 24
	s_and_b64 vcc, exec, s[12:13]
	s_cbranch_vccz .LBB7_1709
; %bb.1702:
	v_cvt_f32_f64_e32 v2, v[0:1]
	v_and_b32_e32 v3, 0x7fffffff, v2
	s_mov_b32 s10, 0x47800000
	v_cmp_gt_u32_e32 vcc, s10, v3
	v_mov_b32_e32 v5, 0x80
	s_and_saveexec_b64 s[10:11], vcc
	s_cbranch_execz .LBB7_1708
; %bb.1703:
	s_mov_b32 s12, 0x37ffffff
	v_cmp_lt_u32_e32 vcc, s12, v3
	s_mov_b64 s[12:13], 0
                                        ; implicit-def: $vgpr3
	s_and_saveexec_b64 s[14:15], vcc
	s_xor_b64 s[14:15], exec, s[14:15]
	s_cbranch_execz .LBB7_1795
; %bb.1704:
	v_bfe_u32 v3, v2, 21, 1
	s_mov_b32 s16, 0x88fffff
	v_add3_u32 v3, v2, v3, s16
	s_mov_b64 s[12:13], exec
	v_lshrrev_b32_e32 v3, 21, v3
	s_or_saveexec_b64 s[14:15], s[14:15]
                                        ; implicit-def: $sgpr16
	s_xor_b64 exec, exec, s[14:15]
	s_cbranch_execnz .LBB7_1796
.LBB7_1705:
	s_or_b64 exec, exec, s[14:15]
	v_mov_b32_e32 v5, s16
	s_and_saveexec_b64 s[14:15], s[12:13]
.LBB7_1706:
	v_lshrrev_b32_e32 v2, 24, v2
	s_movk_i32 s12, 0x80
	v_and_or_b32 v5, v2, s12, v3
.LBB7_1707:
	s_or_b64 exec, exec, s[14:15]
.LBB7_1708:
	s_or_b64 exec, exec, s[10:11]
	s_mov_b64 s[10:11], 0
	global_store_byte v[16:17], v5, off
.LBB7_1709:
	s_and_b64 vcc, exec, s[10:11]
	s_cbranch_vccz .LBB7_1719
; %bb.1710:
	v_cvt_f32_f64_e32 v2, v[0:1]
	v_and_b32_e32 v5, 0x7fffffff, v2
	s_mov_b32 s10, 0x43f00000
	v_cmp_gt_u32_e32 vcc, s10, v5
                                        ; implicit-def: $vgpr3
	s_and_saveexec_b64 s[10:11], vcc
	s_xor_b64 s[10:11], exec, s[10:11]
	s_cbranch_execz .LBB7_1716
; %bb.1711:
	s_mov_b32 s12, 0x3c7fffff
	v_cmp_lt_u32_e32 vcc, s12, v5
                                        ; implicit-def: $vgpr3
	s_and_saveexec_b64 s[12:13], vcc
	s_xor_b64 s[12:13], exec, s[12:13]
; %bb.1712:
	v_bfe_u32 v3, v2, 20, 1
	s_mov_b32 s14, 0x407ffff
	v_add3_u32 v3, v2, v3, s14
	v_lshrrev_b32_e32 v5, 20, v3
	v_and_b32_e32 v3, 0xff00000, v3
	s_mov_b32 s14, 0x7f00000
	v_mov_b32_e32 v7, 0x7e
	v_cmp_ne_u32_e32 vcc, s14, v3
	v_cndmask_b32_e32 v3, v7, v5, vcc
; %bb.1713:
	s_andn2_saveexec_b64 s[12:13], s[12:13]
; %bb.1714:
	s_mov_b32 s14, 0x46800000
	v_add_f32_e64 v3, |v2|, s14
; %bb.1715:
	s_or_b64 exec, exec, s[12:13]
                                        ; implicit-def: $vgpr5
.LBB7_1716:
	s_andn2_saveexec_b64 s[10:11], s[10:11]
; %bb.1717:
	s_mov_b32 s12, 0x7f800000
	v_mov_b32_e32 v3, 0x7e
	v_mov_b32_e32 v7, 0x7f
	v_cmp_lt_u32_e32 vcc, s12, v5
	v_cndmask_b32_e32 v3, v3, v7, vcc
; %bb.1718:
	s_or_b64 exec, exec, s[10:11]
	v_lshrrev_b32_e32 v2, 24, v2
	s_movk_i32 s10, 0x80
	v_and_or_b32 v2, v2, s10, v3
	global_store_byte v[16:17], v2, off
.LBB7_1719:
	s_mov_b64 s[10:11], 0
.LBB7_1720:
	s_andn2_b64 vcc, exec, s[10:11]
	s_cbranch_vccnz .LBB7_1730
; %bb.1721:
	v_cvt_f32_f64_e32 v2, v[0:1]
	v_and_b32_e32 v5, 0x7fffffff, v2
	s_mov_b32 s10, 0x47800000
	v_cmp_gt_u32_e32 vcc, s10, v5
                                        ; implicit-def: $vgpr3
	s_and_saveexec_b64 s[10:11], vcc
	s_xor_b64 s[10:11], exec, s[10:11]
	s_cbranch_execz .LBB7_1727
; %bb.1722:
	s_mov_b32 s12, 0x387fffff
	v_cmp_lt_u32_e32 vcc, s12, v5
                                        ; implicit-def: $vgpr3
	s_and_saveexec_b64 s[12:13], vcc
	s_xor_b64 s[12:13], exec, s[12:13]
; %bb.1723:
	v_bfe_u32 v3, v2, 21, 1
	s_mov_b32 s14, 0x80fffff
	v_add3_u32 v3, v2, v3, s14
	v_lshrrev_b32_e32 v3, 21, v3
; %bb.1724:
	s_andn2_saveexec_b64 s[12:13], s[12:13]
; %bb.1725:
	s_mov_b32 s14, 0x43000000
	v_add_f32_e64 v3, |v2|, s14
; %bb.1726:
	s_or_b64 exec, exec, s[12:13]
                                        ; implicit-def: $vgpr5
.LBB7_1727:
	s_andn2_saveexec_b64 s[10:11], s[10:11]
; %bb.1728:
	s_mov_b32 s12, 0x7f800000
	v_mov_b32_e32 v3, 0x7c
	v_mov_b32_e32 v7, 0x7f
	v_cmp_lt_u32_e32 vcc, s12, v5
	v_cndmask_b32_e32 v3, v3, v7, vcc
; %bb.1729:
	s_or_b64 exec, exec, s[10:11]
	v_lshrrev_b32_e32 v2, 24, v2
	s_movk_i32 s10, 0x80
	v_and_or_b32 v2, v2, s10, v3
	global_store_byte v[16:17], v2, off
.LBB7_1730:
	s_mov_b64 s[10:11], 0
	s_mov_b64 s[12:13], -1
.LBB7_1731:
	s_andn2_b64 vcc, exec, s[10:11]
	s_mov_b64 s[10:11], 0
	s_cbranch_vccnz .LBB7_1738
; %bb.1732:
	v_cmp_gt_i16_e64 s[10:11], s18, 14
	s_mov_b64 s[14:15], -1
	s_and_b64 vcc, exec, s[10:11]
	s_cbranch_vccz .LBB7_1736
; %bb.1733:
	v_cmp_eq_u16_e64 s[10:11], s18, 15
	s_mov_b64 s[0:1], -1
	s_and_b64 vcc, exec, s[10:11]
	s_cbranch_vccz .LBB7_1735
; %bb.1734:
	v_cvt_f32_f64_e32 v2, v[0:1]
	v_bfe_u32 v3, v2, 16, 1
	s_movk_i32 s0, 0x7fff
	v_add3_u32 v3, v2, v3, s0
	v_lshrrev_b32_e32 v3, 16, v3
	v_mov_b32_e32 v5, 0x7fc0
	v_cmp_o_f32_e32 vcc, v2, v2
	v_cndmask_b32_e32 v2, v5, v3, vcc
	global_store_short v[16:17], v2, off
	s_mov_b64 s[0:1], 0
	s_mov_b64 s[12:13], -1
.LBB7_1735:
	s_mov_b64 s[14:15], 0
.LBB7_1736:
	s_mov_b64 s[10:11], 0
	s_and_b64 vcc, exec, s[14:15]
	s_cbranch_vccz .LBB7_1738
; %bb.1737:
	v_cmp_ne_u16_e64 s[0:1], s18, 11
	s_mov_b64 s[10:11], -1
.LBB7_1738:
	s_and_b64 vcc, exec, s[0:1]
	s_cbranch_vccnz .LBB7_1794
; %bb.1739:
	s_andn2_b64 vcc, exec, s[10:11]
	s_cbranch_vccnz .LBB7_1741
.LBB7_1740:
	v_cmp_neq_f64_e32 vcc, 0, v[0:1]
	v_cndmask_b32_e64 v2, 0, 1, vcc
	s_mov_b64 s[12:13], -1
	global_store_byte v[16:17], v2, off
.LBB7_1741:
	s_mov_b64 s[0:1], 0
.LBB7_1742:
	s_and_b64 vcc, exec, s[0:1]
	s_cbranch_vccz .LBB7_1781
; %bb.1743:
	v_cmp_lt_i16_e64 s[10:11], s18, 5
	s_mov_b64 s[0:1], -1
	s_and_b64 vcc, exec, s[10:11]
	s_cbranch_vccnz .LBB7_1764
; %bb.1744:
	v_cmp_lt_i16_e64 s[10:11], s18, 8
	s_and_b64 vcc, exec, s[10:11]
	s_cbranch_vccnz .LBB7_1754
; %bb.1745:
	v_cmp_lt_i16_e64 s[10:11], s18, 9
	s_and_b64 vcc, exec, s[10:11]
	s_cbranch_vccnz .LBB7_1751
; %bb.1746:
	v_cmp_gt_i16_e64 s[10:11], s18, 9
	s_and_b64 vcc, exec, s[10:11]
	s_cbranch_vccz .LBB7_1748
; %bb.1747:
	v_mov_b32_e32 v2, 0
	v_mov_b32_e32 v3, v2
	global_store_dwordx4 v[16:17], v[0:3], off
	s_mov_b64 s[0:1], 0
.LBB7_1748:
	s_andn2_b64 vcc, exec, s[0:1]
	s_cbranch_vccnz .LBB7_1750
; %bb.1749:
	v_cvt_f32_f64_e32 v2, v[0:1]
	v_mov_b32_e32 v3, 0
	global_store_dwordx2 v[16:17], v[2:3], off
.LBB7_1750:
	s_mov_b64 s[0:1], 0
.LBB7_1751:
	s_andn2_b64 vcc, exec, s[0:1]
	s_cbranch_vccnz .LBB7_1753
; %bb.1752:
	v_cvt_f32_f64_e32 v2, v[0:1]
	v_cvt_f16_f32_e32 v2, v2
	global_store_dword v[16:17], v2, off
.LBB7_1753:
	s_mov_b64 s[0:1], 0
.LBB7_1754:
	s_andn2_b64 vcc, exec, s[0:1]
	s_cbranch_vccnz .LBB7_1763
; %bb.1755:
	v_cmp_lt_i16_e64 s[10:11], s18, 6
	s_mov_b64 s[0:1], -1
	s_and_b64 vcc, exec, s[10:11]
	s_cbranch_vccnz .LBB7_1761
; %bb.1756:
	v_cmp_gt_i16_e64 s[10:11], s18, 6
	s_and_b64 vcc, exec, s[10:11]
	s_cbranch_vccz .LBB7_1758
; %bb.1757:
	global_store_dwordx2 v[16:17], v[0:1], off
	s_mov_b64 s[0:1], 0
.LBB7_1758:
	s_andn2_b64 vcc, exec, s[0:1]
	s_cbranch_vccnz .LBB7_1760
; %bb.1759:
	v_cvt_f32_f64_e32 v2, v[0:1]
	global_store_dword v[16:17], v2, off
.LBB7_1760:
	s_mov_b64 s[0:1], 0
.LBB7_1761:
	s_andn2_b64 vcc, exec, s[0:1]
	s_cbranch_vccnz .LBB7_1763
; %bb.1762:
	v_cvt_f32_f64_e32 v2, v[0:1]
	v_cvt_f16_f32_e32 v2, v2
	global_store_short v[16:17], v2, off
.LBB7_1763:
	s_mov_b64 s[0:1], 0
.LBB7_1764:
	s_andn2_b64 vcc, exec, s[0:1]
	s_cbranch_vccnz .LBB7_1780
; %bb.1765:
	v_cmp_lt_i16_e64 s[10:11], s18, 2
	s_mov_b64 s[0:1], -1
	s_and_b64 vcc, exec, s[10:11]
	s_cbranch_vccnz .LBB7_1775
; %bb.1766:
	v_cmp_lt_i16_e64 s[10:11], s18, 3
	s_and_b64 vcc, exec, s[10:11]
	s_cbranch_vccnz .LBB7_1772
; %bb.1767:
	v_cmp_gt_i16_e64 s[10:11], s18, 3
	s_and_b64 vcc, exec, s[10:11]
	s_cbranch_vccz .LBB7_1769
; %bb.1768:
	v_trunc_f64_e32 v[2:3], v[0:1]
	s_movk_i32 s0, 0xffe0
	v_ldexp_f64 v[18:19], v[2:3], s0
	v_floor_f64_e32 v[18:19], v[18:19]
	v_fmac_f64_e32 v[2:3], 0xc1f00000, v[18:19]
	v_cvt_i32_f64_e32 v21, v[18:19]
	v_cvt_u32_f64_e32 v20, v[2:3]
	global_store_dwordx2 v[16:17], v[20:21], off
	s_mov_b64 s[0:1], 0
.LBB7_1769:
	s_andn2_b64 vcc, exec, s[0:1]
	s_cbranch_vccnz .LBB7_1771
; %bb.1770:
	v_cvt_i32_f64_e32 v2, v[0:1]
	global_store_dword v[16:17], v2, off
.LBB7_1771:
	s_mov_b64 s[0:1], 0
.LBB7_1772:
	s_andn2_b64 vcc, exec, s[0:1]
	s_cbranch_vccnz .LBB7_1774
; %bb.1773:
	v_cvt_i32_f64_e32 v2, v[0:1]
	global_store_short v[16:17], v2, off
.LBB7_1774:
	s_mov_b64 s[0:1], 0
.LBB7_1775:
	s_andn2_b64 vcc, exec, s[0:1]
	s_cbranch_vccnz .LBB7_1780
; %bb.1776:
	v_cmp_gt_i16_e64 s[10:11], s18, 0
	s_mov_b64 s[0:1], -1
	s_and_b64 vcc, exec, s[10:11]
	s_cbranch_vccz .LBB7_1778
; %bb.1777:
	v_cvt_i32_f64_e32 v2, v[0:1]
	global_store_byte v[16:17], v2, off
	s_mov_b64 s[0:1], 0
.LBB7_1778:
	s_andn2_b64 vcc, exec, s[0:1]
	s_cbranch_vccnz .LBB7_1780
; %bb.1779:
	v_trunc_f64_e32 v[0:1], v[0:1]
	s_movk_i32 s0, 0xffe0
	v_ldexp_f64 v[2:3], v[0:1], s0
	v_floor_f64_e32 v[2:3], v[2:3]
	v_fmac_f64_e32 v[0:1], 0xc1f00000, v[2:3]
	v_cvt_u32_f64_e32 v0, v[0:1]
	global_store_byte v[16:17], v0, off
.LBB7_1780:
	s_mov_b64 s[12:13], -1
.LBB7_1781:
	s_andn2_b64 vcc, exec, s[12:13]
	s_cbranch_vccnz .LBB7_2044
; %bb.1782:
	v_cmp_nge_f64_e64 s[0:1], v[10:11], -s[4:5]
	v_cmp_nge_f64_e32 vcc, s[4:5], v[10:11]
	s_or_b64 vcc, s[0:1], vcc
	v_cndmask_b32_e32 v1, 0, v11, vcc
	v_cndmask_b32_e32 v0, 0, v10, vcc
	v_mov_b32_e32 v2, s9
	v_add_co_u32_e32 v8, vcc, s8, v8
	v_addc_co_u32_e32 v9, vcc, 0, v2, vcc
	s_and_b64 vcc, exec, s[6:7]
	s_cbranch_vccnz .LBB7_1789
; %bb.1783:
	v_cmp_gt_i16_e64 s[0:1], s18, 25
	s_mov_b64 s[14:15], -1
	s_mov_b64 s[10:11], 0
	s_and_b64 vcc, exec, s[0:1]
	s_mov_b64 s[12:13], 0
	s_mov_b64 s[0:1], 0
	s_cbranch_vccz .LBB7_1825
; %bb.1784:
	v_cmp_gt_i16_e64 s[0:1], s18, 28
	s_and_b64 vcc, exec, s[0:1]
	s_cbranch_vccz .LBB7_1790
; %bb.1785:
	v_cmp_gt_i16_e64 s[0:1], s18, 43
	s_and_b64 vcc, exec, s[0:1]
	;; [unrolled: 4-line block ×3, first 2 shown]
	s_cbranch_vccz .LBB7_1797
; %bb.1787:
	v_cmp_eq_u16_e64 s[12:13], s18, 46
	s_mov_b64 s[0:1], -1
	s_mov_b64 s[14:15], 0
	s_and_b64 vcc, exec, s[12:13]
	s_mov_b64 s[12:13], 0
	s_cbranch_vccz .LBB7_1798
; %bb.1788:
	v_cvt_f32_f64_e32 v2, v[0:1]
	v_bfe_u32 v3, v2, 16, 1
	s_movk_i32 s0, 0x7fff
	v_add3_u32 v3, v2, v3, s0
	v_lshrrev_b32_e32 v3, 16, v3
	v_mov_b32_e32 v5, 0x7fc0
	v_cmp_o_f32_e32 vcc, v2, v2
	v_cndmask_b32_e32 v2, v5, v3, vcc
	global_store_dword v[8:9], v2, off
	s_mov_b64 s[0:1], 0
	s_mov_b64 s[12:13], -1
	s_branch .LBB7_1798
.LBB7_1789:
	s_mov_b64 s[0:1], -1
	s_mov_b64 s[12:13], 0
	s_branch .LBB7_1869
.LBB7_1790:
	s_mov_b64 s[0:1], 0
	s_branch .LBB7_1808
.LBB7_1791:
	s_or_saveexec_b64 s[16:17], s[16:17]
                                        ; implicit-def: $sgpr19
	s_xor_b64 exec, exec, s[16:17]
	s_cbranch_execz .LBB7_1692
.LBB7_1792:
	s_mov_b32 s19, 0x46000000
	v_add_f32_e64 v3, |v2|, s19
	v_and_b32_e32 v3, 0xff, v3
	v_cmp_ne_u32_e32 vcc, 0, v3
	s_andn2_b64 s[14:15], s[14:15], exec
	s_and_b64 s[20:21], vcc, exec
	s_mov_b32 s19, 0
	s_or_b64 s[14:15], s[14:15], s[20:21]
	s_or_b64 exec, exec, s[16:17]
	v_mov_b32_e32 v5, s19
	s_and_saveexec_b64 s[16:17], s[14:15]
	s_cbranch_execnz .LBB7_1693
	s_branch .LBB7_1694
.LBB7_1793:
	s_mov_b64 s[0:1], 0
	s_branch .LBB7_1804
.LBB7_1794:
	s_trap 2
	s_or_b64 s[2:3], s[2:3], exec
	s_cbranch_execz .LBB7_1740
	s_branch .LBB7_1741
.LBB7_1795:
	s_or_saveexec_b64 s[14:15], s[14:15]
                                        ; implicit-def: $sgpr16
	s_xor_b64 exec, exec, s[14:15]
	s_cbranch_execz .LBB7_1705
.LBB7_1796:
	s_mov_b32 s16, 0x42800000
	v_add_f32_e64 v3, |v2|, s16
	v_and_b32_e32 v3, 0xff, v3
	v_cmp_ne_u32_e32 vcc, 0, v3
	s_andn2_b64 s[12:13], s[12:13], exec
	s_and_b64 s[20:21], vcc, exec
	s_mov_b32 s16, 0
	s_or_b64 s[12:13], s[12:13], s[20:21]
	s_or_b64 exec, exec, s[14:15]
	v_mov_b32_e32 v5, s16
	s_and_saveexec_b64 s[14:15], s[12:13]
	s_cbranch_execnz .LBB7_1706
	s_branch .LBB7_1707
.LBB7_1797:
	s_mov_b64 s[0:1], 0
.LBB7_1798:
	s_and_b64 vcc, exec, s[14:15]
	s_cbranch_vccz .LBB7_1803
; %bb.1799:
	v_cmp_eq_u16_e64 s[14:15], s18, 44
	s_mov_b64 s[0:1], -1
	s_and_b64 vcc, exec, s[14:15]
	s_cbranch_vccz .LBB7_1803
; %bb.1800:
	v_cvt_f32_f64_e32 v2, v[0:1]
	v_bfe_u32 v3, v2, 23, 8
	s_movk_i32 s0, 0xff
	v_cmp_ne_u32_e32 vcc, s0, v3
	v_mov_b32_e32 v5, 0xff
	s_and_saveexec_b64 s[12:13], vcc
; %bb.1801:
	s_mov_b32 s0, 0x3fffff
	v_lshrrev_b32_e32 v5, 23, v2
	v_and_b32_e32 v7, 0x400000, v2
	v_and_or_b32 v2, v2, s0, v3
	v_cmp_ne_u32_e32 vcc, 0, v7
	v_cmp_ne_u32_e64 s[0:1], 0, v2
	s_and_b64 s[0:1], vcc, s[0:1]
	v_cndmask_b32_e64 v2, 0, 1, s[0:1]
	v_add_u32_e32 v5, v5, v2
; %bb.1802:
	s_or_b64 exec, exec, s[12:13]
	s_mov_b64 s[0:1], 0
	s_mov_b64 s[12:13], -1
	global_store_byte v[8:9], v5, off
.LBB7_1803:
	s_mov_b64 s[14:15], 0
.LBB7_1804:
	s_and_b64 vcc, exec, s[14:15]
	s_cbranch_vccz .LBB7_1807
; %bb.1805:
	v_cmp_eq_u16_e64 s[14:15], s18, 29
	s_mov_b64 s[0:1], -1
	s_and_b64 vcc, exec, s[14:15]
	s_cbranch_vccz .LBB7_1807
; %bb.1806:
	v_trunc_f64_e32 v[2:3], v[0:1]
	s_movk_i32 s0, 0xffe0
	v_ldexp_f64 v[10:11], v[2:3], s0
	v_floor_f64_e32 v[10:11], v[10:11]
	v_fmac_f64_e32 v[2:3], 0xc1f00000, v[10:11]
	v_cvt_u32_f64_e32 v17, v[10:11]
	v_cvt_u32_f64_e32 v16, v[2:3]
	global_store_dwordx2 v[8:9], v[16:17], off
	s_mov_b64 s[0:1], 0
	s_mov_b64 s[12:13], -1
.LBB7_1807:
	s_mov_b64 s[14:15], 0
.LBB7_1808:
	s_and_b64 vcc, exec, s[14:15]
	s_cbranch_vccz .LBB7_1824
; %bb.1809:
	v_cmp_lt_i16_e64 s[14:15], s18, 27
	s_mov_b64 s[12:13], -1
	s_and_b64 vcc, exec, s[14:15]
	s_cbranch_vccnz .LBB7_1815
; %bb.1810:
	v_cmp_gt_i16_e64 s[14:15], s18, 27
	s_and_b64 vcc, exec, s[14:15]
	s_cbranch_vccz .LBB7_1812
; %bb.1811:
	v_cvt_u32_f64_e32 v2, v[0:1]
	s_mov_b64 s[12:13], 0
	global_store_dword v[8:9], v2, off
.LBB7_1812:
	s_andn2_b64 vcc, exec, s[12:13]
	s_cbranch_vccnz .LBB7_1814
; %bb.1813:
	v_cvt_u32_f64_e32 v2, v[0:1]
	global_store_short v[8:9], v2, off
.LBB7_1814:
	s_mov_b64 s[12:13], 0
.LBB7_1815:
	s_andn2_b64 vcc, exec, s[12:13]
	s_cbranch_vccnz .LBB7_1823
; %bb.1816:
	v_cvt_f32_f64_e32 v2, v[0:1]
	v_and_b32_e32 v3, 0x7fffffff, v2
	s_mov_b32 s12, 0x43800000
	v_cmp_gt_u32_e32 vcc, s12, v3
	v_mov_b32_e32 v5, 0x80
	s_and_saveexec_b64 s[12:13], vcc
	s_cbranch_execz .LBB7_1822
; %bb.1817:
	s_mov_b32 s14, 0x3bffffff
	v_cmp_lt_u32_e32 vcc, s14, v3
	s_mov_b64 s[14:15], 0
                                        ; implicit-def: $vgpr3
	s_and_saveexec_b64 s[16:17], vcc
	s_xor_b64 s[16:17], exec, s[16:17]
	s_cbranch_execz .LBB7_1918
; %bb.1818:
	v_bfe_u32 v3, v2, 20, 1
	s_mov_b32 s19, 0x487ffff
	v_add3_u32 v3, v2, v3, s19
	s_mov_b64 s[14:15], exec
	v_lshrrev_b32_e32 v3, 20, v3
	s_or_saveexec_b64 s[16:17], s[16:17]
                                        ; implicit-def: $sgpr19
	s_xor_b64 exec, exec, s[16:17]
	s_cbranch_execnz .LBB7_1919
.LBB7_1819:
	s_or_b64 exec, exec, s[16:17]
	v_mov_b32_e32 v5, s19
	s_and_saveexec_b64 s[16:17], s[14:15]
.LBB7_1820:
	v_lshrrev_b32_e32 v2, 24, v2
	s_movk_i32 s14, 0x80
	v_and_or_b32 v5, v2, s14, v3
.LBB7_1821:
	s_or_b64 exec, exec, s[16:17]
.LBB7_1822:
	s_or_b64 exec, exec, s[12:13]
	global_store_byte v[8:9], v5, off
.LBB7_1823:
	s_mov_b64 s[12:13], -1
.LBB7_1824:
	s_mov_b64 s[14:15], 0
.LBB7_1825:
	s_and_b64 vcc, exec, s[14:15]
	s_cbranch_vccz .LBB7_1865
; %bb.1826:
	v_cmp_gt_i16_e64 s[14:15], s18, 22
	s_mov_b64 s[10:11], -1
	s_and_b64 vcc, exec, s[14:15]
	s_cbranch_vccz .LBB7_1858
; %bb.1827:
	v_cmp_lt_i16_e64 s[12:13], s18, 24
	s_and_b64 vcc, exec, s[12:13]
	s_cbranch_vccnz .LBB7_1847
; %bb.1828:
	v_cmp_gt_i16_e64 s[12:13], s18, 24
	s_and_b64 vcc, exec, s[12:13]
	s_cbranch_vccz .LBB7_1836
; %bb.1829:
	v_cvt_f32_f64_e32 v2, v[0:1]
	v_and_b32_e32 v3, 0x7fffffff, v2
	s_mov_b32 s10, 0x47800000
	v_cmp_gt_u32_e32 vcc, s10, v3
	v_mov_b32_e32 v5, 0x80
	s_and_saveexec_b64 s[10:11], vcc
	s_cbranch_execz .LBB7_1835
; %bb.1830:
	s_mov_b32 s12, 0x37ffffff
	v_cmp_lt_u32_e32 vcc, s12, v3
	s_mov_b64 s[12:13], 0
                                        ; implicit-def: $vgpr3
	s_and_saveexec_b64 s[14:15], vcc
	s_xor_b64 s[14:15], exec, s[14:15]
	s_cbranch_execz .LBB7_1922
; %bb.1831:
	v_bfe_u32 v3, v2, 21, 1
	s_mov_b32 s16, 0x88fffff
	v_add3_u32 v3, v2, v3, s16
	s_mov_b64 s[12:13], exec
	v_lshrrev_b32_e32 v3, 21, v3
	s_or_saveexec_b64 s[14:15], s[14:15]
                                        ; implicit-def: $sgpr16
	s_xor_b64 exec, exec, s[14:15]
	s_cbranch_execnz .LBB7_1923
.LBB7_1832:
	s_or_b64 exec, exec, s[14:15]
	v_mov_b32_e32 v5, s16
	s_and_saveexec_b64 s[14:15], s[12:13]
.LBB7_1833:
	v_lshrrev_b32_e32 v2, 24, v2
	s_movk_i32 s12, 0x80
	v_and_or_b32 v5, v2, s12, v3
.LBB7_1834:
	s_or_b64 exec, exec, s[14:15]
.LBB7_1835:
	s_or_b64 exec, exec, s[10:11]
	s_mov_b64 s[10:11], 0
	global_store_byte v[8:9], v5, off
.LBB7_1836:
	s_and_b64 vcc, exec, s[10:11]
	s_cbranch_vccz .LBB7_1846
; %bb.1837:
	v_cvt_f32_f64_e32 v2, v[0:1]
	v_and_b32_e32 v5, 0x7fffffff, v2
	s_mov_b32 s10, 0x43f00000
	v_cmp_gt_u32_e32 vcc, s10, v5
                                        ; implicit-def: $vgpr3
	s_and_saveexec_b64 s[10:11], vcc
	s_xor_b64 s[10:11], exec, s[10:11]
	s_cbranch_execz .LBB7_1843
; %bb.1838:
	s_mov_b32 s12, 0x3c7fffff
	v_cmp_lt_u32_e32 vcc, s12, v5
                                        ; implicit-def: $vgpr3
	s_and_saveexec_b64 s[12:13], vcc
	s_xor_b64 s[12:13], exec, s[12:13]
; %bb.1839:
	v_bfe_u32 v3, v2, 20, 1
	s_mov_b32 s14, 0x407ffff
	v_add3_u32 v3, v2, v3, s14
	v_lshrrev_b32_e32 v5, 20, v3
	v_and_b32_e32 v3, 0xff00000, v3
	s_mov_b32 s14, 0x7f00000
	v_mov_b32_e32 v7, 0x7e
	v_cmp_ne_u32_e32 vcc, s14, v3
	v_cndmask_b32_e32 v3, v7, v5, vcc
; %bb.1840:
	s_andn2_saveexec_b64 s[12:13], s[12:13]
; %bb.1841:
	s_mov_b32 s14, 0x46800000
	v_add_f32_e64 v3, |v2|, s14
; %bb.1842:
	s_or_b64 exec, exec, s[12:13]
                                        ; implicit-def: $vgpr5
.LBB7_1843:
	s_andn2_saveexec_b64 s[10:11], s[10:11]
; %bb.1844:
	s_mov_b32 s12, 0x7f800000
	v_mov_b32_e32 v3, 0x7e
	v_mov_b32_e32 v7, 0x7f
	v_cmp_lt_u32_e32 vcc, s12, v5
	v_cndmask_b32_e32 v3, v3, v7, vcc
; %bb.1845:
	s_or_b64 exec, exec, s[10:11]
	v_lshrrev_b32_e32 v2, 24, v2
	s_movk_i32 s10, 0x80
	v_and_or_b32 v2, v2, s10, v3
	global_store_byte v[8:9], v2, off
.LBB7_1846:
	s_mov_b64 s[10:11], 0
.LBB7_1847:
	s_andn2_b64 vcc, exec, s[10:11]
	s_cbranch_vccnz .LBB7_1857
; %bb.1848:
	v_cvt_f32_f64_e32 v2, v[0:1]
	v_and_b32_e32 v5, 0x7fffffff, v2
	s_mov_b32 s10, 0x47800000
	v_cmp_gt_u32_e32 vcc, s10, v5
                                        ; implicit-def: $vgpr3
	s_and_saveexec_b64 s[10:11], vcc
	s_xor_b64 s[10:11], exec, s[10:11]
	s_cbranch_execz .LBB7_1854
; %bb.1849:
	s_mov_b32 s12, 0x387fffff
	v_cmp_lt_u32_e32 vcc, s12, v5
                                        ; implicit-def: $vgpr3
	s_and_saveexec_b64 s[12:13], vcc
	s_xor_b64 s[12:13], exec, s[12:13]
; %bb.1850:
	v_bfe_u32 v3, v2, 21, 1
	s_mov_b32 s14, 0x80fffff
	v_add3_u32 v3, v2, v3, s14
	v_lshrrev_b32_e32 v3, 21, v3
; %bb.1851:
	s_andn2_saveexec_b64 s[12:13], s[12:13]
; %bb.1852:
	s_mov_b32 s14, 0x43000000
	v_add_f32_e64 v3, |v2|, s14
; %bb.1853:
	s_or_b64 exec, exec, s[12:13]
                                        ; implicit-def: $vgpr5
.LBB7_1854:
	s_andn2_saveexec_b64 s[10:11], s[10:11]
; %bb.1855:
	s_mov_b32 s12, 0x7f800000
	v_mov_b32_e32 v3, 0x7c
	v_mov_b32_e32 v7, 0x7f
	v_cmp_lt_u32_e32 vcc, s12, v5
	v_cndmask_b32_e32 v3, v3, v7, vcc
; %bb.1856:
	s_or_b64 exec, exec, s[10:11]
	v_lshrrev_b32_e32 v2, 24, v2
	s_movk_i32 s10, 0x80
	v_and_or_b32 v2, v2, s10, v3
	global_store_byte v[8:9], v2, off
.LBB7_1857:
	s_mov_b64 s[10:11], 0
	s_mov_b64 s[12:13], -1
.LBB7_1858:
	s_andn2_b64 vcc, exec, s[10:11]
	s_mov_b64 s[10:11], 0
	s_cbranch_vccnz .LBB7_1865
; %bb.1859:
	v_cmp_gt_i16_e64 s[10:11], s18, 14
	s_mov_b64 s[14:15], -1
	s_and_b64 vcc, exec, s[10:11]
	s_cbranch_vccz .LBB7_1863
; %bb.1860:
	v_cmp_eq_u16_e64 s[10:11], s18, 15
	s_mov_b64 s[0:1], -1
	s_and_b64 vcc, exec, s[10:11]
	s_cbranch_vccz .LBB7_1862
; %bb.1861:
	v_cvt_f32_f64_e32 v2, v[0:1]
	v_bfe_u32 v3, v2, 16, 1
	s_movk_i32 s0, 0x7fff
	v_add3_u32 v3, v2, v3, s0
	v_lshrrev_b32_e32 v3, 16, v3
	v_mov_b32_e32 v5, 0x7fc0
	v_cmp_o_f32_e32 vcc, v2, v2
	v_cndmask_b32_e32 v2, v5, v3, vcc
	global_store_short v[8:9], v2, off
	s_mov_b64 s[0:1], 0
	s_mov_b64 s[12:13], -1
.LBB7_1862:
	s_mov_b64 s[14:15], 0
.LBB7_1863:
	s_mov_b64 s[10:11], 0
	s_and_b64 vcc, exec, s[14:15]
	s_cbranch_vccz .LBB7_1865
; %bb.1864:
	v_cmp_ne_u16_e64 s[0:1], s18, 11
	s_mov_b64 s[10:11], -1
.LBB7_1865:
	s_and_b64 vcc, exec, s[0:1]
	s_cbranch_vccnz .LBB7_1921
; %bb.1866:
	s_andn2_b64 vcc, exec, s[10:11]
	s_cbranch_vccnz .LBB7_1868
.LBB7_1867:
	v_cmp_neq_f64_e32 vcc, 0, v[0:1]
	v_cndmask_b32_e64 v2, 0, 1, vcc
	s_mov_b64 s[12:13], -1
	global_store_byte v[8:9], v2, off
.LBB7_1868:
	s_mov_b64 s[0:1], 0
.LBB7_1869:
	s_and_b64 vcc, exec, s[0:1]
	s_cbranch_vccz .LBB7_1908
; %bb.1870:
	v_cmp_lt_i16_e64 s[10:11], s18, 5
	s_mov_b64 s[0:1], -1
	s_and_b64 vcc, exec, s[10:11]
	s_cbranch_vccnz .LBB7_1891
; %bb.1871:
	v_cmp_lt_i16_e64 s[10:11], s18, 8
	s_and_b64 vcc, exec, s[10:11]
	s_cbranch_vccnz .LBB7_1881
; %bb.1872:
	v_cmp_lt_i16_e64 s[10:11], s18, 9
	s_and_b64 vcc, exec, s[10:11]
	s_cbranch_vccnz .LBB7_1878
; %bb.1873:
	v_cmp_gt_i16_e64 s[10:11], s18, 9
	s_and_b64 vcc, exec, s[10:11]
	s_cbranch_vccz .LBB7_1875
; %bb.1874:
	v_mov_b32_e32 v2, 0
	v_mov_b32_e32 v3, v2
	global_store_dwordx4 v[8:9], v[0:3], off
	s_mov_b64 s[0:1], 0
.LBB7_1875:
	s_andn2_b64 vcc, exec, s[0:1]
	s_cbranch_vccnz .LBB7_1877
; %bb.1876:
	v_cvt_f32_f64_e32 v2, v[0:1]
	v_mov_b32_e32 v3, 0
	global_store_dwordx2 v[8:9], v[2:3], off
.LBB7_1877:
	s_mov_b64 s[0:1], 0
.LBB7_1878:
	s_andn2_b64 vcc, exec, s[0:1]
	s_cbranch_vccnz .LBB7_1880
; %bb.1879:
	v_cvt_f32_f64_e32 v2, v[0:1]
	v_cvt_f16_f32_e32 v2, v2
	global_store_dword v[8:9], v2, off
.LBB7_1880:
	s_mov_b64 s[0:1], 0
.LBB7_1881:
	s_andn2_b64 vcc, exec, s[0:1]
	s_cbranch_vccnz .LBB7_1890
; %bb.1882:
	v_cmp_lt_i16_e64 s[10:11], s18, 6
	s_mov_b64 s[0:1], -1
	s_and_b64 vcc, exec, s[10:11]
	s_cbranch_vccnz .LBB7_1888
; %bb.1883:
	v_cmp_gt_i16_e64 s[10:11], s18, 6
	s_and_b64 vcc, exec, s[10:11]
	s_cbranch_vccz .LBB7_1885
; %bb.1884:
	global_store_dwordx2 v[8:9], v[0:1], off
	s_mov_b64 s[0:1], 0
.LBB7_1885:
	s_andn2_b64 vcc, exec, s[0:1]
	s_cbranch_vccnz .LBB7_1887
; %bb.1886:
	v_cvt_f32_f64_e32 v2, v[0:1]
	global_store_dword v[8:9], v2, off
.LBB7_1887:
	s_mov_b64 s[0:1], 0
.LBB7_1888:
	s_andn2_b64 vcc, exec, s[0:1]
	s_cbranch_vccnz .LBB7_1890
; %bb.1889:
	v_cvt_f32_f64_e32 v2, v[0:1]
	v_cvt_f16_f32_e32 v2, v2
	global_store_short v[8:9], v2, off
.LBB7_1890:
	s_mov_b64 s[0:1], 0
.LBB7_1891:
	s_andn2_b64 vcc, exec, s[0:1]
	s_cbranch_vccnz .LBB7_1907
; %bb.1892:
	v_cmp_lt_i16_e64 s[10:11], s18, 2
	s_mov_b64 s[0:1], -1
	s_and_b64 vcc, exec, s[10:11]
	s_cbranch_vccnz .LBB7_1902
; %bb.1893:
	v_cmp_lt_i16_e64 s[10:11], s18, 3
	s_and_b64 vcc, exec, s[10:11]
	s_cbranch_vccnz .LBB7_1899
; %bb.1894:
	v_cmp_gt_i16_e64 s[10:11], s18, 3
	s_and_b64 vcc, exec, s[10:11]
	s_cbranch_vccz .LBB7_1896
; %bb.1895:
	v_trunc_f64_e32 v[2:3], v[0:1]
	s_movk_i32 s0, 0xffe0
	v_ldexp_f64 v[10:11], v[2:3], s0
	v_floor_f64_e32 v[10:11], v[10:11]
	v_fmac_f64_e32 v[2:3], 0xc1f00000, v[10:11]
	v_cvt_i32_f64_e32 v17, v[10:11]
	v_cvt_u32_f64_e32 v16, v[2:3]
	global_store_dwordx2 v[8:9], v[16:17], off
	s_mov_b64 s[0:1], 0
.LBB7_1896:
	s_andn2_b64 vcc, exec, s[0:1]
	s_cbranch_vccnz .LBB7_1898
; %bb.1897:
	v_cvt_i32_f64_e32 v2, v[0:1]
	global_store_dword v[8:9], v2, off
.LBB7_1898:
	s_mov_b64 s[0:1], 0
.LBB7_1899:
	s_andn2_b64 vcc, exec, s[0:1]
	s_cbranch_vccnz .LBB7_1901
; %bb.1900:
	v_cvt_i32_f64_e32 v2, v[0:1]
	global_store_short v[8:9], v2, off
.LBB7_1901:
	s_mov_b64 s[0:1], 0
.LBB7_1902:
	s_andn2_b64 vcc, exec, s[0:1]
	s_cbranch_vccnz .LBB7_1907
; %bb.1903:
	v_cmp_gt_i16_e64 s[10:11], s18, 0
	s_mov_b64 s[0:1], -1
	s_and_b64 vcc, exec, s[10:11]
	s_cbranch_vccz .LBB7_1905
; %bb.1904:
	v_cvt_i32_f64_e32 v2, v[0:1]
	global_store_byte v[8:9], v2, off
	s_mov_b64 s[0:1], 0
.LBB7_1905:
	s_andn2_b64 vcc, exec, s[0:1]
	s_cbranch_vccnz .LBB7_1907
; %bb.1906:
	v_trunc_f64_e32 v[0:1], v[0:1]
	s_movk_i32 s0, 0xffe0
	v_ldexp_f64 v[2:3], v[0:1], s0
	v_floor_f64_e32 v[2:3], v[2:3]
	v_fmac_f64_e32 v[0:1], 0xc1f00000, v[2:3]
	v_cvt_u32_f64_e32 v0, v[0:1]
	global_store_byte v[8:9], v0, off
.LBB7_1907:
	s_mov_b64 s[12:13], -1
.LBB7_1908:
	s_andn2_b64 vcc, exec, s[12:13]
	s_cbranch_vccnz .LBB7_2044
; %bb.1909:
	v_cmp_nge_f64_e64 s[0:1], v[12:13], -s[4:5]
	v_cmp_nge_f64_e32 vcc, s[4:5], v[12:13]
	s_or_b64 vcc, s[0:1], vcc
	v_cndmask_b32_e32 v1, 0, v13, vcc
	v_cndmask_b32_e32 v0, 0, v12, vcc
	v_mov_b32_e32 v2, s9
	v_add_co_u32_e32 v6, vcc, s8, v6
	v_addc_co_u32_e32 v7, vcc, 0, v2, vcc
	s_and_b64 vcc, exec, s[6:7]
	s_cbranch_vccnz .LBB7_1916
; %bb.1910:
	v_cmp_gt_i16_e64 s[0:1], s18, 25
	s_mov_b64 s[14:15], -1
	s_mov_b64 s[10:11], 0
	s_and_b64 vcc, exec, s[0:1]
	s_mov_b64 s[12:13], 0
	s_mov_b64 s[0:1], 0
	s_cbranch_vccz .LBB7_1952
; %bb.1911:
	v_cmp_gt_i16_e64 s[0:1], s18, 28
	s_and_b64 vcc, exec, s[0:1]
	s_cbranch_vccz .LBB7_1917
; %bb.1912:
	v_cmp_gt_i16_e64 s[0:1], s18, 43
	s_and_b64 vcc, exec, s[0:1]
	;; [unrolled: 4-line block ×3, first 2 shown]
	s_cbranch_vccz .LBB7_1924
; %bb.1914:
	v_cmp_eq_u16_e64 s[12:13], s18, 46
	s_mov_b64 s[0:1], -1
	s_mov_b64 s[14:15], 0
	s_and_b64 vcc, exec, s[12:13]
	s_mov_b64 s[12:13], 0
	s_cbranch_vccz .LBB7_1925
; %bb.1915:
	v_cvt_f32_f64_e32 v2, v[0:1]
	v_bfe_u32 v3, v2, 16, 1
	s_movk_i32 s0, 0x7fff
	v_add3_u32 v3, v2, v3, s0
	v_lshrrev_b32_e32 v3, 16, v3
	v_mov_b32_e32 v5, 0x7fc0
	v_cmp_o_f32_e32 vcc, v2, v2
	v_cndmask_b32_e32 v2, v5, v3, vcc
	global_store_dword v[6:7], v2, off
	s_mov_b64 s[0:1], 0
	s_mov_b64 s[12:13], -1
	s_branch .LBB7_1925
.LBB7_1916:
	s_mov_b64 s[0:1], -1
	s_mov_b64 s[12:13], 0
	s_branch .LBB7_1996
.LBB7_1917:
	s_mov_b64 s[0:1], 0
	s_branch .LBB7_1935
.LBB7_1918:
	s_or_saveexec_b64 s[16:17], s[16:17]
                                        ; implicit-def: $sgpr19
	s_xor_b64 exec, exec, s[16:17]
	s_cbranch_execz .LBB7_1819
.LBB7_1919:
	s_mov_b32 s19, 0x46000000
	v_add_f32_e64 v3, |v2|, s19
	v_and_b32_e32 v3, 0xff, v3
	v_cmp_ne_u32_e32 vcc, 0, v3
	s_andn2_b64 s[14:15], s[14:15], exec
	s_and_b64 s[20:21], vcc, exec
	s_mov_b32 s19, 0
	s_or_b64 s[14:15], s[14:15], s[20:21]
	s_or_b64 exec, exec, s[16:17]
	v_mov_b32_e32 v5, s19
	s_and_saveexec_b64 s[16:17], s[14:15]
	s_cbranch_execnz .LBB7_1820
	s_branch .LBB7_1821
.LBB7_1920:
	s_mov_b64 s[0:1], 0
	s_branch .LBB7_1931
.LBB7_1921:
	s_trap 2
	s_or_b64 s[2:3], s[2:3], exec
	s_cbranch_execz .LBB7_1867
	s_branch .LBB7_1868
.LBB7_1922:
	s_or_saveexec_b64 s[14:15], s[14:15]
                                        ; implicit-def: $sgpr16
	s_xor_b64 exec, exec, s[14:15]
	s_cbranch_execz .LBB7_1832
.LBB7_1923:
	s_mov_b32 s16, 0x42800000
	v_add_f32_e64 v3, |v2|, s16
	v_and_b32_e32 v3, 0xff, v3
	v_cmp_ne_u32_e32 vcc, 0, v3
	s_andn2_b64 s[12:13], s[12:13], exec
	s_and_b64 s[20:21], vcc, exec
	s_mov_b32 s16, 0
	s_or_b64 s[12:13], s[12:13], s[20:21]
	s_or_b64 exec, exec, s[14:15]
	v_mov_b32_e32 v5, s16
	s_and_saveexec_b64 s[14:15], s[12:13]
	s_cbranch_execnz .LBB7_1833
	s_branch .LBB7_1834
.LBB7_1924:
	s_mov_b64 s[0:1], 0
.LBB7_1925:
	s_and_b64 vcc, exec, s[14:15]
	s_cbranch_vccz .LBB7_1930
; %bb.1926:
	v_cmp_eq_u16_e64 s[14:15], s18, 44
	s_mov_b64 s[0:1], -1
	s_and_b64 vcc, exec, s[14:15]
	s_cbranch_vccz .LBB7_1930
; %bb.1927:
	v_cvt_f32_f64_e32 v2, v[0:1]
	v_bfe_u32 v3, v2, 23, 8
	s_movk_i32 s0, 0xff
	v_cmp_ne_u32_e32 vcc, s0, v3
	v_mov_b32_e32 v5, 0xff
	s_and_saveexec_b64 s[12:13], vcc
; %bb.1928:
	s_mov_b32 s0, 0x3fffff
	v_lshrrev_b32_e32 v5, 23, v2
	v_and_b32_e32 v8, 0x400000, v2
	v_and_or_b32 v2, v2, s0, v3
	v_cmp_ne_u32_e32 vcc, 0, v8
	v_cmp_ne_u32_e64 s[0:1], 0, v2
	s_and_b64 s[0:1], vcc, s[0:1]
	v_cndmask_b32_e64 v2, 0, 1, s[0:1]
	v_add_u32_e32 v5, v5, v2
; %bb.1929:
	s_or_b64 exec, exec, s[12:13]
	s_mov_b64 s[0:1], 0
	s_mov_b64 s[12:13], -1
	global_store_byte v[6:7], v5, off
.LBB7_1930:
	s_mov_b64 s[14:15], 0
.LBB7_1931:
	s_and_b64 vcc, exec, s[14:15]
	s_cbranch_vccz .LBB7_1934
; %bb.1932:
	v_cmp_eq_u16_e64 s[14:15], s18, 29
	s_mov_b64 s[0:1], -1
	s_and_b64 vcc, exec, s[14:15]
	s_cbranch_vccz .LBB7_1934
; %bb.1933:
	v_trunc_f64_e32 v[2:3], v[0:1]
	s_movk_i32 s0, 0xffe0
	v_ldexp_f64 v[8:9], v[2:3], s0
	v_floor_f64_e32 v[8:9], v[8:9]
	v_fmac_f64_e32 v[2:3], 0xc1f00000, v[8:9]
	v_cvt_u32_f64_e32 v11, v[8:9]
	v_cvt_u32_f64_e32 v10, v[2:3]
	global_store_dwordx2 v[6:7], v[10:11], off
	s_mov_b64 s[0:1], 0
	s_mov_b64 s[12:13], -1
.LBB7_1934:
	s_mov_b64 s[14:15], 0
.LBB7_1935:
	s_and_b64 vcc, exec, s[14:15]
	s_cbranch_vccz .LBB7_1951
; %bb.1936:
	v_cmp_lt_i16_e64 s[14:15], s18, 27
	s_mov_b64 s[12:13], -1
	s_and_b64 vcc, exec, s[14:15]
	s_cbranch_vccnz .LBB7_1942
; %bb.1937:
	v_cmp_gt_i16_e64 s[14:15], s18, 27
	s_and_b64 vcc, exec, s[14:15]
	v_cvt_u32_f64_e32 v2, v[0:1]
	s_cbranch_vccz .LBB7_1939
; %bb.1938:
	s_mov_b64 s[12:13], 0
	global_store_dword v[6:7], v2, off
.LBB7_1939:
	s_andn2_b64 vcc, exec, s[12:13]
	s_cbranch_vccnz .LBB7_1941
; %bb.1940:
	global_store_short v[6:7], v2, off
.LBB7_1941:
	s_mov_b64 s[12:13], 0
.LBB7_1942:
	s_andn2_b64 vcc, exec, s[12:13]
	s_cbranch_vccnz .LBB7_1950
; %bb.1943:
	v_cvt_f32_f64_e32 v2, v[0:1]
	v_and_b32_e32 v3, 0x7fffffff, v2
	s_mov_b32 s12, 0x43800000
	v_cmp_gt_u32_e32 vcc, s12, v3
	v_mov_b32_e32 v5, 0x80
	s_and_saveexec_b64 s[12:13], vcc
	s_cbranch_execz .LBB7_1949
; %bb.1944:
	s_mov_b32 s14, 0x3bffffff
	v_cmp_lt_u32_e32 vcc, s14, v3
	s_mov_b64 s[14:15], 0
                                        ; implicit-def: $vgpr3
	s_and_saveexec_b64 s[16:17], vcc
	s_xor_b64 s[16:17], exec, s[16:17]
	s_cbranch_execz .LBB7_2091
; %bb.1945:
	v_bfe_u32 v3, v2, 20, 1
	s_mov_b32 s19, 0x487ffff
	v_add3_u32 v3, v2, v3, s19
	s_mov_b64 s[14:15], exec
	v_lshrrev_b32_e32 v3, 20, v3
	s_or_saveexec_b64 s[16:17], s[16:17]
                                        ; implicit-def: $sgpr19
	s_xor_b64 exec, exec, s[16:17]
	s_cbranch_execnz .LBB7_2092
.LBB7_1946:
	s_or_b64 exec, exec, s[16:17]
	v_mov_b32_e32 v5, s19
	s_and_saveexec_b64 s[16:17], s[14:15]
.LBB7_1947:
	v_lshrrev_b32_e32 v2, 24, v2
	s_movk_i32 s14, 0x80
	v_and_or_b32 v5, v2, s14, v3
.LBB7_1948:
	s_or_b64 exec, exec, s[16:17]
.LBB7_1949:
	s_or_b64 exec, exec, s[12:13]
	global_store_byte v[6:7], v5, off
.LBB7_1950:
	s_mov_b64 s[12:13], -1
.LBB7_1951:
	s_mov_b64 s[14:15], 0
.LBB7_1952:
	s_and_b64 vcc, exec, s[14:15]
	s_cbranch_vccz .LBB7_1992
; %bb.1953:
	v_cmp_gt_i16_e64 s[14:15], s18, 22
	s_mov_b64 s[10:11], -1
	s_and_b64 vcc, exec, s[14:15]
	s_cbranch_vccz .LBB7_1985
; %bb.1954:
	v_cmp_lt_i16_e64 s[12:13], s18, 24
	s_and_b64 vcc, exec, s[12:13]
	s_cbranch_vccnz .LBB7_1974
; %bb.1955:
	v_cmp_gt_i16_e64 s[12:13], s18, 24
	s_and_b64 vcc, exec, s[12:13]
	s_cbranch_vccz .LBB7_1963
; %bb.1956:
	v_cvt_f32_f64_e32 v2, v[0:1]
	v_and_b32_e32 v3, 0x7fffffff, v2
	s_mov_b32 s10, 0x47800000
	v_cmp_gt_u32_e32 vcc, s10, v3
	v_mov_b32_e32 v5, 0x80
	s_and_saveexec_b64 s[10:11], vcc
	s_cbranch_execz .LBB7_1962
; %bb.1957:
	s_mov_b32 s12, 0x37ffffff
	v_cmp_lt_u32_e32 vcc, s12, v3
	s_mov_b64 s[12:13], 0
                                        ; implicit-def: $vgpr3
	s_and_saveexec_b64 s[14:15], vcc
	s_xor_b64 s[14:15], exec, s[14:15]
	s_cbranch_execz .LBB7_2095
; %bb.1958:
	v_bfe_u32 v3, v2, 21, 1
	s_mov_b32 s16, 0x88fffff
	v_add3_u32 v3, v2, v3, s16
	s_mov_b64 s[12:13], exec
	v_lshrrev_b32_e32 v3, 21, v3
	s_or_saveexec_b64 s[14:15], s[14:15]
                                        ; implicit-def: $sgpr16
	s_xor_b64 exec, exec, s[14:15]
	s_cbranch_execnz .LBB7_2096
.LBB7_1959:
	s_or_b64 exec, exec, s[14:15]
	v_mov_b32_e32 v5, s16
	s_and_saveexec_b64 s[14:15], s[12:13]
.LBB7_1960:
	v_lshrrev_b32_e32 v2, 24, v2
	s_movk_i32 s12, 0x80
	v_and_or_b32 v5, v2, s12, v3
.LBB7_1961:
	s_or_b64 exec, exec, s[14:15]
.LBB7_1962:
	s_or_b64 exec, exec, s[10:11]
	s_mov_b64 s[10:11], 0
	global_store_byte v[6:7], v5, off
.LBB7_1963:
	s_and_b64 vcc, exec, s[10:11]
	s_cbranch_vccz .LBB7_1973
; %bb.1964:
	v_cvt_f32_f64_e32 v2, v[0:1]
	v_and_b32_e32 v5, 0x7fffffff, v2
	s_mov_b32 s10, 0x43f00000
	v_cmp_gt_u32_e32 vcc, s10, v5
                                        ; implicit-def: $vgpr3
	s_and_saveexec_b64 s[10:11], vcc
	s_xor_b64 s[10:11], exec, s[10:11]
	s_cbranch_execz .LBB7_1970
; %bb.1965:
	s_mov_b32 s12, 0x3c7fffff
	v_cmp_lt_u32_e32 vcc, s12, v5
                                        ; implicit-def: $vgpr3
	s_and_saveexec_b64 s[12:13], vcc
	s_xor_b64 s[12:13], exec, s[12:13]
; %bb.1966:
	v_bfe_u32 v3, v2, 20, 1
	s_mov_b32 s14, 0x407ffff
	v_add3_u32 v3, v2, v3, s14
	v_lshrrev_b32_e32 v5, 20, v3
	v_and_b32_e32 v3, 0xff00000, v3
	s_mov_b32 s14, 0x7f00000
	v_mov_b32_e32 v8, 0x7e
	v_cmp_ne_u32_e32 vcc, s14, v3
	v_cndmask_b32_e32 v3, v8, v5, vcc
; %bb.1967:
	s_andn2_saveexec_b64 s[12:13], s[12:13]
; %bb.1968:
	s_mov_b32 s14, 0x46800000
	v_add_f32_e64 v3, |v2|, s14
; %bb.1969:
	s_or_b64 exec, exec, s[12:13]
                                        ; implicit-def: $vgpr5
.LBB7_1970:
	s_andn2_saveexec_b64 s[10:11], s[10:11]
; %bb.1971:
	s_mov_b32 s12, 0x7f800000
	v_mov_b32_e32 v3, 0x7e
	v_mov_b32_e32 v8, 0x7f
	v_cmp_lt_u32_e32 vcc, s12, v5
	v_cndmask_b32_e32 v3, v3, v8, vcc
; %bb.1972:
	s_or_b64 exec, exec, s[10:11]
	v_lshrrev_b32_e32 v2, 24, v2
	s_movk_i32 s10, 0x80
	v_and_or_b32 v2, v2, s10, v3
	global_store_byte v[6:7], v2, off
.LBB7_1973:
	s_mov_b64 s[10:11], 0
.LBB7_1974:
	s_andn2_b64 vcc, exec, s[10:11]
	s_cbranch_vccnz .LBB7_1984
; %bb.1975:
	v_cvt_f32_f64_e32 v2, v[0:1]
	v_and_b32_e32 v5, 0x7fffffff, v2
	s_mov_b32 s10, 0x47800000
	v_cmp_gt_u32_e32 vcc, s10, v5
                                        ; implicit-def: $vgpr3
	s_and_saveexec_b64 s[10:11], vcc
	s_xor_b64 s[10:11], exec, s[10:11]
	s_cbranch_execz .LBB7_1981
; %bb.1976:
	s_mov_b32 s12, 0x387fffff
	v_cmp_lt_u32_e32 vcc, s12, v5
                                        ; implicit-def: $vgpr3
	s_and_saveexec_b64 s[12:13], vcc
	s_xor_b64 s[12:13], exec, s[12:13]
; %bb.1977:
	v_bfe_u32 v3, v2, 21, 1
	s_mov_b32 s14, 0x80fffff
	v_add3_u32 v3, v2, v3, s14
	v_lshrrev_b32_e32 v3, 21, v3
; %bb.1978:
	s_andn2_saveexec_b64 s[12:13], s[12:13]
; %bb.1979:
	s_mov_b32 s14, 0x43000000
	v_add_f32_e64 v3, |v2|, s14
; %bb.1980:
	s_or_b64 exec, exec, s[12:13]
                                        ; implicit-def: $vgpr5
.LBB7_1981:
	s_andn2_saveexec_b64 s[10:11], s[10:11]
; %bb.1982:
	s_mov_b32 s12, 0x7f800000
	v_mov_b32_e32 v3, 0x7c
	v_mov_b32_e32 v8, 0x7f
	v_cmp_lt_u32_e32 vcc, s12, v5
	v_cndmask_b32_e32 v3, v3, v8, vcc
; %bb.1983:
	s_or_b64 exec, exec, s[10:11]
	v_lshrrev_b32_e32 v2, 24, v2
	s_movk_i32 s10, 0x80
	v_and_or_b32 v2, v2, s10, v3
	global_store_byte v[6:7], v2, off
.LBB7_1984:
	s_mov_b64 s[10:11], 0
	s_mov_b64 s[12:13], -1
.LBB7_1985:
	s_andn2_b64 vcc, exec, s[10:11]
	s_mov_b64 s[10:11], 0
	s_cbranch_vccnz .LBB7_1992
; %bb.1986:
	v_cmp_gt_i16_e64 s[10:11], s18, 14
	s_mov_b64 s[14:15], -1
	s_and_b64 vcc, exec, s[10:11]
	s_cbranch_vccz .LBB7_1990
; %bb.1987:
	v_cmp_eq_u16_e64 s[10:11], s18, 15
	s_mov_b64 s[0:1], -1
	s_and_b64 vcc, exec, s[10:11]
	s_cbranch_vccz .LBB7_1989
; %bb.1988:
	v_cvt_f32_f64_e32 v2, v[0:1]
	v_bfe_u32 v3, v2, 16, 1
	s_movk_i32 s0, 0x7fff
	v_add3_u32 v3, v2, v3, s0
	v_lshrrev_b32_e32 v3, 16, v3
	v_mov_b32_e32 v5, 0x7fc0
	v_cmp_o_f32_e32 vcc, v2, v2
	v_cndmask_b32_e32 v2, v5, v3, vcc
	global_store_short v[6:7], v2, off
	s_mov_b64 s[0:1], 0
	s_mov_b64 s[12:13], -1
.LBB7_1989:
	s_mov_b64 s[14:15], 0
.LBB7_1990:
	s_mov_b64 s[10:11], 0
	s_and_b64 vcc, exec, s[14:15]
	s_cbranch_vccz .LBB7_1992
; %bb.1991:
	v_cmp_ne_u16_e64 s[0:1], s18, 11
	s_mov_b64 s[10:11], -1
.LBB7_1992:
	s_and_b64 vcc, exec, s[0:1]
	s_cbranch_vccnz .LBB7_2094
; %bb.1993:
	s_andn2_b64 vcc, exec, s[10:11]
	s_cbranch_vccnz .LBB7_1995
.LBB7_1994:
	v_cmp_neq_f64_e32 vcc, 0, v[0:1]
	v_cndmask_b32_e64 v2, 0, 1, vcc
	s_mov_b64 s[12:13], -1
	global_store_byte v[6:7], v2, off
.LBB7_1995:
	s_mov_b64 s[0:1], 0
.LBB7_1996:
	s_and_b64 vcc, exec, s[0:1]
	s_cbranch_vccz .LBB7_2035
; %bb.1997:
	v_cmp_lt_i16_e64 s[10:11], s18, 5
	s_mov_b64 s[0:1], -1
	s_and_b64 vcc, exec, s[10:11]
	s_cbranch_vccnz .LBB7_2018
; %bb.1998:
	v_cmp_lt_i16_e64 s[10:11], s18, 8
	s_and_b64 vcc, exec, s[10:11]
	s_cbranch_vccnz .LBB7_2008
; %bb.1999:
	v_cmp_lt_i16_e64 s[10:11], s18, 9
	s_and_b64 vcc, exec, s[10:11]
	s_cbranch_vccnz .LBB7_2005
; %bb.2000:
	v_cmp_gt_i16_e64 s[10:11], s18, 9
	s_and_b64 vcc, exec, s[10:11]
	s_cbranch_vccz .LBB7_2002
; %bb.2001:
	v_mov_b32_e32 v2, 0
	v_mov_b32_e32 v3, v2
	global_store_dwordx4 v[6:7], v[0:3], off
	s_mov_b64 s[0:1], 0
.LBB7_2002:
	s_andn2_b64 vcc, exec, s[0:1]
	s_cbranch_vccnz .LBB7_2004
; %bb.2003:
	v_cvt_f32_f64_e32 v2, v[0:1]
	v_mov_b32_e32 v3, 0
	global_store_dwordx2 v[6:7], v[2:3], off
.LBB7_2004:
	s_mov_b64 s[0:1], 0
.LBB7_2005:
	s_andn2_b64 vcc, exec, s[0:1]
	s_cbranch_vccnz .LBB7_2007
; %bb.2006:
	v_cvt_f32_f64_e32 v2, v[0:1]
	v_cvt_f16_f32_e32 v2, v2
	global_store_dword v[6:7], v2, off
.LBB7_2007:
	s_mov_b64 s[0:1], 0
.LBB7_2008:
	s_andn2_b64 vcc, exec, s[0:1]
	s_cbranch_vccnz .LBB7_2017
; %bb.2009:
	v_cmp_lt_i16_e64 s[10:11], s18, 6
	s_mov_b64 s[0:1], -1
	s_and_b64 vcc, exec, s[10:11]
	s_cbranch_vccnz .LBB7_2015
; %bb.2010:
	v_cmp_gt_i16_e64 s[10:11], s18, 6
	s_and_b64 vcc, exec, s[10:11]
	s_cbranch_vccz .LBB7_2012
; %bb.2011:
	global_store_dwordx2 v[6:7], v[0:1], off
	s_mov_b64 s[0:1], 0
.LBB7_2012:
	s_andn2_b64 vcc, exec, s[0:1]
	s_cbranch_vccnz .LBB7_2014
; %bb.2013:
	v_cvt_f32_f64_e32 v2, v[0:1]
	global_store_dword v[6:7], v2, off
.LBB7_2014:
	s_mov_b64 s[0:1], 0
.LBB7_2015:
	s_andn2_b64 vcc, exec, s[0:1]
	s_cbranch_vccnz .LBB7_2017
; %bb.2016:
	v_cvt_f32_f64_e32 v2, v[0:1]
	v_cvt_f16_f32_e32 v2, v2
	global_store_short v[6:7], v2, off
.LBB7_2017:
	s_mov_b64 s[0:1], 0
.LBB7_2018:
	s_andn2_b64 vcc, exec, s[0:1]
	s_cbranch_vccnz .LBB7_2034
; %bb.2019:
	v_cmp_lt_i16_e64 s[10:11], s18, 2
	s_mov_b64 s[0:1], -1
	s_and_b64 vcc, exec, s[10:11]
	s_cbranch_vccnz .LBB7_2029
; %bb.2020:
	v_cmp_lt_i16_e64 s[10:11], s18, 3
	s_and_b64 vcc, exec, s[10:11]
	s_cbranch_vccnz .LBB7_2026
; %bb.2021:
	v_cmp_gt_i16_e64 s[10:11], s18, 3
	s_and_b64 vcc, exec, s[10:11]
	s_cbranch_vccz .LBB7_2023
; %bb.2022:
	v_trunc_f64_e32 v[2:3], v[0:1]
	s_movk_i32 s0, 0xffe0
	v_ldexp_f64 v[8:9], v[2:3], s0
	v_floor_f64_e32 v[8:9], v[8:9]
	v_fmac_f64_e32 v[2:3], 0xc1f00000, v[8:9]
	v_cvt_i32_f64_e32 v11, v[8:9]
	v_cvt_u32_f64_e32 v10, v[2:3]
	global_store_dwordx2 v[6:7], v[10:11], off
	s_mov_b64 s[0:1], 0
.LBB7_2023:
	s_andn2_b64 vcc, exec, s[0:1]
	s_cbranch_vccnz .LBB7_2025
; %bb.2024:
	v_cvt_i32_f64_e32 v2, v[0:1]
	global_store_dword v[6:7], v2, off
.LBB7_2025:
	s_mov_b64 s[0:1], 0
.LBB7_2026:
	s_andn2_b64 vcc, exec, s[0:1]
	s_cbranch_vccnz .LBB7_2028
; %bb.2027:
	v_cvt_i32_f64_e32 v2, v[0:1]
	global_store_short v[6:7], v2, off
.LBB7_2028:
	s_mov_b64 s[0:1], 0
.LBB7_2029:
	s_andn2_b64 vcc, exec, s[0:1]
	s_cbranch_vccnz .LBB7_2034
; %bb.2030:
	v_cmp_gt_i16_e64 s[10:11], s18, 0
	s_mov_b64 s[0:1], -1
	s_and_b64 vcc, exec, s[10:11]
	s_cbranch_vccz .LBB7_2032
; %bb.2031:
	v_cvt_i32_f64_e32 v2, v[0:1]
	global_store_byte v[6:7], v2, off
	s_mov_b64 s[0:1], 0
.LBB7_2032:
	s_andn2_b64 vcc, exec, s[0:1]
	s_cbranch_vccnz .LBB7_2034
; %bb.2033:
	v_trunc_f64_e32 v[0:1], v[0:1]
	s_movk_i32 s0, 0xffe0
	v_ldexp_f64 v[2:3], v[0:1], s0
	v_floor_f64_e32 v[2:3], v[2:3]
	v_fmac_f64_e32 v[0:1], 0xc1f00000, v[2:3]
	v_cvt_u32_f64_e32 v0, v[0:1]
	global_store_byte v[6:7], v0, off
.LBB7_2034:
	s_mov_b64 s[12:13], -1
.LBB7_2035:
	s_andn2_b64 vcc, exec, s[12:13]
	s_cbranch_vccnz .LBB7_2044
; %bb.2036:
	v_cmp_nge_f64_e64 s[0:1], v[14:15], -s[4:5]
	v_cmp_nge_f64_e32 vcc, s[4:5], v[14:15]
	s_or_b64 vcc, s[0:1], vcc
	v_cndmask_b32_e32 v1, 0, v15, vcc
	v_cndmask_b32_e32 v0, 0, v14, vcc
	v_mov_b32_e32 v2, s9
	v_add_co_u32_e32 v4, vcc, s8, v4
	v_addc_co_u32_e32 v5, vcc, 0, v2, vcc
	s_and_b64 vcc, exec, s[6:7]
	s_cbranch_vccnz .LBB7_2089
; %bb.2037:
	v_cmp_gt_i16_e64 s[0:1], s18, 25
	s_mov_b64 s[6:7], -1
	s_mov_b64 s[4:5], 0
	s_and_b64 vcc, exec, s[0:1]
	s_mov_b64 s[0:1], 0
	s_cbranch_vccz .LBB7_2124
; %bb.2038:
	v_cmp_gt_i16_e64 s[0:1], s18, 28
	s_and_b64 vcc, exec, s[0:1]
	s_cbranch_vccz .LBB7_2090
; %bb.2039:
	v_cmp_gt_i16_e64 s[0:1], s18, 43
	s_and_b64 vcc, exec, s[0:1]
	;; [unrolled: 4-line block ×3, first 2 shown]
	s_cbranch_vccz .LBB7_2097
; %bb.2041:
	v_cmp_eq_u16_e64 s[6:7], s18, 46
	s_mov_b64 s[0:1], -1
	s_and_b64 vcc, exec, s[6:7]
	s_cbranch_vccz .LBB7_2043
; %bb.2042:
	v_cvt_f32_f64_e32 v2, v[0:1]
	v_bfe_u32 v3, v2, 16, 1
	s_movk_i32 s0, 0x7fff
	v_add3_u32 v3, v2, v3, s0
	v_lshrrev_b32_e32 v3, 16, v3
	v_mov_b32_e32 v6, 0x7fc0
	v_cmp_o_f32_e32 vcc, v2, v2
	v_cndmask_b32_e32 v2, v6, v3, vcc
	global_store_dword v[4:5], v2, off
	s_mov_b64 s[0:1], 0
.LBB7_2043:
	s_mov_b64 s[6:7], 0
	s_branch .LBB7_2098
.LBB7_2044:
	s_mov_b64 s[0:1], 0
	s_mov_b64 s[4:5], 0
                                        ; implicit-def: $vgpr4_vgpr5
                                        ; implicit-def: $sgpr18
                                        ; implicit-def: $vgpr0_vgpr1
.LBB7_2045:
	s_and_b64 s[6:7], s[4:5], exec
	s_andn2_b64 s[4:5], s[28:29], exec
	s_and_b64 s[2:3], s[2:3], exec
	s_and_b64 s[0:1], s[0:1], exec
	s_or_b64 s[28:29], s[4:5], s[2:3]
.LBB7_2046:
	s_or_b64 exec, exec, s[30:31]
	s_and_saveexec_b64 s[2:3], s[28:29]
	s_cbranch_execz .LBB7_2049
; %bb.2047:
	; divergent unreachable
	s_or_b64 exec, exec, s[2:3]
	s_and_saveexec_b64 s[2:3], s[6:7]
	s_xor_b64 s[2:3], exec, s[2:3]
	s_cbranch_execnz .LBB7_2050
.LBB7_2048:
	s_or_b64 exec, exec, s[2:3]
	s_and_saveexec_b64 s[2:3], s[0:1]
	s_cbranch_execnz .LBB7_2051
	s_branch .LBB7_2088
.LBB7_2049:
	s_or_b64 exec, exec, s[2:3]
	s_and_saveexec_b64 s[2:3], s[6:7]
	s_xor_b64 s[2:3], exec, s[2:3]
	s_cbranch_execz .LBB7_2048
.LBB7_2050:
	s_waitcnt vmcnt(0)
	v_cmp_neq_f64_e32 vcc, 0, v[0:1]
	v_cndmask_b32_e64 v2, 0, 1, vcc
	global_store_byte v[4:5], v2, off
	s_or_b64 exec, exec, s[2:3]
	s_and_saveexec_b64 s[2:3], s[0:1]
	s_cbranch_execz .LBB7_2088
.LBB7_2051:
	v_cmp_lt_i16_e64 s[2:3], s18, 5
	s_mov_b64 s[0:1], -1
	s_and_b64 vcc, exec, s[2:3]
	s_cbranch_vccnz .LBB7_2072
; %bb.2052:
	v_cmp_lt_i16_e64 s[2:3], s18, 8
	s_and_b64 vcc, exec, s[2:3]
	s_cbranch_vccnz .LBB7_2062
; %bb.2053:
	v_cmp_lt_i16_e64 s[2:3], s18, 9
	s_and_b64 vcc, exec, s[2:3]
	s_cbranch_vccnz .LBB7_2059
; %bb.2054:
	v_cmp_gt_i16_e64 s[2:3], s18, 9
	s_and_b64 vcc, exec, s[2:3]
	s_cbranch_vccz .LBB7_2056
; %bb.2055:
	v_mov_b32_e32 v2, 0
	v_mov_b32_e32 v3, v2
	s_waitcnt vmcnt(0)
	global_store_dwordx4 v[4:5], v[0:3], off
	s_mov_b64 s[0:1], 0
.LBB7_2056:
	s_andn2_b64 vcc, exec, s[0:1]
	s_cbranch_vccnz .LBB7_2058
; %bb.2057:
	s_waitcnt vmcnt(0)
	v_cvt_f32_f64_e32 v2, v[0:1]
	v_mov_b32_e32 v3, 0
	global_store_dwordx2 v[4:5], v[2:3], off
.LBB7_2058:
	s_mov_b64 s[0:1], 0
.LBB7_2059:
	s_andn2_b64 vcc, exec, s[0:1]
	s_cbranch_vccnz .LBB7_2061
; %bb.2060:
	s_waitcnt vmcnt(0)
	v_cvt_f32_f64_e32 v2, v[0:1]
	v_cvt_f16_f32_e32 v2, v2
	global_store_dword v[4:5], v2, off
.LBB7_2061:
	s_mov_b64 s[0:1], 0
.LBB7_2062:
	s_andn2_b64 vcc, exec, s[0:1]
	s_cbranch_vccnz .LBB7_2071
; %bb.2063:
	v_cmp_lt_i16_e64 s[2:3], s18, 6
	s_mov_b64 s[0:1], -1
	s_and_b64 vcc, exec, s[2:3]
	s_cbranch_vccnz .LBB7_2069
; %bb.2064:
	v_cmp_gt_i16_e64 s[2:3], s18, 6
	s_and_b64 vcc, exec, s[2:3]
	s_cbranch_vccz .LBB7_2066
; %bb.2065:
	s_waitcnt vmcnt(0)
	global_store_dwordx2 v[4:5], v[0:1], off
	s_mov_b64 s[0:1], 0
.LBB7_2066:
	s_andn2_b64 vcc, exec, s[0:1]
	s_cbranch_vccnz .LBB7_2068
; %bb.2067:
	s_waitcnt vmcnt(0)
	v_cvt_f32_f64_e32 v2, v[0:1]
	global_store_dword v[4:5], v2, off
.LBB7_2068:
	s_mov_b64 s[0:1], 0
.LBB7_2069:
	s_andn2_b64 vcc, exec, s[0:1]
	s_cbranch_vccnz .LBB7_2071
; %bb.2070:
	s_waitcnt vmcnt(0)
	v_cvt_f32_f64_e32 v2, v[0:1]
	v_cvt_f16_f32_e32 v2, v2
	global_store_short v[4:5], v2, off
.LBB7_2071:
	s_mov_b64 s[0:1], 0
.LBB7_2072:
	s_andn2_b64 vcc, exec, s[0:1]
	s_cbranch_vccnz .LBB7_2088
; %bb.2073:
	v_cmp_lt_i16_e64 s[2:3], s18, 2
	s_mov_b64 s[0:1], -1
	s_and_b64 vcc, exec, s[2:3]
	s_cbranch_vccnz .LBB7_2083
; %bb.2074:
	v_cmp_lt_i16_e64 s[2:3], s18, 3
	s_and_b64 vcc, exec, s[2:3]
	s_cbranch_vccnz .LBB7_2080
; %bb.2075:
	v_cmp_gt_i16_e64 s[2:3], s18, 3
	s_and_b64 vcc, exec, s[2:3]
	s_cbranch_vccz .LBB7_2077
; %bb.2076:
	s_waitcnt vmcnt(0)
	v_trunc_f64_e32 v[2:3], v[0:1]
	s_movk_i32 s0, 0xffe0
	v_ldexp_f64 v[6:7], v[2:3], s0
	v_floor_f64_e32 v[6:7], v[6:7]
	v_fmac_f64_e32 v[2:3], 0xc1f00000, v[6:7]
	v_cvt_i32_f64_e32 v9, v[6:7]
	v_cvt_u32_f64_e32 v8, v[2:3]
	global_store_dwordx2 v[4:5], v[8:9], off
	s_mov_b64 s[0:1], 0
.LBB7_2077:
	s_andn2_b64 vcc, exec, s[0:1]
	s_cbranch_vccnz .LBB7_2079
; %bb.2078:
	s_waitcnt vmcnt(0)
	v_cvt_i32_f64_e32 v2, v[0:1]
	global_store_dword v[4:5], v2, off
.LBB7_2079:
	s_mov_b64 s[0:1], 0
.LBB7_2080:
	s_andn2_b64 vcc, exec, s[0:1]
	s_cbranch_vccnz .LBB7_2082
; %bb.2081:
	s_waitcnt vmcnt(0)
	v_cvt_i32_f64_e32 v2, v[0:1]
	global_store_short v[4:5], v2, off
.LBB7_2082:
	s_mov_b64 s[0:1], 0
.LBB7_2083:
	s_andn2_b64 vcc, exec, s[0:1]
	s_cbranch_vccnz .LBB7_2088
; %bb.2084:
	v_cmp_gt_i16_e64 s[2:3], s18, 0
	s_mov_b64 s[0:1], -1
	s_and_b64 vcc, exec, s[2:3]
	s_cbranch_vccz .LBB7_2086
; %bb.2085:
	s_waitcnt vmcnt(0)
	v_cvt_i32_f64_e32 v2, v[0:1]
	global_store_byte v[4:5], v2, off
	s_mov_b64 s[0:1], 0
.LBB7_2086:
	s_andn2_b64 vcc, exec, s[0:1]
	s_cbranch_vccnz .LBB7_2088
; %bb.2087:
	s_waitcnt vmcnt(0)
	v_trunc_f64_e32 v[0:1], v[0:1]
	s_movk_i32 s0, 0xffe0
	v_ldexp_f64 v[2:3], v[0:1], s0
	v_floor_f64_e32 v[2:3], v[2:3]
	v_fmac_f64_e32 v[0:1], 0xc1f00000, v[2:3]
	v_cvt_u32_f64_e32 v0, v[0:1]
	global_store_byte v[4:5], v0, off
	s_endpgm
.LBB7_2088:
	s_endpgm
.LBB7_2089:
	s_mov_b64 s[4:5], 0
	s_mov_b64 s[0:1], -1
	s_branch .LBB7_2045
.LBB7_2090:
	s_mov_b64 s[0:1], 0
	s_branch .LBB7_2108
.LBB7_2091:
	s_or_saveexec_b64 s[16:17], s[16:17]
                                        ; implicit-def: $sgpr19
	s_xor_b64 exec, exec, s[16:17]
	s_cbranch_execz .LBB7_1946
.LBB7_2092:
	s_mov_b32 s19, 0x46000000
	v_add_f32_e64 v3, |v2|, s19
	v_and_b32_e32 v3, 0xff, v3
	v_cmp_ne_u32_e32 vcc, 0, v3
	s_andn2_b64 s[14:15], s[14:15], exec
	s_and_b64 s[20:21], vcc, exec
	s_mov_b32 s19, 0
	s_or_b64 s[14:15], s[14:15], s[20:21]
	s_or_b64 exec, exec, s[16:17]
	v_mov_b32_e32 v5, s19
	s_and_saveexec_b64 s[16:17], s[14:15]
	s_cbranch_execnz .LBB7_1947
	s_branch .LBB7_1948
.LBB7_2093:
	s_mov_b64 s[0:1], 0
	s_branch .LBB7_2104
.LBB7_2094:
	s_trap 2
	s_or_b64 s[2:3], s[2:3], exec
	s_cbranch_execz .LBB7_1994
	s_branch .LBB7_1995
.LBB7_2095:
	s_or_saveexec_b64 s[14:15], s[14:15]
                                        ; implicit-def: $sgpr16
	s_xor_b64 exec, exec, s[14:15]
	s_cbranch_execz .LBB7_1959
.LBB7_2096:
	s_mov_b32 s16, 0x42800000
	v_add_f32_e64 v3, |v2|, s16
	v_and_b32_e32 v3, 0xff, v3
	v_cmp_ne_u32_e32 vcc, 0, v3
	s_andn2_b64 s[12:13], s[12:13], exec
	s_and_b64 s[20:21], vcc, exec
	s_mov_b32 s16, 0
	s_or_b64 s[12:13], s[12:13], s[20:21]
	s_or_b64 exec, exec, s[14:15]
	v_mov_b32_e32 v5, s16
	s_and_saveexec_b64 s[14:15], s[12:13]
	s_cbranch_execnz .LBB7_1960
	s_branch .LBB7_1961
.LBB7_2097:
	s_mov_b64 s[0:1], 0
.LBB7_2098:
	s_and_b64 vcc, exec, s[6:7]
	s_cbranch_vccz .LBB7_2103
; %bb.2099:
	v_cmp_eq_u16_e64 s[6:7], s18, 44
	s_mov_b64 s[0:1], -1
	s_and_b64 vcc, exec, s[6:7]
	s_cbranch_vccz .LBB7_2103
; %bb.2100:
	v_cvt_f32_f64_e32 v2, v[0:1]
	v_bfe_u32 v3, v2, 23, 8
	s_movk_i32 s0, 0xff
	v_cmp_ne_u32_e32 vcc, s0, v3
	v_mov_b32_e32 v6, 0xff
	s_and_saveexec_b64 s[6:7], vcc
; %bb.2101:
	s_mov_b32 s0, 0x3fffff
	v_lshrrev_b32_e32 v6, 23, v2
	v_and_b32_e32 v7, 0x400000, v2
	v_and_or_b32 v2, v2, s0, v3
	v_cmp_ne_u32_e32 vcc, 0, v7
	v_cmp_ne_u32_e64 s[0:1], 0, v2
	s_and_b64 s[0:1], vcc, s[0:1]
	v_cndmask_b32_e64 v2, 0, 1, s[0:1]
	v_add_u32_e32 v6, v6, v2
; %bb.2102:
	s_or_b64 exec, exec, s[6:7]
	s_mov_b64 s[0:1], 0
	global_store_byte v[4:5], v6, off
.LBB7_2103:
	s_mov_b64 s[6:7], 0
.LBB7_2104:
	s_and_b64 vcc, exec, s[6:7]
	s_cbranch_vccz .LBB7_2107
; %bb.2105:
	v_cmp_eq_u16_e64 s[6:7], s18, 29
	s_mov_b64 s[0:1], -1
	s_and_b64 vcc, exec, s[6:7]
	s_cbranch_vccz .LBB7_2107
; %bb.2106:
	v_trunc_f64_e32 v[2:3], v[0:1]
	s_movk_i32 s0, 0xffe0
	v_ldexp_f64 v[6:7], v[2:3], s0
	v_floor_f64_e32 v[6:7], v[6:7]
	v_fmac_f64_e32 v[2:3], 0xc1f00000, v[6:7]
	v_cvt_u32_f64_e32 v9, v[6:7]
	v_cvt_u32_f64_e32 v8, v[2:3]
	global_store_dwordx2 v[4:5], v[8:9], off
	s_mov_b64 s[0:1], 0
.LBB7_2107:
	s_mov_b64 s[6:7], 0
.LBB7_2108:
	s_and_b64 vcc, exec, s[6:7]
	s_cbranch_vccz .LBB7_2123
; %bb.2109:
	v_cmp_lt_i16_e64 s[8:9], s18, 27
	s_mov_b64 s[6:7], -1
	s_and_b64 vcc, exec, s[8:9]
	s_cbranch_vccnz .LBB7_2115
; %bb.2110:
	v_cmp_gt_i16_e64 s[8:9], s18, 27
	s_and_b64 vcc, exec, s[8:9]
	s_cbranch_vccz .LBB7_2112
; %bb.2111:
	v_cvt_u32_f64_e32 v2, v[0:1]
	global_store_dword v[4:5], v2, off
	s_mov_b64 s[6:7], 0
.LBB7_2112:
	s_andn2_b64 vcc, exec, s[6:7]
	s_cbranch_vccnz .LBB7_2114
; %bb.2113:
	v_cvt_u32_f64_e32 v2, v[0:1]
	global_store_short v[4:5], v2, off
.LBB7_2114:
	s_mov_b64 s[6:7], 0
.LBB7_2115:
	s_andn2_b64 vcc, exec, s[6:7]
	s_cbranch_vccnz .LBB7_2123
; %bb.2116:
	v_cvt_f32_f64_e32 v2, v[0:1]
	v_and_b32_e32 v3, 0x7fffffff, v2
	s_mov_b32 s6, 0x43800000
	v_cmp_gt_u32_e32 vcc, s6, v3
	v_mov_b32_e32 v6, 0x80
	s_and_saveexec_b64 s[6:7], vcc
	s_cbranch_execz .LBB7_2122
; %bb.2117:
	s_mov_b32 s8, 0x3bffffff
	v_cmp_lt_u32_e32 vcc, s8, v3
	s_mov_b64 s[8:9], 0
                                        ; implicit-def: $vgpr3
	s_and_saveexec_b64 s[10:11], vcc
	s_xor_b64 s[10:11], exec, s[10:11]
	s_cbranch_execz .LBB7_2166
; %bb.2118:
	v_bfe_u32 v3, v2, 20, 1
	s_mov_b32 s12, 0x487ffff
	v_add3_u32 v3, v2, v3, s12
	s_mov_b64 s[8:9], exec
	v_lshrrev_b32_e32 v3, 20, v3
	s_or_saveexec_b64 s[10:11], s[10:11]
                                        ; implicit-def: $sgpr12
	s_xor_b64 exec, exec, s[10:11]
	s_cbranch_execnz .LBB7_2167
.LBB7_2119:
	s_or_b64 exec, exec, s[10:11]
	v_mov_b32_e32 v6, s12
	s_and_saveexec_b64 s[10:11], s[8:9]
.LBB7_2120:
	v_lshrrev_b32_e32 v2, 24, v2
	s_movk_i32 s8, 0x80
	v_and_or_b32 v6, v2, s8, v3
.LBB7_2121:
	s_or_b64 exec, exec, s[10:11]
.LBB7_2122:
	s_or_b64 exec, exec, s[6:7]
	global_store_byte v[4:5], v6, off
.LBB7_2123:
	s_mov_b64 s[6:7], 0
.LBB7_2124:
	s_and_b64 vcc, exec, s[6:7]
	s_cbranch_vccz .LBB7_2164
; %bb.2125:
	v_cmp_gt_i16_e64 s[6:7], s18, 22
	s_mov_b64 s[4:5], -1
	s_and_b64 vcc, exec, s[6:7]
	s_cbranch_vccz .LBB7_2157
; %bb.2126:
	v_cmp_lt_i16_e64 s[6:7], s18, 24
	s_and_b64 vcc, exec, s[6:7]
	s_cbranch_vccnz .LBB7_2146
; %bb.2127:
	v_cmp_gt_i16_e64 s[6:7], s18, 24
	s_and_b64 vcc, exec, s[6:7]
	s_cbranch_vccz .LBB7_2135
; %bb.2128:
	v_cvt_f32_f64_e32 v2, v[0:1]
	v_and_b32_e32 v3, 0x7fffffff, v2
	s_mov_b32 s4, 0x47800000
	v_cmp_gt_u32_e32 vcc, s4, v3
	v_mov_b32_e32 v6, 0x80
	s_and_saveexec_b64 s[4:5], vcc
	s_cbranch_execz .LBB7_2134
; %bb.2129:
	s_mov_b32 s6, 0x37ffffff
	v_cmp_lt_u32_e32 vcc, s6, v3
	s_mov_b64 s[6:7], 0
                                        ; implicit-def: $vgpr3
	s_and_saveexec_b64 s[8:9], vcc
	s_xor_b64 s[8:9], exec, s[8:9]
	s_cbranch_execz .LBB7_2169
; %bb.2130:
	v_bfe_u32 v3, v2, 21, 1
	s_mov_b32 s10, 0x88fffff
	v_add3_u32 v3, v2, v3, s10
	s_mov_b64 s[6:7], exec
	v_lshrrev_b32_e32 v3, 21, v3
	s_or_saveexec_b64 s[8:9], s[8:9]
                                        ; implicit-def: $sgpr10
	s_xor_b64 exec, exec, s[8:9]
	s_cbranch_execnz .LBB7_2170
.LBB7_2131:
	s_or_b64 exec, exec, s[8:9]
	v_mov_b32_e32 v6, s10
	s_and_saveexec_b64 s[8:9], s[6:7]
.LBB7_2132:
	v_lshrrev_b32_e32 v2, 24, v2
	s_movk_i32 s6, 0x80
	v_and_or_b32 v6, v2, s6, v3
.LBB7_2133:
	s_or_b64 exec, exec, s[8:9]
.LBB7_2134:
	s_or_b64 exec, exec, s[4:5]
	s_mov_b64 s[4:5], 0
	global_store_byte v[4:5], v6, off
.LBB7_2135:
	s_and_b64 vcc, exec, s[4:5]
	s_cbranch_vccz .LBB7_2145
; %bb.2136:
	v_cvt_f32_f64_e32 v2, v[0:1]
	v_and_b32_e32 v6, 0x7fffffff, v2
	s_mov_b32 s4, 0x43f00000
	v_cmp_gt_u32_e32 vcc, s4, v6
                                        ; implicit-def: $vgpr3
	s_and_saveexec_b64 s[4:5], vcc
	s_xor_b64 s[4:5], exec, s[4:5]
	s_cbranch_execz .LBB7_2142
; %bb.2137:
	s_mov_b32 s6, 0x3c7fffff
	v_cmp_lt_u32_e32 vcc, s6, v6
                                        ; implicit-def: $vgpr3
	s_and_saveexec_b64 s[6:7], vcc
	s_xor_b64 s[6:7], exec, s[6:7]
; %bb.2138:
	v_bfe_u32 v3, v2, 20, 1
	s_mov_b32 s8, 0x407ffff
	v_add3_u32 v3, v2, v3, s8
	v_lshrrev_b32_e32 v6, 20, v3
	v_and_b32_e32 v3, 0xff00000, v3
	s_mov_b32 s8, 0x7f00000
	v_mov_b32_e32 v7, 0x7e
	v_cmp_ne_u32_e32 vcc, s8, v3
	v_cndmask_b32_e32 v3, v7, v6, vcc
; %bb.2139:
	s_andn2_saveexec_b64 s[6:7], s[6:7]
; %bb.2140:
	s_mov_b32 s8, 0x46800000
	v_add_f32_e64 v3, |v2|, s8
; %bb.2141:
	s_or_b64 exec, exec, s[6:7]
                                        ; implicit-def: $vgpr6
.LBB7_2142:
	s_andn2_saveexec_b64 s[4:5], s[4:5]
; %bb.2143:
	s_mov_b32 s6, 0x7f800000
	v_mov_b32_e32 v3, 0x7e
	v_mov_b32_e32 v7, 0x7f
	v_cmp_lt_u32_e32 vcc, s6, v6
	v_cndmask_b32_e32 v3, v3, v7, vcc
; %bb.2144:
	s_or_b64 exec, exec, s[4:5]
	v_lshrrev_b32_e32 v2, 24, v2
	s_movk_i32 s4, 0x80
	v_and_or_b32 v2, v2, s4, v3
	global_store_byte v[4:5], v2, off
.LBB7_2145:
	s_mov_b64 s[4:5], 0
.LBB7_2146:
	s_andn2_b64 vcc, exec, s[4:5]
	s_cbranch_vccnz .LBB7_2156
; %bb.2147:
	v_cvt_f32_f64_e32 v2, v[0:1]
	v_and_b32_e32 v6, 0x7fffffff, v2
	s_mov_b32 s4, 0x47800000
	v_cmp_gt_u32_e32 vcc, s4, v6
                                        ; implicit-def: $vgpr3
	s_and_saveexec_b64 s[4:5], vcc
	s_xor_b64 s[4:5], exec, s[4:5]
	s_cbranch_execz .LBB7_2153
; %bb.2148:
	s_mov_b32 s6, 0x387fffff
	v_cmp_lt_u32_e32 vcc, s6, v6
                                        ; implicit-def: $vgpr3
	s_and_saveexec_b64 s[6:7], vcc
	s_xor_b64 s[6:7], exec, s[6:7]
; %bb.2149:
	v_bfe_u32 v3, v2, 21, 1
	s_mov_b32 s8, 0x80fffff
	v_add3_u32 v3, v2, v3, s8
	v_lshrrev_b32_e32 v3, 21, v3
; %bb.2150:
	s_andn2_saveexec_b64 s[6:7], s[6:7]
; %bb.2151:
	s_mov_b32 s8, 0x43000000
	v_add_f32_e64 v3, |v2|, s8
; %bb.2152:
	s_or_b64 exec, exec, s[6:7]
                                        ; implicit-def: $vgpr6
.LBB7_2153:
	s_andn2_saveexec_b64 s[4:5], s[4:5]
; %bb.2154:
	s_mov_b32 s6, 0x7f800000
	v_mov_b32_e32 v3, 0x7c
	v_mov_b32_e32 v7, 0x7f
	v_cmp_lt_u32_e32 vcc, s6, v6
	v_cndmask_b32_e32 v3, v3, v7, vcc
; %bb.2155:
	s_or_b64 exec, exec, s[4:5]
	v_lshrrev_b32_e32 v2, 24, v2
	s_movk_i32 s4, 0x80
	v_and_or_b32 v2, v2, s4, v3
	global_store_byte v[4:5], v2, off
.LBB7_2156:
	s_mov_b64 s[4:5], 0
.LBB7_2157:
	s_andn2_b64 vcc, exec, s[4:5]
	s_mov_b64 s[4:5], 0
	s_cbranch_vccnz .LBB7_2164
; %bb.2158:
	v_cmp_gt_i16_e64 s[4:5], s18, 14
	s_mov_b64 s[6:7], -1
	s_and_b64 vcc, exec, s[4:5]
	s_cbranch_vccz .LBB7_2162
; %bb.2159:
	v_cmp_eq_u16_e64 s[4:5], s18, 15
	s_mov_b64 s[0:1], -1
	s_and_b64 vcc, exec, s[4:5]
	s_cbranch_vccz .LBB7_2161
; %bb.2160:
	v_cvt_f32_f64_e32 v2, v[0:1]
	v_bfe_u32 v3, v2, 16, 1
	s_movk_i32 s0, 0x7fff
	v_add3_u32 v3, v2, v3, s0
	v_lshrrev_b32_e32 v3, 16, v3
	v_mov_b32_e32 v6, 0x7fc0
	v_cmp_o_f32_e32 vcc, v2, v2
	v_cndmask_b32_e32 v2, v6, v3, vcc
	global_store_short v[4:5], v2, off
	s_mov_b64 s[0:1], 0
.LBB7_2161:
	s_mov_b64 s[6:7], 0
.LBB7_2162:
	s_mov_b64 s[4:5], 0
	s_and_b64 vcc, exec, s[6:7]
	s_cbranch_vccz .LBB7_2164
; %bb.2163:
	v_cmp_ne_u16_e64 s[0:1], s18, 11
	s_mov_b64 s[4:5], -1
.LBB7_2164:
	s_and_b64 vcc, exec, s[0:1]
	s_cbranch_vccnz .LBB7_2168
.LBB7_2165:
	s_mov_b64 s[0:1], 0
	s_branch .LBB7_2045
.LBB7_2166:
	s_or_saveexec_b64 s[10:11], s[10:11]
                                        ; implicit-def: $sgpr12
	s_xor_b64 exec, exec, s[10:11]
	s_cbranch_execz .LBB7_2119
.LBB7_2167:
	s_mov_b32 s12, 0x46000000
	v_add_f32_e64 v3, |v2|, s12
	v_and_b32_e32 v3, 0xff, v3
	v_cmp_ne_u32_e32 vcc, 0, v3
	s_andn2_b64 s[8:9], s[8:9], exec
	s_and_b64 s[14:15], vcc, exec
	s_mov_b32 s12, 0
	s_or_b64 s[8:9], s[8:9], s[14:15]
	s_or_b64 exec, exec, s[10:11]
	v_mov_b32_e32 v6, s12
	s_and_saveexec_b64 s[10:11], s[8:9]
	s_cbranch_execnz .LBB7_2120
	s_branch .LBB7_2121
.LBB7_2168:
	s_mov_b64 s[4:5], 0
	s_or_b64 s[2:3], s[2:3], exec
	s_trap 2
	s_branch .LBB7_2165
.LBB7_2169:
	s_or_saveexec_b64 s[8:9], s[8:9]
                                        ; implicit-def: $sgpr10
	s_xor_b64 exec, exec, s[8:9]
	s_cbranch_execz .LBB7_2131
.LBB7_2170:
	s_mov_b32 s10, 0x42800000
	v_add_f32_e64 v3, |v2|, s10
	v_and_b32_e32 v3, 0xff, v3
	v_cmp_ne_u32_e32 vcc, 0, v3
	s_andn2_b64 s[6:7], s[6:7], exec
	s_and_b64 s[12:13], vcc, exec
	s_mov_b32 s10, 0
	s_or_b64 s[6:7], s[6:7], s[12:13]
	s_or_b64 exec, exec, s[8:9]
	v_mov_b32_e32 v6, s10
	s_and_saveexec_b64 s[8:9], s[6:7]
	s_cbranch_execnz .LBB7_2132
	s_branch .LBB7_2133
	.section	.rodata,"a",@progbits
	.p2align	6, 0x0
	.amdhsa_kernel _ZN2at6native32elementwise_kernel_manual_unrollILi128ELi4EZNS0_15gpu_kernel_implIZZZNS0_12_GLOBAL__N_117hardshrink_kernelERNS_18TensorIteratorBaseERKN3c106ScalarEENKUlvE_clEvENKUlvE_clEvEUldE_EEvS5_RKT_EUlibE0_EEviT1_
		.amdhsa_group_segment_fixed_size 0
		.amdhsa_private_segment_fixed_size 0
		.amdhsa_kernarg_size 368
		.amdhsa_user_sgpr_count 6
		.amdhsa_user_sgpr_private_segment_buffer 1
		.amdhsa_user_sgpr_dispatch_ptr 0
		.amdhsa_user_sgpr_queue_ptr 0
		.amdhsa_user_sgpr_kernarg_segment_ptr 1
		.amdhsa_user_sgpr_dispatch_id 0
		.amdhsa_user_sgpr_flat_scratch_init 0
		.amdhsa_user_sgpr_kernarg_preload_length 0
		.amdhsa_user_sgpr_kernarg_preload_offset 0
		.amdhsa_user_sgpr_private_segment_size 0
		.amdhsa_uses_dynamic_stack 0
		.amdhsa_system_sgpr_private_segment_wavefront_offset 0
		.amdhsa_system_sgpr_workgroup_id_x 1
		.amdhsa_system_sgpr_workgroup_id_y 0
		.amdhsa_system_sgpr_workgroup_id_z 0
		.amdhsa_system_sgpr_workgroup_info 0
		.amdhsa_system_vgpr_workitem_id 0
		.amdhsa_next_free_vgpr 22
		.amdhsa_next_free_sgpr 79
		.amdhsa_accum_offset 24
		.amdhsa_reserve_vcc 1
		.amdhsa_reserve_flat_scratch 0
		.amdhsa_float_round_mode_32 0
		.amdhsa_float_round_mode_16_64 0
		.amdhsa_float_denorm_mode_32 3
		.amdhsa_float_denorm_mode_16_64 3
		.amdhsa_dx10_clamp 1
		.amdhsa_ieee_mode 1
		.amdhsa_fp16_overflow 0
		.amdhsa_tg_split 0
		.amdhsa_exception_fp_ieee_invalid_op 0
		.amdhsa_exception_fp_denorm_src 0
		.amdhsa_exception_fp_ieee_div_zero 0
		.amdhsa_exception_fp_ieee_overflow 0
		.amdhsa_exception_fp_ieee_underflow 0
		.amdhsa_exception_fp_ieee_inexact 0
		.amdhsa_exception_int_div_zero 0
	.end_amdhsa_kernel
	.section	.text._ZN2at6native32elementwise_kernel_manual_unrollILi128ELi4EZNS0_15gpu_kernel_implIZZZNS0_12_GLOBAL__N_117hardshrink_kernelERNS_18TensorIteratorBaseERKN3c106ScalarEENKUlvE_clEvENKUlvE_clEvEUldE_EEvS5_RKT_EUlibE0_EEviT1_,"axG",@progbits,_ZN2at6native32elementwise_kernel_manual_unrollILi128ELi4EZNS0_15gpu_kernel_implIZZZNS0_12_GLOBAL__N_117hardshrink_kernelERNS_18TensorIteratorBaseERKN3c106ScalarEENKUlvE_clEvENKUlvE_clEvEUldE_EEvS5_RKT_EUlibE0_EEviT1_,comdat
.Lfunc_end7:
	.size	_ZN2at6native32elementwise_kernel_manual_unrollILi128ELi4EZNS0_15gpu_kernel_implIZZZNS0_12_GLOBAL__N_117hardshrink_kernelERNS_18TensorIteratorBaseERKN3c106ScalarEENKUlvE_clEvENKUlvE_clEvEUldE_EEvS5_RKT_EUlibE0_EEviT1_, .Lfunc_end7-_ZN2at6native32elementwise_kernel_manual_unrollILi128ELi4EZNS0_15gpu_kernel_implIZZZNS0_12_GLOBAL__N_117hardshrink_kernelERNS_18TensorIteratorBaseERKN3c106ScalarEENKUlvE_clEvENKUlvE_clEvEUldE_EEvS5_RKT_EUlibE0_EEviT1_
                                        ; -- End function
	.section	.AMDGPU.csdata,"",@progbits
; Kernel info:
; codeLenInByte = 40844
; NumSgprs: 83
; NumVgprs: 22
; NumAgprs: 0
; TotalNumVgprs: 22
; ScratchSize: 0
; MemoryBound: 1
; FloatMode: 240
; IeeeMode: 1
; LDSByteSize: 0 bytes/workgroup (compile time only)
; SGPRBlocks: 10
; VGPRBlocks: 2
; NumSGPRsForWavesPerEU: 83
; NumVGPRsForWavesPerEU: 22
; AccumOffset: 24
; Occupancy: 8
; WaveLimiterHint : 1
; COMPUTE_PGM_RSRC2:SCRATCH_EN: 0
; COMPUTE_PGM_RSRC2:USER_SGPR: 6
; COMPUTE_PGM_RSRC2:TRAP_HANDLER: 0
; COMPUTE_PGM_RSRC2:TGID_X_EN: 1
; COMPUTE_PGM_RSRC2:TGID_Y_EN: 0
; COMPUTE_PGM_RSRC2:TGID_Z_EN: 0
; COMPUTE_PGM_RSRC2:TIDIG_COMP_CNT: 0
; COMPUTE_PGM_RSRC3_GFX90A:ACCUM_OFFSET: 5
; COMPUTE_PGM_RSRC3_GFX90A:TG_SPLIT: 0
	.section	.text._ZN2at6native29vectorized_elementwise_kernelILi16EZZZNS0_12_GLOBAL__N_117hardshrink_kernelERNS_18TensorIteratorBaseERKN3c106ScalarEENKUlvE_clEvENKUlvE0_clEvEUlfE_St5arrayIPcLm2EEEEviT0_T1_,"axG",@progbits,_ZN2at6native29vectorized_elementwise_kernelILi16EZZZNS0_12_GLOBAL__N_117hardshrink_kernelERNS_18TensorIteratorBaseERKN3c106ScalarEENKUlvE_clEvENKUlvE0_clEvEUlfE_St5arrayIPcLm2EEEEviT0_T1_,comdat
	.globl	_ZN2at6native29vectorized_elementwise_kernelILi16EZZZNS0_12_GLOBAL__N_117hardshrink_kernelERNS_18TensorIteratorBaseERKN3c106ScalarEENKUlvE_clEvENKUlvE0_clEvEUlfE_St5arrayIPcLm2EEEEviT0_T1_ ; -- Begin function _ZN2at6native29vectorized_elementwise_kernelILi16EZZZNS0_12_GLOBAL__N_117hardshrink_kernelERNS_18TensorIteratorBaseERKN3c106ScalarEENKUlvE_clEvENKUlvE0_clEvEUlfE_St5arrayIPcLm2EEEEviT0_T1_
	.p2align	8
	.type	_ZN2at6native29vectorized_elementwise_kernelILi16EZZZNS0_12_GLOBAL__N_117hardshrink_kernelERNS_18TensorIteratorBaseERKN3c106ScalarEENKUlvE_clEvENKUlvE0_clEvEUlfE_St5arrayIPcLm2EEEEviT0_T1_,@function
_ZN2at6native29vectorized_elementwise_kernelILi16EZZZNS0_12_GLOBAL__N_117hardshrink_kernelERNS_18TensorIteratorBaseERKN3c106ScalarEENKUlvE_clEvENKUlvE0_clEvEUlfE_St5arrayIPcLm2EEEEviT0_T1_: ; @_ZN2at6native29vectorized_elementwise_kernelILi16EZZZNS0_12_GLOBAL__N_117hardshrink_kernelERNS_18TensorIteratorBaseERKN3c106ScalarEENKUlvE_clEvENKUlvE0_clEvEUlfE_St5arrayIPcLm2EEEEviT0_T1_
; %bb.0:
	s_load_dwordx2 s[12:13], s[4:5], 0x0
	s_load_dwordx4 s[8:11], s[4:5], 0x8
	s_lshl_b32 s6, s6, 10
	s_mov_b64 s[0:1], -1
	s_waitcnt lgkmcnt(0)
	s_sub_i32 s12, s12, s6
	s_cmpk_gt_i32 s12, 0x3ff
	s_cbranch_scc0 .LBB8_2
; %bb.1:
	s_ashr_i32 s7, s6, 31
	s_lshl_b64 s[0:1], s[6:7], 2
	s_add_u32 s2, s10, s0
	s_addc_u32 s3, s11, s1
	v_lshlrev_b32_e32 v1, 4, v0
	global_load_dwordx4 v[2:5], v1, s[2:3]
	s_add_u32 s14, s8, s0
	s_addc_u32 s15, s9, s1
	s_waitcnt vmcnt(0)
	v_cmp_nge_f32_e64 s[16:17], v3, -s13
	v_cmp_nge_f32_e32 vcc, s13, v3
	v_cmp_nge_f32_e64 s[18:19], v2, -s13
	v_cmp_nge_f32_e64 s[0:1], s13, v2
	s_or_b64 vcc, s[16:17], vcc
	v_cmp_nge_f32_e64 s[20:21], v5, -s13
	v_cmp_nge_f32_e64 s[2:3], s13, v5
	v_cndmask_b32_e32 v3, 0, v3, vcc
	s_or_b64 vcc, s[18:19], s[0:1]
	v_cmp_nge_f32_e64 s[22:23], v4, -s13
	v_cmp_nge_f32_e64 s[4:5], s13, v4
	v_cndmask_b32_e32 v2, 0, v2, vcc
	s_or_b64 vcc, s[20:21], s[2:3]
	v_cndmask_b32_e32 v5, 0, v5, vcc
	s_or_b64 vcc, s[22:23], s[4:5]
	v_cndmask_b32_e32 v4, 0, v4, vcc
	global_store_dwordx4 v1, v[2:5], s[14:15]
	s_mov_b64 s[0:1], 0
.LBB8_2:
	s_andn2_b64 vcc, exec, s[0:1]
	s_cbranch_vccnz .LBB8_16
; %bb.3:
	v_cmp_gt_i32_e32 vcc, s12, v0
	v_mov_b32_e32 v1, 0
	v_or_b32_e32 v2, s6, v0
	v_mov_b32_e32 v3, 0
	v_mov_b32_e32 v4, v0
	s_and_saveexec_b64 s[2:3], vcc
	s_cbranch_execz .LBB8_5
; %bb.4:
	v_mov_b32_e32 v3, 0
	v_lshlrev_b64 v[4:5], 2, v[2:3]
	v_mov_b32_e32 v3, s11
	v_add_co_u32_e64 v4, s[0:1], s10, v4
	v_addc_co_u32_e64 v5, s[0:1], v3, v5, s[0:1]
	global_load_dword v3, v[4:5], off
	v_or_b32_e32 v4, 0x100, v0
.LBB8_5:
	s_or_b64 exec, exec, s[2:3]
	v_cmp_gt_i32_e64 s[0:1], s12, v4
	s_and_saveexec_b64 s[2:3], s[0:1]
	s_cbranch_execz .LBB8_7
; %bb.6:
	v_add_u32_e32 v6, s6, v4
	v_mov_b32_e32 v7, 0
	v_lshlrev_b64 v[6:7], 2, v[6:7]
	v_mov_b32_e32 v1, s11
	v_add_co_u32_e64 v6, s[0:1], s10, v6
	v_addc_co_u32_e64 v7, s[0:1], v1, v7, s[0:1]
	global_load_dword v1, v[6:7], off
	v_add_u32_e32 v4, 0x100, v4
.LBB8_7:
	s_or_b64 exec, exec, s[2:3]
	v_cmp_gt_i32_e64 s[0:1], s12, v4
	v_mov_b32_e32 v5, 0
	v_mov_b32_e32 v7, 0
	s_and_saveexec_b64 s[2:3], s[0:1]
	s_cbranch_execz .LBB8_9
; %bb.8:
	v_add_u32_e32 v6, s6, v4
	v_mov_b32_e32 v7, 0
	v_lshlrev_b64 v[6:7], 2, v[6:7]
	v_mov_b32_e32 v8, s11
	v_add_co_u32_e64 v6, s[0:1], s10, v6
	v_addc_co_u32_e64 v7, s[0:1], v8, v7, s[0:1]
	global_load_dword v7, v[6:7], off
	v_add_u32_e32 v4, 0x100, v4
.LBB8_9:
	s_or_b64 exec, exec, s[2:3]
	v_cmp_gt_i32_e64 s[0:1], s12, v4
	s_and_saveexec_b64 s[2:3], s[0:1]
	s_cbranch_execz .LBB8_11
; %bb.10:
	v_add_u32_e32 v4, s6, v4
	v_mov_b32_e32 v5, 0
	v_lshlrev_b64 v[4:5], 2, v[4:5]
	v_mov_b32_e32 v6, s11
	v_add_co_u32_e64 v4, s[0:1], s10, v4
	v_addc_co_u32_e64 v5, s[0:1], v6, v5, s[0:1]
	global_load_dword v5, v[4:5], off
.LBB8_11:
	s_or_b64 exec, exec, s[2:3]
	s_waitcnt vmcnt(0)
	v_cmp_nge_f32_e64 s[2:3], v3, -s13
	v_cmp_nge_f32_e64 s[0:1], s13, v3
	s_or_b64 s[0:1], s[2:3], s[0:1]
	v_cndmask_b32_e64 v8, 0, v3, s[0:1]
	v_cmp_nge_f32_e64 s[2:3], v1, -s13
	v_cmp_nge_f32_e64 s[0:1], s13, v1
	s_or_b64 s[0:1], s[2:3], s[0:1]
	v_cndmask_b32_e64 v6, 0, v1, s[0:1]
	;; [unrolled: 4-line block ×4, first 2 shown]
	s_and_saveexec_b64 s[0:1], vcc
	s_cbranch_execnz .LBB8_17
; %bb.12:
	s_or_b64 exec, exec, s[0:1]
	v_cmp_gt_i32_e32 vcc, s12, v0
	s_and_saveexec_b64 s[0:1], vcc
	s_cbranch_execnz .LBB8_18
.LBB8_13:
	s_or_b64 exec, exec, s[0:1]
	v_cmp_gt_i32_e32 vcc, s12, v0
	s_and_saveexec_b64 s[0:1], vcc
	s_cbranch_execnz .LBB8_19
.LBB8_14:
	s_or_b64 exec, exec, s[0:1]
	v_cmp_gt_i32_e32 vcc, s12, v0
	s_and_saveexec_b64 s[0:1], vcc
	s_cbranch_execz .LBB8_16
.LBB8_15:
	v_add_u32_e32 v2, s6, v0
	v_mov_b32_e32 v3, 0
	v_lshlrev_b64 v[2:3], 2, v[2:3]
	v_mov_b32_e32 v0, s9
	v_add_co_u32_e32 v2, vcc, s8, v2
	v_addc_co_u32_e32 v3, vcc, v0, v3, vcc
	global_store_dword v[2:3], v1, off
.LBB8_16:
	s_endpgm
.LBB8_17:
	v_mov_b32_e32 v3, 0
	v_lshlrev_b64 v[2:3], 2, v[2:3]
	v_mov_b32_e32 v5, s9
	v_add_co_u32_e32 v2, vcc, s8, v2
	v_or_b32_e32 v0, 0x100, v0
	v_addc_co_u32_e32 v3, vcc, v5, v3, vcc
	global_store_dword v[2:3], v8, off
	s_or_b64 exec, exec, s[0:1]
	v_cmp_gt_i32_e32 vcc, s12, v0
	s_and_saveexec_b64 s[0:1], vcc
	s_cbranch_execz .LBB8_13
.LBB8_18:
	v_add_u32_e32 v2, s6, v0
	v_mov_b32_e32 v3, 0
	v_lshlrev_b64 v[2:3], 2, v[2:3]
	v_mov_b32_e32 v5, s9
	v_add_co_u32_e32 v2, vcc, s8, v2
	v_addc_co_u32_e32 v3, vcc, v5, v3, vcc
	v_add_u32_e32 v0, 0x100, v0
	global_store_dword v[2:3], v6, off
	s_or_b64 exec, exec, s[0:1]
	v_cmp_gt_i32_e32 vcc, s12, v0
	s_and_saveexec_b64 s[0:1], vcc
	s_cbranch_execz .LBB8_14
.LBB8_19:
	v_add_u32_e32 v2, s6, v0
	v_mov_b32_e32 v3, 0
	v_lshlrev_b64 v[2:3], 2, v[2:3]
	v_mov_b32_e32 v5, s9
	v_add_co_u32_e32 v2, vcc, s8, v2
	v_addc_co_u32_e32 v3, vcc, v5, v3, vcc
	v_add_u32_e32 v0, 0x100, v0
	global_store_dword v[2:3], v4, off
	s_or_b64 exec, exec, s[0:1]
	v_cmp_gt_i32_e32 vcc, s12, v0
	s_and_saveexec_b64 s[0:1], vcc
	s_cbranch_execnz .LBB8_15
	s_branch .LBB8_16
	.section	.rodata,"a",@progbits
	.p2align	6, 0x0
	.amdhsa_kernel _ZN2at6native29vectorized_elementwise_kernelILi16EZZZNS0_12_GLOBAL__N_117hardshrink_kernelERNS_18TensorIteratorBaseERKN3c106ScalarEENKUlvE_clEvENKUlvE0_clEvEUlfE_St5arrayIPcLm2EEEEviT0_T1_
		.amdhsa_group_segment_fixed_size 0
		.amdhsa_private_segment_fixed_size 0
		.amdhsa_kernarg_size 24
		.amdhsa_user_sgpr_count 6
		.amdhsa_user_sgpr_private_segment_buffer 1
		.amdhsa_user_sgpr_dispatch_ptr 0
		.amdhsa_user_sgpr_queue_ptr 0
		.amdhsa_user_sgpr_kernarg_segment_ptr 1
		.amdhsa_user_sgpr_dispatch_id 0
		.amdhsa_user_sgpr_flat_scratch_init 0
		.amdhsa_user_sgpr_kernarg_preload_length 0
		.amdhsa_user_sgpr_kernarg_preload_offset 0
		.amdhsa_user_sgpr_private_segment_size 0
		.amdhsa_uses_dynamic_stack 0
		.amdhsa_system_sgpr_private_segment_wavefront_offset 0
		.amdhsa_system_sgpr_workgroup_id_x 1
		.amdhsa_system_sgpr_workgroup_id_y 0
		.amdhsa_system_sgpr_workgroup_id_z 0
		.amdhsa_system_sgpr_workgroup_info 0
		.amdhsa_system_vgpr_workitem_id 0
		.amdhsa_next_free_vgpr 9
		.amdhsa_next_free_sgpr 24
		.amdhsa_accum_offset 12
		.amdhsa_reserve_vcc 1
		.amdhsa_reserve_flat_scratch 0
		.amdhsa_float_round_mode_32 0
		.amdhsa_float_round_mode_16_64 0
		.amdhsa_float_denorm_mode_32 3
		.amdhsa_float_denorm_mode_16_64 3
		.amdhsa_dx10_clamp 1
		.amdhsa_ieee_mode 1
		.amdhsa_fp16_overflow 0
		.amdhsa_tg_split 0
		.amdhsa_exception_fp_ieee_invalid_op 0
		.amdhsa_exception_fp_denorm_src 0
		.amdhsa_exception_fp_ieee_div_zero 0
		.amdhsa_exception_fp_ieee_overflow 0
		.amdhsa_exception_fp_ieee_underflow 0
		.amdhsa_exception_fp_ieee_inexact 0
		.amdhsa_exception_int_div_zero 0
	.end_amdhsa_kernel
	.section	.text._ZN2at6native29vectorized_elementwise_kernelILi16EZZZNS0_12_GLOBAL__N_117hardshrink_kernelERNS_18TensorIteratorBaseERKN3c106ScalarEENKUlvE_clEvENKUlvE0_clEvEUlfE_St5arrayIPcLm2EEEEviT0_T1_,"axG",@progbits,_ZN2at6native29vectorized_elementwise_kernelILi16EZZZNS0_12_GLOBAL__N_117hardshrink_kernelERNS_18TensorIteratorBaseERKN3c106ScalarEENKUlvE_clEvENKUlvE0_clEvEUlfE_St5arrayIPcLm2EEEEviT0_T1_,comdat
.Lfunc_end8:
	.size	_ZN2at6native29vectorized_elementwise_kernelILi16EZZZNS0_12_GLOBAL__N_117hardshrink_kernelERNS_18TensorIteratorBaseERKN3c106ScalarEENKUlvE_clEvENKUlvE0_clEvEUlfE_St5arrayIPcLm2EEEEviT0_T1_, .Lfunc_end8-_ZN2at6native29vectorized_elementwise_kernelILi16EZZZNS0_12_GLOBAL__N_117hardshrink_kernelERNS_18TensorIteratorBaseERKN3c106ScalarEENKUlvE_clEvENKUlvE0_clEvEUlfE_St5arrayIPcLm2EEEEviT0_T1_
                                        ; -- End function
	.section	.AMDGPU.csdata,"",@progbits
; Kernel info:
; codeLenInByte = 880
; NumSgprs: 28
; NumVgprs: 9
; NumAgprs: 0
; TotalNumVgprs: 9
; ScratchSize: 0
; MemoryBound: 0
; FloatMode: 240
; IeeeMode: 1
; LDSByteSize: 0 bytes/workgroup (compile time only)
; SGPRBlocks: 3
; VGPRBlocks: 1
; NumSGPRsForWavesPerEU: 28
; NumVGPRsForWavesPerEU: 9
; AccumOffset: 12
; Occupancy: 8
; WaveLimiterHint : 0
; COMPUTE_PGM_RSRC2:SCRATCH_EN: 0
; COMPUTE_PGM_RSRC2:USER_SGPR: 6
; COMPUTE_PGM_RSRC2:TRAP_HANDLER: 0
; COMPUTE_PGM_RSRC2:TGID_X_EN: 1
; COMPUTE_PGM_RSRC2:TGID_Y_EN: 0
; COMPUTE_PGM_RSRC2:TGID_Z_EN: 0
; COMPUTE_PGM_RSRC2:TIDIG_COMP_CNT: 0
; COMPUTE_PGM_RSRC3_GFX90A:ACCUM_OFFSET: 2
; COMPUTE_PGM_RSRC3_GFX90A:TG_SPLIT: 0
	.section	.text._ZN2at6native29vectorized_elementwise_kernelILi8EZZZNS0_12_GLOBAL__N_117hardshrink_kernelERNS_18TensorIteratorBaseERKN3c106ScalarEENKUlvE_clEvENKUlvE0_clEvEUlfE_St5arrayIPcLm2EEEEviT0_T1_,"axG",@progbits,_ZN2at6native29vectorized_elementwise_kernelILi8EZZZNS0_12_GLOBAL__N_117hardshrink_kernelERNS_18TensorIteratorBaseERKN3c106ScalarEENKUlvE_clEvENKUlvE0_clEvEUlfE_St5arrayIPcLm2EEEEviT0_T1_,comdat
	.globl	_ZN2at6native29vectorized_elementwise_kernelILi8EZZZNS0_12_GLOBAL__N_117hardshrink_kernelERNS_18TensorIteratorBaseERKN3c106ScalarEENKUlvE_clEvENKUlvE0_clEvEUlfE_St5arrayIPcLm2EEEEviT0_T1_ ; -- Begin function _ZN2at6native29vectorized_elementwise_kernelILi8EZZZNS0_12_GLOBAL__N_117hardshrink_kernelERNS_18TensorIteratorBaseERKN3c106ScalarEENKUlvE_clEvENKUlvE0_clEvEUlfE_St5arrayIPcLm2EEEEviT0_T1_
	.p2align	8
	.type	_ZN2at6native29vectorized_elementwise_kernelILi8EZZZNS0_12_GLOBAL__N_117hardshrink_kernelERNS_18TensorIteratorBaseERKN3c106ScalarEENKUlvE_clEvENKUlvE0_clEvEUlfE_St5arrayIPcLm2EEEEviT0_T1_,@function
_ZN2at6native29vectorized_elementwise_kernelILi8EZZZNS0_12_GLOBAL__N_117hardshrink_kernelERNS_18TensorIteratorBaseERKN3c106ScalarEENKUlvE_clEvENKUlvE0_clEvEUlfE_St5arrayIPcLm2EEEEviT0_T1_: ; @_ZN2at6native29vectorized_elementwise_kernelILi8EZZZNS0_12_GLOBAL__N_117hardshrink_kernelERNS_18TensorIteratorBaseERKN3c106ScalarEENKUlvE_clEvENKUlvE0_clEvEUlfE_St5arrayIPcLm2EEEEviT0_T1_
; %bb.0:
	s_load_dwordx2 s[12:13], s[4:5], 0x0
	s_load_dwordx4 s[8:11], s[4:5], 0x8
	s_lshl_b32 s6, s6, 10
	s_mov_b64 s[0:1], -1
	s_waitcnt lgkmcnt(0)
	s_sub_i32 s12, s12, s6
	s_cmpk_gt_i32 s12, 0x3ff
	s_cbranch_scc0 .LBB9_2
; %bb.1:
	s_ashr_i32 s7, s6, 31
	s_lshl_b64 s[0:1], s[6:7], 2
	s_add_u32 s2, s10, s0
	s_addc_u32 s3, s11, s1
	v_lshlrev_b32_e32 v1, 4, v0
	global_load_dwordx4 v[2:5], v1, s[2:3]
	s_add_u32 s14, s8, s0
	s_addc_u32 s15, s9, s1
	s_waitcnt vmcnt(0)
	v_cmp_nge_f32_e64 s[16:17], v3, -s13
	v_cmp_nge_f32_e32 vcc, s13, v3
	v_cmp_nge_f32_e64 s[18:19], v2, -s13
	v_cmp_nge_f32_e64 s[0:1], s13, v2
	s_or_b64 vcc, s[16:17], vcc
	v_cmp_nge_f32_e64 s[20:21], v5, -s13
	v_cmp_nge_f32_e64 s[2:3], s13, v5
	v_cndmask_b32_e32 v3, 0, v3, vcc
	s_or_b64 vcc, s[18:19], s[0:1]
	v_cmp_nge_f32_e64 s[22:23], v4, -s13
	v_cmp_nge_f32_e64 s[4:5], s13, v4
	v_cndmask_b32_e32 v2, 0, v2, vcc
	s_or_b64 vcc, s[20:21], s[2:3]
	v_cndmask_b32_e32 v5, 0, v5, vcc
	s_or_b64 vcc, s[22:23], s[4:5]
	v_cndmask_b32_e32 v4, 0, v4, vcc
	global_store_dwordx4 v1, v[2:5], s[14:15]
	s_mov_b64 s[0:1], 0
.LBB9_2:
	s_andn2_b64 vcc, exec, s[0:1]
	s_cbranch_vccnz .LBB9_16
; %bb.3:
	v_cmp_gt_i32_e32 vcc, s12, v0
	v_mov_b32_e32 v1, 0
	v_or_b32_e32 v2, s6, v0
	v_mov_b32_e32 v3, 0
	v_mov_b32_e32 v4, v0
	s_and_saveexec_b64 s[2:3], vcc
	s_cbranch_execz .LBB9_5
; %bb.4:
	v_mov_b32_e32 v3, 0
	v_lshlrev_b64 v[4:5], 2, v[2:3]
	v_mov_b32_e32 v3, s11
	v_add_co_u32_e64 v4, s[0:1], s10, v4
	v_addc_co_u32_e64 v5, s[0:1], v3, v5, s[0:1]
	global_load_dword v3, v[4:5], off
	v_or_b32_e32 v4, 0x100, v0
.LBB9_5:
	s_or_b64 exec, exec, s[2:3]
	v_cmp_gt_i32_e64 s[0:1], s12, v4
	s_and_saveexec_b64 s[2:3], s[0:1]
	s_cbranch_execz .LBB9_7
; %bb.6:
	v_add_u32_e32 v6, s6, v4
	v_mov_b32_e32 v7, 0
	v_lshlrev_b64 v[6:7], 2, v[6:7]
	v_mov_b32_e32 v1, s11
	v_add_co_u32_e64 v6, s[0:1], s10, v6
	v_addc_co_u32_e64 v7, s[0:1], v1, v7, s[0:1]
	global_load_dword v1, v[6:7], off
	v_add_u32_e32 v4, 0x100, v4
.LBB9_7:
	s_or_b64 exec, exec, s[2:3]
	v_cmp_gt_i32_e64 s[0:1], s12, v4
	v_mov_b32_e32 v5, 0
	v_mov_b32_e32 v7, 0
	s_and_saveexec_b64 s[2:3], s[0:1]
	s_cbranch_execz .LBB9_9
; %bb.8:
	v_add_u32_e32 v6, s6, v4
	v_mov_b32_e32 v7, 0
	v_lshlrev_b64 v[6:7], 2, v[6:7]
	v_mov_b32_e32 v8, s11
	v_add_co_u32_e64 v6, s[0:1], s10, v6
	v_addc_co_u32_e64 v7, s[0:1], v8, v7, s[0:1]
	global_load_dword v7, v[6:7], off
	v_add_u32_e32 v4, 0x100, v4
.LBB9_9:
	s_or_b64 exec, exec, s[2:3]
	v_cmp_gt_i32_e64 s[0:1], s12, v4
	s_and_saveexec_b64 s[2:3], s[0:1]
	s_cbranch_execz .LBB9_11
; %bb.10:
	v_add_u32_e32 v4, s6, v4
	v_mov_b32_e32 v5, 0
	v_lshlrev_b64 v[4:5], 2, v[4:5]
	v_mov_b32_e32 v6, s11
	v_add_co_u32_e64 v4, s[0:1], s10, v4
	v_addc_co_u32_e64 v5, s[0:1], v6, v5, s[0:1]
	global_load_dword v5, v[4:5], off
.LBB9_11:
	s_or_b64 exec, exec, s[2:3]
	s_waitcnt vmcnt(0)
	v_cmp_nge_f32_e64 s[2:3], v3, -s13
	v_cmp_nge_f32_e64 s[0:1], s13, v3
	s_or_b64 s[0:1], s[2:3], s[0:1]
	v_cndmask_b32_e64 v8, 0, v3, s[0:1]
	v_cmp_nge_f32_e64 s[2:3], v1, -s13
	v_cmp_nge_f32_e64 s[0:1], s13, v1
	s_or_b64 s[0:1], s[2:3], s[0:1]
	v_cndmask_b32_e64 v6, 0, v1, s[0:1]
	;; [unrolled: 4-line block ×4, first 2 shown]
	s_and_saveexec_b64 s[0:1], vcc
	s_cbranch_execnz .LBB9_17
; %bb.12:
	s_or_b64 exec, exec, s[0:1]
	v_cmp_gt_i32_e32 vcc, s12, v0
	s_and_saveexec_b64 s[0:1], vcc
	s_cbranch_execnz .LBB9_18
.LBB9_13:
	s_or_b64 exec, exec, s[0:1]
	v_cmp_gt_i32_e32 vcc, s12, v0
	s_and_saveexec_b64 s[0:1], vcc
	s_cbranch_execnz .LBB9_19
.LBB9_14:
	s_or_b64 exec, exec, s[0:1]
	v_cmp_gt_i32_e32 vcc, s12, v0
	s_and_saveexec_b64 s[0:1], vcc
	s_cbranch_execz .LBB9_16
.LBB9_15:
	v_add_u32_e32 v2, s6, v0
	v_mov_b32_e32 v3, 0
	v_lshlrev_b64 v[2:3], 2, v[2:3]
	v_mov_b32_e32 v0, s9
	v_add_co_u32_e32 v2, vcc, s8, v2
	v_addc_co_u32_e32 v3, vcc, v0, v3, vcc
	global_store_dword v[2:3], v1, off
.LBB9_16:
	s_endpgm
.LBB9_17:
	v_mov_b32_e32 v3, 0
	v_lshlrev_b64 v[2:3], 2, v[2:3]
	v_mov_b32_e32 v5, s9
	v_add_co_u32_e32 v2, vcc, s8, v2
	v_or_b32_e32 v0, 0x100, v0
	v_addc_co_u32_e32 v3, vcc, v5, v3, vcc
	global_store_dword v[2:3], v8, off
	s_or_b64 exec, exec, s[0:1]
	v_cmp_gt_i32_e32 vcc, s12, v0
	s_and_saveexec_b64 s[0:1], vcc
	s_cbranch_execz .LBB9_13
.LBB9_18:
	v_add_u32_e32 v2, s6, v0
	v_mov_b32_e32 v3, 0
	v_lshlrev_b64 v[2:3], 2, v[2:3]
	v_mov_b32_e32 v5, s9
	v_add_co_u32_e32 v2, vcc, s8, v2
	v_addc_co_u32_e32 v3, vcc, v5, v3, vcc
	v_add_u32_e32 v0, 0x100, v0
	global_store_dword v[2:3], v6, off
	s_or_b64 exec, exec, s[0:1]
	v_cmp_gt_i32_e32 vcc, s12, v0
	s_and_saveexec_b64 s[0:1], vcc
	s_cbranch_execz .LBB9_14
.LBB9_19:
	v_add_u32_e32 v2, s6, v0
	v_mov_b32_e32 v3, 0
	v_lshlrev_b64 v[2:3], 2, v[2:3]
	v_mov_b32_e32 v5, s9
	v_add_co_u32_e32 v2, vcc, s8, v2
	v_addc_co_u32_e32 v3, vcc, v5, v3, vcc
	v_add_u32_e32 v0, 0x100, v0
	global_store_dword v[2:3], v4, off
	s_or_b64 exec, exec, s[0:1]
	v_cmp_gt_i32_e32 vcc, s12, v0
	s_and_saveexec_b64 s[0:1], vcc
	s_cbranch_execnz .LBB9_15
	s_branch .LBB9_16
	.section	.rodata,"a",@progbits
	.p2align	6, 0x0
	.amdhsa_kernel _ZN2at6native29vectorized_elementwise_kernelILi8EZZZNS0_12_GLOBAL__N_117hardshrink_kernelERNS_18TensorIteratorBaseERKN3c106ScalarEENKUlvE_clEvENKUlvE0_clEvEUlfE_St5arrayIPcLm2EEEEviT0_T1_
		.amdhsa_group_segment_fixed_size 0
		.amdhsa_private_segment_fixed_size 0
		.amdhsa_kernarg_size 24
		.amdhsa_user_sgpr_count 6
		.amdhsa_user_sgpr_private_segment_buffer 1
		.amdhsa_user_sgpr_dispatch_ptr 0
		.amdhsa_user_sgpr_queue_ptr 0
		.amdhsa_user_sgpr_kernarg_segment_ptr 1
		.amdhsa_user_sgpr_dispatch_id 0
		.amdhsa_user_sgpr_flat_scratch_init 0
		.amdhsa_user_sgpr_kernarg_preload_length 0
		.amdhsa_user_sgpr_kernarg_preload_offset 0
		.amdhsa_user_sgpr_private_segment_size 0
		.amdhsa_uses_dynamic_stack 0
		.amdhsa_system_sgpr_private_segment_wavefront_offset 0
		.amdhsa_system_sgpr_workgroup_id_x 1
		.amdhsa_system_sgpr_workgroup_id_y 0
		.amdhsa_system_sgpr_workgroup_id_z 0
		.amdhsa_system_sgpr_workgroup_info 0
		.amdhsa_system_vgpr_workitem_id 0
		.amdhsa_next_free_vgpr 9
		.amdhsa_next_free_sgpr 24
		.amdhsa_accum_offset 12
		.amdhsa_reserve_vcc 1
		.amdhsa_reserve_flat_scratch 0
		.amdhsa_float_round_mode_32 0
		.amdhsa_float_round_mode_16_64 0
		.amdhsa_float_denorm_mode_32 3
		.amdhsa_float_denorm_mode_16_64 3
		.amdhsa_dx10_clamp 1
		.amdhsa_ieee_mode 1
		.amdhsa_fp16_overflow 0
		.amdhsa_tg_split 0
		.amdhsa_exception_fp_ieee_invalid_op 0
		.amdhsa_exception_fp_denorm_src 0
		.amdhsa_exception_fp_ieee_div_zero 0
		.amdhsa_exception_fp_ieee_overflow 0
		.amdhsa_exception_fp_ieee_underflow 0
		.amdhsa_exception_fp_ieee_inexact 0
		.amdhsa_exception_int_div_zero 0
	.end_amdhsa_kernel
	.section	.text._ZN2at6native29vectorized_elementwise_kernelILi8EZZZNS0_12_GLOBAL__N_117hardshrink_kernelERNS_18TensorIteratorBaseERKN3c106ScalarEENKUlvE_clEvENKUlvE0_clEvEUlfE_St5arrayIPcLm2EEEEviT0_T1_,"axG",@progbits,_ZN2at6native29vectorized_elementwise_kernelILi8EZZZNS0_12_GLOBAL__N_117hardshrink_kernelERNS_18TensorIteratorBaseERKN3c106ScalarEENKUlvE_clEvENKUlvE0_clEvEUlfE_St5arrayIPcLm2EEEEviT0_T1_,comdat
.Lfunc_end9:
	.size	_ZN2at6native29vectorized_elementwise_kernelILi8EZZZNS0_12_GLOBAL__N_117hardshrink_kernelERNS_18TensorIteratorBaseERKN3c106ScalarEENKUlvE_clEvENKUlvE0_clEvEUlfE_St5arrayIPcLm2EEEEviT0_T1_, .Lfunc_end9-_ZN2at6native29vectorized_elementwise_kernelILi8EZZZNS0_12_GLOBAL__N_117hardshrink_kernelERNS_18TensorIteratorBaseERKN3c106ScalarEENKUlvE_clEvENKUlvE0_clEvEUlfE_St5arrayIPcLm2EEEEviT0_T1_
                                        ; -- End function
	.section	.AMDGPU.csdata,"",@progbits
; Kernel info:
; codeLenInByte = 880
; NumSgprs: 28
; NumVgprs: 9
; NumAgprs: 0
; TotalNumVgprs: 9
; ScratchSize: 0
; MemoryBound: 0
; FloatMode: 240
; IeeeMode: 1
; LDSByteSize: 0 bytes/workgroup (compile time only)
; SGPRBlocks: 3
; VGPRBlocks: 1
; NumSGPRsForWavesPerEU: 28
; NumVGPRsForWavesPerEU: 9
; AccumOffset: 12
; Occupancy: 8
; WaveLimiterHint : 0
; COMPUTE_PGM_RSRC2:SCRATCH_EN: 0
; COMPUTE_PGM_RSRC2:USER_SGPR: 6
; COMPUTE_PGM_RSRC2:TRAP_HANDLER: 0
; COMPUTE_PGM_RSRC2:TGID_X_EN: 1
; COMPUTE_PGM_RSRC2:TGID_Y_EN: 0
; COMPUTE_PGM_RSRC2:TGID_Z_EN: 0
; COMPUTE_PGM_RSRC2:TIDIG_COMP_CNT: 0
; COMPUTE_PGM_RSRC3_GFX90A:ACCUM_OFFSET: 2
; COMPUTE_PGM_RSRC3_GFX90A:TG_SPLIT: 0
	.section	.text._ZN2at6native29vectorized_elementwise_kernelILi4EZZZNS0_12_GLOBAL__N_117hardshrink_kernelERNS_18TensorIteratorBaseERKN3c106ScalarEENKUlvE_clEvENKUlvE0_clEvEUlfE_St5arrayIPcLm2EEEEviT0_T1_,"axG",@progbits,_ZN2at6native29vectorized_elementwise_kernelILi4EZZZNS0_12_GLOBAL__N_117hardshrink_kernelERNS_18TensorIteratorBaseERKN3c106ScalarEENKUlvE_clEvENKUlvE0_clEvEUlfE_St5arrayIPcLm2EEEEviT0_T1_,comdat
	.globl	_ZN2at6native29vectorized_elementwise_kernelILi4EZZZNS0_12_GLOBAL__N_117hardshrink_kernelERNS_18TensorIteratorBaseERKN3c106ScalarEENKUlvE_clEvENKUlvE0_clEvEUlfE_St5arrayIPcLm2EEEEviT0_T1_ ; -- Begin function _ZN2at6native29vectorized_elementwise_kernelILi4EZZZNS0_12_GLOBAL__N_117hardshrink_kernelERNS_18TensorIteratorBaseERKN3c106ScalarEENKUlvE_clEvENKUlvE0_clEvEUlfE_St5arrayIPcLm2EEEEviT0_T1_
	.p2align	8
	.type	_ZN2at6native29vectorized_elementwise_kernelILi4EZZZNS0_12_GLOBAL__N_117hardshrink_kernelERNS_18TensorIteratorBaseERKN3c106ScalarEENKUlvE_clEvENKUlvE0_clEvEUlfE_St5arrayIPcLm2EEEEviT0_T1_,@function
_ZN2at6native29vectorized_elementwise_kernelILi4EZZZNS0_12_GLOBAL__N_117hardshrink_kernelERNS_18TensorIteratorBaseERKN3c106ScalarEENKUlvE_clEvENKUlvE0_clEvEUlfE_St5arrayIPcLm2EEEEviT0_T1_: ; @_ZN2at6native29vectorized_elementwise_kernelILi4EZZZNS0_12_GLOBAL__N_117hardshrink_kernelERNS_18TensorIteratorBaseERKN3c106ScalarEENKUlvE_clEvENKUlvE0_clEvEUlfE_St5arrayIPcLm2EEEEviT0_T1_
; %bb.0:
	s_load_dwordx2 s[12:13], s[4:5], 0x0
	s_load_dwordx4 s[8:11], s[4:5], 0x8
	s_lshl_b32 s6, s6, 10
	s_mov_b64 s[0:1], -1
	s_waitcnt lgkmcnt(0)
	s_sub_i32 s12, s12, s6
	s_cmpk_gt_i32 s12, 0x3ff
	s_cbranch_scc0 .LBB10_2
; %bb.1:
	s_ashr_i32 s7, s6, 31
	s_lshl_b64 s[0:1], s[6:7], 2
	s_add_u32 s2, s10, s0
	s_addc_u32 s3, s11, s1
	v_lshlrev_b32_e32 v1, 4, v0
	global_load_dwordx4 v[2:5], v1, s[2:3]
	s_add_u32 s14, s8, s0
	s_addc_u32 s15, s9, s1
	s_waitcnt vmcnt(0)
	v_cmp_nge_f32_e64 s[16:17], v3, -s13
	v_cmp_nge_f32_e32 vcc, s13, v3
	v_cmp_nge_f32_e64 s[18:19], v2, -s13
	v_cmp_nge_f32_e64 s[0:1], s13, v2
	s_or_b64 vcc, s[16:17], vcc
	v_cmp_nge_f32_e64 s[20:21], v5, -s13
	v_cmp_nge_f32_e64 s[2:3], s13, v5
	v_cndmask_b32_e32 v3, 0, v3, vcc
	s_or_b64 vcc, s[18:19], s[0:1]
	v_cmp_nge_f32_e64 s[22:23], v4, -s13
	v_cmp_nge_f32_e64 s[4:5], s13, v4
	v_cndmask_b32_e32 v2, 0, v2, vcc
	s_or_b64 vcc, s[20:21], s[2:3]
	v_cndmask_b32_e32 v5, 0, v5, vcc
	s_or_b64 vcc, s[22:23], s[4:5]
	v_cndmask_b32_e32 v4, 0, v4, vcc
	global_store_dwordx4 v1, v[2:5], s[14:15]
	s_mov_b64 s[0:1], 0
.LBB10_2:
	s_andn2_b64 vcc, exec, s[0:1]
	s_cbranch_vccnz .LBB10_16
; %bb.3:
	v_cmp_gt_i32_e32 vcc, s12, v0
	v_mov_b32_e32 v1, 0
	v_or_b32_e32 v2, s6, v0
	v_mov_b32_e32 v3, 0
	v_mov_b32_e32 v4, v0
	s_and_saveexec_b64 s[2:3], vcc
	s_cbranch_execz .LBB10_5
; %bb.4:
	v_mov_b32_e32 v3, 0
	v_lshlrev_b64 v[4:5], 2, v[2:3]
	v_mov_b32_e32 v3, s11
	v_add_co_u32_e64 v4, s[0:1], s10, v4
	v_addc_co_u32_e64 v5, s[0:1], v3, v5, s[0:1]
	global_load_dword v3, v[4:5], off
	v_or_b32_e32 v4, 0x100, v0
.LBB10_5:
	s_or_b64 exec, exec, s[2:3]
	v_cmp_gt_i32_e64 s[0:1], s12, v4
	s_and_saveexec_b64 s[2:3], s[0:1]
	s_cbranch_execz .LBB10_7
; %bb.6:
	v_add_u32_e32 v6, s6, v4
	v_mov_b32_e32 v7, 0
	v_lshlrev_b64 v[6:7], 2, v[6:7]
	v_mov_b32_e32 v1, s11
	v_add_co_u32_e64 v6, s[0:1], s10, v6
	v_addc_co_u32_e64 v7, s[0:1], v1, v7, s[0:1]
	global_load_dword v1, v[6:7], off
	v_add_u32_e32 v4, 0x100, v4
.LBB10_7:
	s_or_b64 exec, exec, s[2:3]
	v_cmp_gt_i32_e64 s[0:1], s12, v4
	v_mov_b32_e32 v5, 0
	v_mov_b32_e32 v7, 0
	s_and_saveexec_b64 s[2:3], s[0:1]
	s_cbranch_execz .LBB10_9
; %bb.8:
	v_add_u32_e32 v6, s6, v4
	v_mov_b32_e32 v7, 0
	v_lshlrev_b64 v[6:7], 2, v[6:7]
	v_mov_b32_e32 v8, s11
	v_add_co_u32_e64 v6, s[0:1], s10, v6
	v_addc_co_u32_e64 v7, s[0:1], v8, v7, s[0:1]
	global_load_dword v7, v[6:7], off
	v_add_u32_e32 v4, 0x100, v4
.LBB10_9:
	s_or_b64 exec, exec, s[2:3]
	v_cmp_gt_i32_e64 s[0:1], s12, v4
	s_and_saveexec_b64 s[2:3], s[0:1]
	s_cbranch_execz .LBB10_11
; %bb.10:
	v_add_u32_e32 v4, s6, v4
	v_mov_b32_e32 v5, 0
	v_lshlrev_b64 v[4:5], 2, v[4:5]
	v_mov_b32_e32 v6, s11
	v_add_co_u32_e64 v4, s[0:1], s10, v4
	v_addc_co_u32_e64 v5, s[0:1], v6, v5, s[0:1]
	global_load_dword v5, v[4:5], off
.LBB10_11:
	s_or_b64 exec, exec, s[2:3]
	s_waitcnt vmcnt(0)
	v_cmp_nge_f32_e64 s[2:3], v3, -s13
	v_cmp_nge_f32_e64 s[0:1], s13, v3
	s_or_b64 s[0:1], s[2:3], s[0:1]
	v_cndmask_b32_e64 v8, 0, v3, s[0:1]
	v_cmp_nge_f32_e64 s[2:3], v1, -s13
	v_cmp_nge_f32_e64 s[0:1], s13, v1
	s_or_b64 s[0:1], s[2:3], s[0:1]
	v_cndmask_b32_e64 v6, 0, v1, s[0:1]
	;; [unrolled: 4-line block ×4, first 2 shown]
	s_and_saveexec_b64 s[0:1], vcc
	s_cbranch_execnz .LBB10_17
; %bb.12:
	s_or_b64 exec, exec, s[0:1]
	v_cmp_gt_i32_e32 vcc, s12, v0
	s_and_saveexec_b64 s[0:1], vcc
	s_cbranch_execnz .LBB10_18
.LBB10_13:
	s_or_b64 exec, exec, s[0:1]
	v_cmp_gt_i32_e32 vcc, s12, v0
	s_and_saveexec_b64 s[0:1], vcc
	s_cbranch_execnz .LBB10_19
.LBB10_14:
	s_or_b64 exec, exec, s[0:1]
	v_cmp_gt_i32_e32 vcc, s12, v0
	s_and_saveexec_b64 s[0:1], vcc
	s_cbranch_execz .LBB10_16
.LBB10_15:
	v_add_u32_e32 v2, s6, v0
	v_mov_b32_e32 v3, 0
	v_lshlrev_b64 v[2:3], 2, v[2:3]
	v_mov_b32_e32 v0, s9
	v_add_co_u32_e32 v2, vcc, s8, v2
	v_addc_co_u32_e32 v3, vcc, v0, v3, vcc
	global_store_dword v[2:3], v1, off
.LBB10_16:
	s_endpgm
.LBB10_17:
	v_mov_b32_e32 v3, 0
	v_lshlrev_b64 v[2:3], 2, v[2:3]
	v_mov_b32_e32 v5, s9
	v_add_co_u32_e32 v2, vcc, s8, v2
	v_or_b32_e32 v0, 0x100, v0
	v_addc_co_u32_e32 v3, vcc, v5, v3, vcc
	global_store_dword v[2:3], v8, off
	s_or_b64 exec, exec, s[0:1]
	v_cmp_gt_i32_e32 vcc, s12, v0
	s_and_saveexec_b64 s[0:1], vcc
	s_cbranch_execz .LBB10_13
.LBB10_18:
	v_add_u32_e32 v2, s6, v0
	v_mov_b32_e32 v3, 0
	v_lshlrev_b64 v[2:3], 2, v[2:3]
	v_mov_b32_e32 v5, s9
	v_add_co_u32_e32 v2, vcc, s8, v2
	v_addc_co_u32_e32 v3, vcc, v5, v3, vcc
	v_add_u32_e32 v0, 0x100, v0
	global_store_dword v[2:3], v6, off
	s_or_b64 exec, exec, s[0:1]
	v_cmp_gt_i32_e32 vcc, s12, v0
	s_and_saveexec_b64 s[0:1], vcc
	s_cbranch_execz .LBB10_14
.LBB10_19:
	v_add_u32_e32 v2, s6, v0
	v_mov_b32_e32 v3, 0
	v_lshlrev_b64 v[2:3], 2, v[2:3]
	v_mov_b32_e32 v5, s9
	v_add_co_u32_e32 v2, vcc, s8, v2
	v_addc_co_u32_e32 v3, vcc, v5, v3, vcc
	v_add_u32_e32 v0, 0x100, v0
	global_store_dword v[2:3], v4, off
	s_or_b64 exec, exec, s[0:1]
	v_cmp_gt_i32_e32 vcc, s12, v0
	s_and_saveexec_b64 s[0:1], vcc
	s_cbranch_execnz .LBB10_15
	s_branch .LBB10_16
	.section	.rodata,"a",@progbits
	.p2align	6, 0x0
	.amdhsa_kernel _ZN2at6native29vectorized_elementwise_kernelILi4EZZZNS0_12_GLOBAL__N_117hardshrink_kernelERNS_18TensorIteratorBaseERKN3c106ScalarEENKUlvE_clEvENKUlvE0_clEvEUlfE_St5arrayIPcLm2EEEEviT0_T1_
		.amdhsa_group_segment_fixed_size 0
		.amdhsa_private_segment_fixed_size 0
		.amdhsa_kernarg_size 24
		.amdhsa_user_sgpr_count 6
		.amdhsa_user_sgpr_private_segment_buffer 1
		.amdhsa_user_sgpr_dispatch_ptr 0
		.amdhsa_user_sgpr_queue_ptr 0
		.amdhsa_user_sgpr_kernarg_segment_ptr 1
		.amdhsa_user_sgpr_dispatch_id 0
		.amdhsa_user_sgpr_flat_scratch_init 0
		.amdhsa_user_sgpr_kernarg_preload_length 0
		.amdhsa_user_sgpr_kernarg_preload_offset 0
		.amdhsa_user_sgpr_private_segment_size 0
		.amdhsa_uses_dynamic_stack 0
		.amdhsa_system_sgpr_private_segment_wavefront_offset 0
		.amdhsa_system_sgpr_workgroup_id_x 1
		.amdhsa_system_sgpr_workgroup_id_y 0
		.amdhsa_system_sgpr_workgroup_id_z 0
		.amdhsa_system_sgpr_workgroup_info 0
		.amdhsa_system_vgpr_workitem_id 0
		.amdhsa_next_free_vgpr 9
		.amdhsa_next_free_sgpr 24
		.amdhsa_accum_offset 12
		.amdhsa_reserve_vcc 1
		.amdhsa_reserve_flat_scratch 0
		.amdhsa_float_round_mode_32 0
		.amdhsa_float_round_mode_16_64 0
		.amdhsa_float_denorm_mode_32 3
		.amdhsa_float_denorm_mode_16_64 3
		.amdhsa_dx10_clamp 1
		.amdhsa_ieee_mode 1
		.amdhsa_fp16_overflow 0
		.amdhsa_tg_split 0
		.amdhsa_exception_fp_ieee_invalid_op 0
		.amdhsa_exception_fp_denorm_src 0
		.amdhsa_exception_fp_ieee_div_zero 0
		.amdhsa_exception_fp_ieee_overflow 0
		.amdhsa_exception_fp_ieee_underflow 0
		.amdhsa_exception_fp_ieee_inexact 0
		.amdhsa_exception_int_div_zero 0
	.end_amdhsa_kernel
	.section	.text._ZN2at6native29vectorized_elementwise_kernelILi4EZZZNS0_12_GLOBAL__N_117hardshrink_kernelERNS_18TensorIteratorBaseERKN3c106ScalarEENKUlvE_clEvENKUlvE0_clEvEUlfE_St5arrayIPcLm2EEEEviT0_T1_,"axG",@progbits,_ZN2at6native29vectorized_elementwise_kernelILi4EZZZNS0_12_GLOBAL__N_117hardshrink_kernelERNS_18TensorIteratorBaseERKN3c106ScalarEENKUlvE_clEvENKUlvE0_clEvEUlfE_St5arrayIPcLm2EEEEviT0_T1_,comdat
.Lfunc_end10:
	.size	_ZN2at6native29vectorized_elementwise_kernelILi4EZZZNS0_12_GLOBAL__N_117hardshrink_kernelERNS_18TensorIteratorBaseERKN3c106ScalarEENKUlvE_clEvENKUlvE0_clEvEUlfE_St5arrayIPcLm2EEEEviT0_T1_, .Lfunc_end10-_ZN2at6native29vectorized_elementwise_kernelILi4EZZZNS0_12_GLOBAL__N_117hardshrink_kernelERNS_18TensorIteratorBaseERKN3c106ScalarEENKUlvE_clEvENKUlvE0_clEvEUlfE_St5arrayIPcLm2EEEEviT0_T1_
                                        ; -- End function
	.section	.AMDGPU.csdata,"",@progbits
; Kernel info:
; codeLenInByte = 880
; NumSgprs: 28
; NumVgprs: 9
; NumAgprs: 0
; TotalNumVgprs: 9
; ScratchSize: 0
; MemoryBound: 0
; FloatMode: 240
; IeeeMode: 1
; LDSByteSize: 0 bytes/workgroup (compile time only)
; SGPRBlocks: 3
; VGPRBlocks: 1
; NumSGPRsForWavesPerEU: 28
; NumVGPRsForWavesPerEU: 9
; AccumOffset: 12
; Occupancy: 8
; WaveLimiterHint : 0
; COMPUTE_PGM_RSRC2:SCRATCH_EN: 0
; COMPUTE_PGM_RSRC2:USER_SGPR: 6
; COMPUTE_PGM_RSRC2:TRAP_HANDLER: 0
; COMPUTE_PGM_RSRC2:TGID_X_EN: 1
; COMPUTE_PGM_RSRC2:TGID_Y_EN: 0
; COMPUTE_PGM_RSRC2:TGID_Z_EN: 0
; COMPUTE_PGM_RSRC2:TIDIG_COMP_CNT: 0
; COMPUTE_PGM_RSRC3_GFX90A:ACCUM_OFFSET: 2
; COMPUTE_PGM_RSRC3_GFX90A:TG_SPLIT: 0
	.section	.text._ZN2at6native29vectorized_elementwise_kernelILi2EZZZNS0_12_GLOBAL__N_117hardshrink_kernelERNS_18TensorIteratorBaseERKN3c106ScalarEENKUlvE_clEvENKUlvE0_clEvEUlfE_St5arrayIPcLm2EEEEviT0_T1_,"axG",@progbits,_ZN2at6native29vectorized_elementwise_kernelILi2EZZZNS0_12_GLOBAL__N_117hardshrink_kernelERNS_18TensorIteratorBaseERKN3c106ScalarEENKUlvE_clEvENKUlvE0_clEvEUlfE_St5arrayIPcLm2EEEEviT0_T1_,comdat
	.globl	_ZN2at6native29vectorized_elementwise_kernelILi2EZZZNS0_12_GLOBAL__N_117hardshrink_kernelERNS_18TensorIteratorBaseERKN3c106ScalarEENKUlvE_clEvENKUlvE0_clEvEUlfE_St5arrayIPcLm2EEEEviT0_T1_ ; -- Begin function _ZN2at6native29vectorized_elementwise_kernelILi2EZZZNS0_12_GLOBAL__N_117hardshrink_kernelERNS_18TensorIteratorBaseERKN3c106ScalarEENKUlvE_clEvENKUlvE0_clEvEUlfE_St5arrayIPcLm2EEEEviT0_T1_
	.p2align	8
	.type	_ZN2at6native29vectorized_elementwise_kernelILi2EZZZNS0_12_GLOBAL__N_117hardshrink_kernelERNS_18TensorIteratorBaseERKN3c106ScalarEENKUlvE_clEvENKUlvE0_clEvEUlfE_St5arrayIPcLm2EEEEviT0_T1_,@function
_ZN2at6native29vectorized_elementwise_kernelILi2EZZZNS0_12_GLOBAL__N_117hardshrink_kernelERNS_18TensorIteratorBaseERKN3c106ScalarEENKUlvE_clEvENKUlvE0_clEvEUlfE_St5arrayIPcLm2EEEEviT0_T1_: ; @_ZN2at6native29vectorized_elementwise_kernelILi2EZZZNS0_12_GLOBAL__N_117hardshrink_kernelERNS_18TensorIteratorBaseERKN3c106ScalarEENKUlvE_clEvENKUlvE0_clEvEUlfE_St5arrayIPcLm2EEEEviT0_T1_
; %bb.0:
	s_load_dwordx2 s[12:13], s[4:5], 0x0
	s_load_dwordx4 s[8:11], s[4:5], 0x8
	s_lshl_b32 s6, s6, 10
	s_mov_b64 s[0:1], -1
	s_waitcnt lgkmcnt(0)
	s_sub_i32 s12, s12, s6
	s_cmpk_gt_i32 s12, 0x3ff
	s_cbranch_scc0 .LBB11_2
; %bb.1:
	s_ashr_i32 s7, s6, 31
	s_lshl_b64 s[0:1], s[6:7], 2
	s_add_u32 s2, s10, s0
	s_addc_u32 s3, s11, s1
	v_lshlrev_b32_e32 v1, 3, v0
	global_load_dwordx2 v[2:3], v1, s[2:3]
	global_load_dwordx2 v[4:5], v1, s[2:3] offset:2048
	s_add_u32 s14, s8, s0
	s_addc_u32 s15, s9, s1
	s_waitcnt vmcnt(1)
	v_cmp_nge_f32_e64 s[16:17], v3, -s13
	v_cmp_nge_f32_e32 vcc, s13, v3
	v_cmp_nge_f32_e64 s[18:19], v2, -s13
	v_cmp_nge_f32_e64 s[0:1], s13, v2
	s_or_b64 vcc, s[16:17], vcc
	s_waitcnt vmcnt(0)
	v_cmp_nge_f32_e64 s[20:21], v5, -s13
	v_cmp_nge_f32_e64 s[2:3], s13, v5
	v_cndmask_b32_e32 v3, 0, v3, vcc
	s_or_b64 vcc, s[18:19], s[0:1]
	v_cmp_nge_f32_e64 s[22:23], v4, -s13
	v_cmp_nge_f32_e64 s[4:5], s13, v4
	v_cndmask_b32_e32 v2, 0, v2, vcc
	s_or_b64 vcc, s[20:21], s[2:3]
	v_cndmask_b32_e32 v5, 0, v5, vcc
	s_or_b64 vcc, s[22:23], s[4:5]
	v_cndmask_b32_e32 v4, 0, v4, vcc
	global_store_dwordx2 v1, v[2:3], s[14:15]
	global_store_dwordx2 v1, v[4:5], s[14:15] offset:2048
	s_mov_b64 s[0:1], 0
.LBB11_2:
	s_andn2_b64 vcc, exec, s[0:1]
	s_cbranch_vccnz .LBB11_16
; %bb.3:
	v_cmp_gt_i32_e32 vcc, s12, v0
	v_mov_b32_e32 v1, 0
	v_or_b32_e32 v2, s6, v0
	v_mov_b32_e32 v3, 0
	v_mov_b32_e32 v4, v0
	s_and_saveexec_b64 s[2:3], vcc
	s_cbranch_execz .LBB11_5
; %bb.4:
	v_mov_b32_e32 v3, 0
	v_lshlrev_b64 v[4:5], 2, v[2:3]
	v_mov_b32_e32 v3, s11
	v_add_co_u32_e64 v4, s[0:1], s10, v4
	v_addc_co_u32_e64 v5, s[0:1], v3, v5, s[0:1]
	global_load_dword v3, v[4:5], off
	v_or_b32_e32 v4, 0x100, v0
.LBB11_5:
	s_or_b64 exec, exec, s[2:3]
	v_cmp_gt_i32_e64 s[0:1], s12, v4
	s_and_saveexec_b64 s[2:3], s[0:1]
	s_cbranch_execz .LBB11_7
; %bb.6:
	v_add_u32_e32 v6, s6, v4
	v_mov_b32_e32 v7, 0
	v_lshlrev_b64 v[6:7], 2, v[6:7]
	v_mov_b32_e32 v1, s11
	v_add_co_u32_e64 v6, s[0:1], s10, v6
	v_addc_co_u32_e64 v7, s[0:1], v1, v7, s[0:1]
	global_load_dword v1, v[6:7], off
	v_add_u32_e32 v4, 0x100, v4
.LBB11_7:
	s_or_b64 exec, exec, s[2:3]
	v_cmp_gt_i32_e64 s[0:1], s12, v4
	v_mov_b32_e32 v5, 0
	v_mov_b32_e32 v7, 0
	s_and_saveexec_b64 s[2:3], s[0:1]
	s_cbranch_execz .LBB11_9
; %bb.8:
	v_add_u32_e32 v6, s6, v4
	v_mov_b32_e32 v7, 0
	v_lshlrev_b64 v[6:7], 2, v[6:7]
	v_mov_b32_e32 v8, s11
	v_add_co_u32_e64 v6, s[0:1], s10, v6
	v_addc_co_u32_e64 v7, s[0:1], v8, v7, s[0:1]
	global_load_dword v7, v[6:7], off
	v_add_u32_e32 v4, 0x100, v4
.LBB11_9:
	s_or_b64 exec, exec, s[2:3]
	v_cmp_gt_i32_e64 s[0:1], s12, v4
	s_and_saveexec_b64 s[2:3], s[0:1]
	s_cbranch_execz .LBB11_11
; %bb.10:
	v_add_u32_e32 v4, s6, v4
	v_mov_b32_e32 v5, 0
	v_lshlrev_b64 v[4:5], 2, v[4:5]
	v_mov_b32_e32 v6, s11
	v_add_co_u32_e64 v4, s[0:1], s10, v4
	v_addc_co_u32_e64 v5, s[0:1], v6, v5, s[0:1]
	global_load_dword v5, v[4:5], off
.LBB11_11:
	s_or_b64 exec, exec, s[2:3]
	s_waitcnt vmcnt(0)
	v_cmp_nge_f32_e64 s[2:3], v3, -s13
	v_cmp_nge_f32_e64 s[0:1], s13, v3
	s_or_b64 s[0:1], s[2:3], s[0:1]
	v_cndmask_b32_e64 v8, 0, v3, s[0:1]
	v_cmp_nge_f32_e64 s[2:3], v1, -s13
	v_cmp_nge_f32_e64 s[0:1], s13, v1
	s_or_b64 s[0:1], s[2:3], s[0:1]
	v_cndmask_b32_e64 v6, 0, v1, s[0:1]
	;; [unrolled: 4-line block ×4, first 2 shown]
	s_and_saveexec_b64 s[0:1], vcc
	s_cbranch_execnz .LBB11_17
; %bb.12:
	s_or_b64 exec, exec, s[0:1]
	v_cmp_gt_i32_e32 vcc, s12, v0
	s_and_saveexec_b64 s[0:1], vcc
	s_cbranch_execnz .LBB11_18
.LBB11_13:
	s_or_b64 exec, exec, s[0:1]
	v_cmp_gt_i32_e32 vcc, s12, v0
	s_and_saveexec_b64 s[0:1], vcc
	s_cbranch_execnz .LBB11_19
.LBB11_14:
	s_or_b64 exec, exec, s[0:1]
	v_cmp_gt_i32_e32 vcc, s12, v0
	s_and_saveexec_b64 s[0:1], vcc
	s_cbranch_execz .LBB11_16
.LBB11_15:
	v_add_u32_e32 v2, s6, v0
	v_mov_b32_e32 v3, 0
	v_lshlrev_b64 v[2:3], 2, v[2:3]
	v_mov_b32_e32 v0, s9
	v_add_co_u32_e32 v2, vcc, s8, v2
	v_addc_co_u32_e32 v3, vcc, v0, v3, vcc
	global_store_dword v[2:3], v1, off
.LBB11_16:
	s_endpgm
.LBB11_17:
	v_mov_b32_e32 v3, 0
	v_lshlrev_b64 v[2:3], 2, v[2:3]
	v_mov_b32_e32 v5, s9
	v_add_co_u32_e32 v2, vcc, s8, v2
	v_or_b32_e32 v0, 0x100, v0
	v_addc_co_u32_e32 v3, vcc, v5, v3, vcc
	global_store_dword v[2:3], v8, off
	s_or_b64 exec, exec, s[0:1]
	v_cmp_gt_i32_e32 vcc, s12, v0
	s_and_saveexec_b64 s[0:1], vcc
	s_cbranch_execz .LBB11_13
.LBB11_18:
	v_add_u32_e32 v2, s6, v0
	v_mov_b32_e32 v3, 0
	v_lshlrev_b64 v[2:3], 2, v[2:3]
	v_mov_b32_e32 v5, s9
	v_add_co_u32_e32 v2, vcc, s8, v2
	v_addc_co_u32_e32 v3, vcc, v5, v3, vcc
	v_add_u32_e32 v0, 0x100, v0
	global_store_dword v[2:3], v6, off
	s_or_b64 exec, exec, s[0:1]
	v_cmp_gt_i32_e32 vcc, s12, v0
	s_and_saveexec_b64 s[0:1], vcc
	s_cbranch_execz .LBB11_14
.LBB11_19:
	v_add_u32_e32 v2, s6, v0
	v_mov_b32_e32 v3, 0
	v_lshlrev_b64 v[2:3], 2, v[2:3]
	v_mov_b32_e32 v5, s9
	v_add_co_u32_e32 v2, vcc, s8, v2
	v_addc_co_u32_e32 v3, vcc, v5, v3, vcc
	v_add_u32_e32 v0, 0x100, v0
	global_store_dword v[2:3], v4, off
	s_or_b64 exec, exec, s[0:1]
	v_cmp_gt_i32_e32 vcc, s12, v0
	s_and_saveexec_b64 s[0:1], vcc
	s_cbranch_execnz .LBB11_15
	s_branch .LBB11_16
	.section	.rodata,"a",@progbits
	.p2align	6, 0x0
	.amdhsa_kernel _ZN2at6native29vectorized_elementwise_kernelILi2EZZZNS0_12_GLOBAL__N_117hardshrink_kernelERNS_18TensorIteratorBaseERKN3c106ScalarEENKUlvE_clEvENKUlvE0_clEvEUlfE_St5arrayIPcLm2EEEEviT0_T1_
		.amdhsa_group_segment_fixed_size 0
		.amdhsa_private_segment_fixed_size 0
		.amdhsa_kernarg_size 24
		.amdhsa_user_sgpr_count 6
		.amdhsa_user_sgpr_private_segment_buffer 1
		.amdhsa_user_sgpr_dispatch_ptr 0
		.amdhsa_user_sgpr_queue_ptr 0
		.amdhsa_user_sgpr_kernarg_segment_ptr 1
		.amdhsa_user_sgpr_dispatch_id 0
		.amdhsa_user_sgpr_flat_scratch_init 0
		.amdhsa_user_sgpr_kernarg_preload_length 0
		.amdhsa_user_sgpr_kernarg_preload_offset 0
		.amdhsa_user_sgpr_private_segment_size 0
		.amdhsa_uses_dynamic_stack 0
		.amdhsa_system_sgpr_private_segment_wavefront_offset 0
		.amdhsa_system_sgpr_workgroup_id_x 1
		.amdhsa_system_sgpr_workgroup_id_y 0
		.amdhsa_system_sgpr_workgroup_id_z 0
		.amdhsa_system_sgpr_workgroup_info 0
		.amdhsa_system_vgpr_workitem_id 0
		.amdhsa_next_free_vgpr 9
		.amdhsa_next_free_sgpr 24
		.amdhsa_accum_offset 12
		.amdhsa_reserve_vcc 1
		.amdhsa_reserve_flat_scratch 0
		.amdhsa_float_round_mode_32 0
		.amdhsa_float_round_mode_16_64 0
		.amdhsa_float_denorm_mode_32 3
		.amdhsa_float_denorm_mode_16_64 3
		.amdhsa_dx10_clamp 1
		.amdhsa_ieee_mode 1
		.amdhsa_fp16_overflow 0
		.amdhsa_tg_split 0
		.amdhsa_exception_fp_ieee_invalid_op 0
		.amdhsa_exception_fp_denorm_src 0
		.amdhsa_exception_fp_ieee_div_zero 0
		.amdhsa_exception_fp_ieee_overflow 0
		.amdhsa_exception_fp_ieee_underflow 0
		.amdhsa_exception_fp_ieee_inexact 0
		.amdhsa_exception_int_div_zero 0
	.end_amdhsa_kernel
	.section	.text._ZN2at6native29vectorized_elementwise_kernelILi2EZZZNS0_12_GLOBAL__N_117hardshrink_kernelERNS_18TensorIteratorBaseERKN3c106ScalarEENKUlvE_clEvENKUlvE0_clEvEUlfE_St5arrayIPcLm2EEEEviT0_T1_,"axG",@progbits,_ZN2at6native29vectorized_elementwise_kernelILi2EZZZNS0_12_GLOBAL__N_117hardshrink_kernelERNS_18TensorIteratorBaseERKN3c106ScalarEENKUlvE_clEvENKUlvE0_clEvEUlfE_St5arrayIPcLm2EEEEviT0_T1_,comdat
.Lfunc_end11:
	.size	_ZN2at6native29vectorized_elementwise_kernelILi2EZZZNS0_12_GLOBAL__N_117hardshrink_kernelERNS_18TensorIteratorBaseERKN3c106ScalarEENKUlvE_clEvENKUlvE0_clEvEUlfE_St5arrayIPcLm2EEEEviT0_T1_, .Lfunc_end11-_ZN2at6native29vectorized_elementwise_kernelILi2EZZZNS0_12_GLOBAL__N_117hardshrink_kernelERNS_18TensorIteratorBaseERKN3c106ScalarEENKUlvE_clEvENKUlvE0_clEvEUlfE_St5arrayIPcLm2EEEEviT0_T1_
                                        ; -- End function
	.section	.AMDGPU.csdata,"",@progbits
; Kernel info:
; codeLenInByte = 900
; NumSgprs: 28
; NumVgprs: 9
; NumAgprs: 0
; TotalNumVgprs: 9
; ScratchSize: 0
; MemoryBound: 0
; FloatMode: 240
; IeeeMode: 1
; LDSByteSize: 0 bytes/workgroup (compile time only)
; SGPRBlocks: 3
; VGPRBlocks: 1
; NumSGPRsForWavesPerEU: 28
; NumVGPRsForWavesPerEU: 9
; AccumOffset: 12
; Occupancy: 8
; WaveLimiterHint : 1
; COMPUTE_PGM_RSRC2:SCRATCH_EN: 0
; COMPUTE_PGM_RSRC2:USER_SGPR: 6
; COMPUTE_PGM_RSRC2:TRAP_HANDLER: 0
; COMPUTE_PGM_RSRC2:TGID_X_EN: 1
; COMPUTE_PGM_RSRC2:TGID_Y_EN: 0
; COMPUTE_PGM_RSRC2:TGID_Z_EN: 0
; COMPUTE_PGM_RSRC2:TIDIG_COMP_CNT: 0
; COMPUTE_PGM_RSRC3_GFX90A:ACCUM_OFFSET: 2
; COMPUTE_PGM_RSRC3_GFX90A:TG_SPLIT: 0
	.section	.text._ZN2at6native27unrolled_elementwise_kernelIZZZNS0_12_GLOBAL__N_117hardshrink_kernelERNS_18TensorIteratorBaseERKN3c106ScalarEENKUlvE_clEvENKUlvE0_clEvEUlfE_St5arrayIPcLm2EELi4E23TrivialOffsetCalculatorILi1EjESG_NS0_6memory15LoadWithoutCastENSH_16StoreWithoutCastEEEviT_T0_T2_T3_T4_T5_,"axG",@progbits,_ZN2at6native27unrolled_elementwise_kernelIZZZNS0_12_GLOBAL__N_117hardshrink_kernelERNS_18TensorIteratorBaseERKN3c106ScalarEENKUlvE_clEvENKUlvE0_clEvEUlfE_St5arrayIPcLm2EELi4E23TrivialOffsetCalculatorILi1EjESG_NS0_6memory15LoadWithoutCastENSH_16StoreWithoutCastEEEviT_T0_T2_T3_T4_T5_,comdat
	.globl	_ZN2at6native27unrolled_elementwise_kernelIZZZNS0_12_GLOBAL__N_117hardshrink_kernelERNS_18TensorIteratorBaseERKN3c106ScalarEENKUlvE_clEvENKUlvE0_clEvEUlfE_St5arrayIPcLm2EELi4E23TrivialOffsetCalculatorILi1EjESG_NS0_6memory15LoadWithoutCastENSH_16StoreWithoutCastEEEviT_T0_T2_T3_T4_T5_ ; -- Begin function _ZN2at6native27unrolled_elementwise_kernelIZZZNS0_12_GLOBAL__N_117hardshrink_kernelERNS_18TensorIteratorBaseERKN3c106ScalarEENKUlvE_clEvENKUlvE0_clEvEUlfE_St5arrayIPcLm2EELi4E23TrivialOffsetCalculatorILi1EjESG_NS0_6memory15LoadWithoutCastENSH_16StoreWithoutCastEEEviT_T0_T2_T3_T4_T5_
	.p2align	8
	.type	_ZN2at6native27unrolled_elementwise_kernelIZZZNS0_12_GLOBAL__N_117hardshrink_kernelERNS_18TensorIteratorBaseERKN3c106ScalarEENKUlvE_clEvENKUlvE0_clEvEUlfE_St5arrayIPcLm2EELi4E23TrivialOffsetCalculatorILi1EjESG_NS0_6memory15LoadWithoutCastENSH_16StoreWithoutCastEEEviT_T0_T2_T3_T4_T5_,@function
_ZN2at6native27unrolled_elementwise_kernelIZZZNS0_12_GLOBAL__N_117hardshrink_kernelERNS_18TensorIteratorBaseERKN3c106ScalarEENKUlvE_clEvENKUlvE0_clEvEUlfE_St5arrayIPcLm2EELi4E23TrivialOffsetCalculatorILi1EjESG_NS0_6memory15LoadWithoutCastENSH_16StoreWithoutCastEEEviT_T0_T2_T3_T4_T5_: ; @_ZN2at6native27unrolled_elementwise_kernelIZZZNS0_12_GLOBAL__N_117hardshrink_kernelERNS_18TensorIteratorBaseERKN3c106ScalarEENKUlvE_clEvENKUlvE0_clEvEUlfE_St5arrayIPcLm2EELi4E23TrivialOffsetCalculatorILi1EjESG_NS0_6memory15LoadWithoutCastENSH_16StoreWithoutCastEEEviT_T0_T2_T3_T4_T5_
; %bb.0:
	s_load_dwordx2 s[2:3], s[4:5], 0x0
	s_load_dwordx4 s[8:11], s[4:5], 0x8
	s_lshl_b32 s6, s6, 10
	v_mov_b32_e32 v1, 0
	v_or_b32_e32 v2, s6, v0
	s_waitcnt lgkmcnt(0)
	s_sub_i32 s2, s2, s6
	v_cmp_gt_i32_e32 vcc, s2, v0
	v_mov_b32_e32 v3, 0
	v_mov_b32_e32 v4, v0
	s_and_saveexec_b64 s[4:5], vcc
	s_cbranch_execz .LBB12_2
; %bb.1:
	v_mov_b32_e32 v3, 0
	v_lshlrev_b64 v[4:5], 2, v[2:3]
	v_mov_b32_e32 v3, s11
	v_add_co_u32_e64 v4, s[0:1], s10, v4
	v_addc_co_u32_e64 v5, s[0:1], v3, v5, s[0:1]
	global_load_dword v3, v[4:5], off
	v_or_b32_e32 v4, 0x100, v0
.LBB12_2:
	s_or_b64 exec, exec, s[4:5]
	v_cmp_gt_i32_e64 s[0:1], s2, v4
	s_and_saveexec_b64 s[4:5], s[0:1]
	s_cbranch_execz .LBB12_4
; %bb.3:
	v_add_u32_e32 v6, s6, v4
	v_mov_b32_e32 v7, 0
	v_lshlrev_b64 v[6:7], 2, v[6:7]
	v_mov_b32_e32 v1, s11
	v_add_co_u32_e64 v6, s[0:1], s10, v6
	v_addc_co_u32_e64 v7, s[0:1], v1, v7, s[0:1]
	global_load_dword v1, v[6:7], off
	v_add_u32_e32 v4, 0x100, v4
.LBB12_4:
	s_or_b64 exec, exec, s[4:5]
	v_cmp_gt_i32_e64 s[0:1], s2, v4
	v_mov_b32_e32 v5, 0
	v_mov_b32_e32 v7, 0
	s_and_saveexec_b64 s[4:5], s[0:1]
	s_cbranch_execz .LBB12_6
; %bb.5:
	v_add_u32_e32 v6, s6, v4
	v_mov_b32_e32 v7, 0
	v_lshlrev_b64 v[6:7], 2, v[6:7]
	v_mov_b32_e32 v8, s11
	v_add_co_u32_e64 v6, s[0:1], s10, v6
	v_addc_co_u32_e64 v7, s[0:1], v8, v7, s[0:1]
	global_load_dword v7, v[6:7], off
	v_add_u32_e32 v4, 0x100, v4
.LBB12_6:
	s_or_b64 exec, exec, s[4:5]
	v_cmp_gt_i32_e64 s[0:1], s2, v4
	s_and_saveexec_b64 s[4:5], s[0:1]
	s_cbranch_execz .LBB12_8
; %bb.7:
	v_add_u32_e32 v4, s6, v4
	v_mov_b32_e32 v5, 0
	v_lshlrev_b64 v[4:5], 2, v[4:5]
	v_mov_b32_e32 v6, s11
	v_add_co_u32_e64 v4, s[0:1], s10, v4
	v_addc_co_u32_e64 v5, s[0:1], v6, v5, s[0:1]
	global_load_dword v5, v[4:5], off
.LBB12_8:
	s_or_b64 exec, exec, s[4:5]
	s_waitcnt vmcnt(0)
	v_cmp_nge_f32_e64 s[4:5], v3, -s3
	v_cmp_nge_f32_e64 s[0:1], s3, v3
	s_or_b64 s[0:1], s[4:5], s[0:1]
	v_cndmask_b32_e64 v8, 0, v3, s[0:1]
	v_cmp_nge_f32_e64 s[4:5], v1, -s3
	v_cmp_nge_f32_e64 s[0:1], s3, v1
	s_or_b64 s[0:1], s[4:5], s[0:1]
	v_cndmask_b32_e64 v6, 0, v1, s[0:1]
	;; [unrolled: 4-line block ×4, first 2 shown]
	s_and_saveexec_b64 s[0:1], vcc
	s_cbranch_execnz .LBB12_13
; %bb.9:
	s_or_b64 exec, exec, s[0:1]
	v_cmp_gt_i32_e32 vcc, s2, v0
	s_and_saveexec_b64 s[0:1], vcc
	s_cbranch_execnz .LBB12_14
.LBB12_10:
	s_or_b64 exec, exec, s[0:1]
	v_cmp_gt_i32_e32 vcc, s2, v0
	s_and_saveexec_b64 s[0:1], vcc
	s_cbranch_execnz .LBB12_15
.LBB12_11:
	s_or_b64 exec, exec, s[0:1]
	v_cmp_gt_i32_e32 vcc, s2, v0
	s_and_saveexec_b64 s[0:1], vcc
	s_cbranch_execnz .LBB12_16
.LBB12_12:
	s_endpgm
.LBB12_13:
	v_mov_b32_e32 v3, 0
	v_lshlrev_b64 v[2:3], 2, v[2:3]
	v_mov_b32_e32 v5, s9
	v_add_co_u32_e32 v2, vcc, s8, v2
	v_or_b32_e32 v0, 0x100, v0
	v_addc_co_u32_e32 v3, vcc, v5, v3, vcc
	global_store_dword v[2:3], v8, off
	s_or_b64 exec, exec, s[0:1]
	v_cmp_gt_i32_e32 vcc, s2, v0
	s_and_saveexec_b64 s[0:1], vcc
	s_cbranch_execz .LBB12_10
.LBB12_14:
	v_add_u32_e32 v2, s6, v0
	v_mov_b32_e32 v3, 0
	v_lshlrev_b64 v[2:3], 2, v[2:3]
	v_add_u32_e32 v5, 0x100, v0
	v_mov_b32_e32 v0, s9
	v_add_co_u32_e32 v2, vcc, s8, v2
	v_addc_co_u32_e32 v3, vcc, v0, v3, vcc
	v_mov_b32_e32 v0, v5
	global_store_dword v[2:3], v6, off
	s_or_b64 exec, exec, s[0:1]
	v_cmp_gt_i32_e32 vcc, s2, v0
	s_and_saveexec_b64 s[0:1], vcc
	s_cbranch_execz .LBB12_11
.LBB12_15:
	v_add_u32_e32 v2, s6, v0
	v_mov_b32_e32 v3, 0
	v_lshlrev_b64 v[2:3], 2, v[2:3]
	v_add_u32_e32 v5, 0x100, v0
	v_mov_b32_e32 v0, s9
	v_add_co_u32_e32 v2, vcc, s8, v2
	v_addc_co_u32_e32 v3, vcc, v0, v3, vcc
	v_mov_b32_e32 v0, v5
	global_store_dword v[2:3], v4, off
	s_or_b64 exec, exec, s[0:1]
	v_cmp_gt_i32_e32 vcc, s2, v0
	s_and_saveexec_b64 s[0:1], vcc
	s_cbranch_execz .LBB12_12
.LBB12_16:
	v_add_u32_e32 v2, s6, v0
	v_mov_b32_e32 v3, 0
	v_lshlrev_b64 v[2:3], 2, v[2:3]
	v_mov_b32_e32 v0, s9
	v_add_co_u32_e32 v2, vcc, s8, v2
	v_addc_co_u32_e32 v3, vcc, v0, v3, vcc
	global_store_dword v[2:3], v1, off
	s_endpgm
	.section	.rodata,"a",@progbits
	.p2align	6, 0x0
	.amdhsa_kernel _ZN2at6native27unrolled_elementwise_kernelIZZZNS0_12_GLOBAL__N_117hardshrink_kernelERNS_18TensorIteratorBaseERKN3c106ScalarEENKUlvE_clEvENKUlvE0_clEvEUlfE_St5arrayIPcLm2EELi4E23TrivialOffsetCalculatorILi1EjESG_NS0_6memory15LoadWithoutCastENSH_16StoreWithoutCastEEEviT_T0_T2_T3_T4_T5_
		.amdhsa_group_segment_fixed_size 0
		.amdhsa_private_segment_fixed_size 0
		.amdhsa_kernarg_size 28
		.amdhsa_user_sgpr_count 6
		.amdhsa_user_sgpr_private_segment_buffer 1
		.amdhsa_user_sgpr_dispatch_ptr 0
		.amdhsa_user_sgpr_queue_ptr 0
		.amdhsa_user_sgpr_kernarg_segment_ptr 1
		.amdhsa_user_sgpr_dispatch_id 0
		.amdhsa_user_sgpr_flat_scratch_init 0
		.amdhsa_user_sgpr_kernarg_preload_length 0
		.amdhsa_user_sgpr_kernarg_preload_offset 0
		.amdhsa_user_sgpr_private_segment_size 0
		.amdhsa_uses_dynamic_stack 0
		.amdhsa_system_sgpr_private_segment_wavefront_offset 0
		.amdhsa_system_sgpr_workgroup_id_x 1
		.amdhsa_system_sgpr_workgroup_id_y 0
		.amdhsa_system_sgpr_workgroup_id_z 0
		.amdhsa_system_sgpr_workgroup_info 0
		.amdhsa_system_vgpr_workitem_id 0
		.amdhsa_next_free_vgpr 9
		.amdhsa_next_free_sgpr 12
		.amdhsa_accum_offset 12
		.amdhsa_reserve_vcc 1
		.amdhsa_reserve_flat_scratch 0
		.amdhsa_float_round_mode_32 0
		.amdhsa_float_round_mode_16_64 0
		.amdhsa_float_denorm_mode_32 3
		.amdhsa_float_denorm_mode_16_64 3
		.amdhsa_dx10_clamp 1
		.amdhsa_ieee_mode 1
		.amdhsa_fp16_overflow 0
		.amdhsa_tg_split 0
		.amdhsa_exception_fp_ieee_invalid_op 0
		.amdhsa_exception_fp_denorm_src 0
		.amdhsa_exception_fp_ieee_div_zero 0
		.amdhsa_exception_fp_ieee_overflow 0
		.amdhsa_exception_fp_ieee_underflow 0
		.amdhsa_exception_fp_ieee_inexact 0
		.amdhsa_exception_int_div_zero 0
	.end_amdhsa_kernel
	.section	.text._ZN2at6native27unrolled_elementwise_kernelIZZZNS0_12_GLOBAL__N_117hardshrink_kernelERNS_18TensorIteratorBaseERKN3c106ScalarEENKUlvE_clEvENKUlvE0_clEvEUlfE_St5arrayIPcLm2EELi4E23TrivialOffsetCalculatorILi1EjESG_NS0_6memory15LoadWithoutCastENSH_16StoreWithoutCastEEEviT_T0_T2_T3_T4_T5_,"axG",@progbits,_ZN2at6native27unrolled_elementwise_kernelIZZZNS0_12_GLOBAL__N_117hardshrink_kernelERNS_18TensorIteratorBaseERKN3c106ScalarEENKUlvE_clEvENKUlvE0_clEvEUlfE_St5arrayIPcLm2EELi4E23TrivialOffsetCalculatorILi1EjESG_NS0_6memory15LoadWithoutCastENSH_16StoreWithoutCastEEEviT_T0_T2_T3_T4_T5_,comdat
.Lfunc_end12:
	.size	_ZN2at6native27unrolled_elementwise_kernelIZZZNS0_12_GLOBAL__N_117hardshrink_kernelERNS_18TensorIteratorBaseERKN3c106ScalarEENKUlvE_clEvENKUlvE0_clEvEUlfE_St5arrayIPcLm2EELi4E23TrivialOffsetCalculatorILi1EjESG_NS0_6memory15LoadWithoutCastENSH_16StoreWithoutCastEEEviT_T0_T2_T3_T4_T5_, .Lfunc_end12-_ZN2at6native27unrolled_elementwise_kernelIZZZNS0_12_GLOBAL__N_117hardshrink_kernelERNS_18TensorIteratorBaseERKN3c106ScalarEENKUlvE_clEvENKUlvE0_clEvEUlfE_St5arrayIPcLm2EELi4E23TrivialOffsetCalculatorILi1EjESG_NS0_6memory15LoadWithoutCastENSH_16StoreWithoutCastEEEviT_T0_T2_T3_T4_T5_
                                        ; -- End function
	.section	.AMDGPU.csdata,"",@progbits
; Kernel info:
; codeLenInByte = 724
; NumSgprs: 16
; NumVgprs: 9
; NumAgprs: 0
; TotalNumVgprs: 9
; ScratchSize: 0
; MemoryBound: 0
; FloatMode: 240
; IeeeMode: 1
; LDSByteSize: 0 bytes/workgroup (compile time only)
; SGPRBlocks: 1
; VGPRBlocks: 1
; NumSGPRsForWavesPerEU: 16
; NumVGPRsForWavesPerEU: 9
; AccumOffset: 12
; Occupancy: 8
; WaveLimiterHint : 0
; COMPUTE_PGM_RSRC2:SCRATCH_EN: 0
; COMPUTE_PGM_RSRC2:USER_SGPR: 6
; COMPUTE_PGM_RSRC2:TRAP_HANDLER: 0
; COMPUTE_PGM_RSRC2:TGID_X_EN: 1
; COMPUTE_PGM_RSRC2:TGID_Y_EN: 0
; COMPUTE_PGM_RSRC2:TGID_Z_EN: 0
; COMPUTE_PGM_RSRC2:TIDIG_COMP_CNT: 0
; COMPUTE_PGM_RSRC3_GFX90A:ACCUM_OFFSET: 2
; COMPUTE_PGM_RSRC3_GFX90A:TG_SPLIT: 0
	.section	.text._ZN2at6native32elementwise_kernel_manual_unrollILi128ELi4EZNS0_22gpu_kernel_impl_nocastIZZZNS0_12_GLOBAL__N_117hardshrink_kernelERNS_18TensorIteratorBaseERKN3c106ScalarEENKUlvE_clEvENKUlvE0_clEvEUlfE_EEvS5_RKT_EUlibE_EEviT1_,"axG",@progbits,_ZN2at6native32elementwise_kernel_manual_unrollILi128ELi4EZNS0_22gpu_kernel_impl_nocastIZZZNS0_12_GLOBAL__N_117hardshrink_kernelERNS_18TensorIteratorBaseERKN3c106ScalarEENKUlvE_clEvENKUlvE0_clEvEUlfE_EEvS5_RKT_EUlibE_EEviT1_,comdat
	.globl	_ZN2at6native32elementwise_kernel_manual_unrollILi128ELi4EZNS0_22gpu_kernel_impl_nocastIZZZNS0_12_GLOBAL__N_117hardshrink_kernelERNS_18TensorIteratorBaseERKN3c106ScalarEENKUlvE_clEvENKUlvE0_clEvEUlfE_EEvS5_RKT_EUlibE_EEviT1_ ; -- Begin function _ZN2at6native32elementwise_kernel_manual_unrollILi128ELi4EZNS0_22gpu_kernel_impl_nocastIZZZNS0_12_GLOBAL__N_117hardshrink_kernelERNS_18TensorIteratorBaseERKN3c106ScalarEENKUlvE_clEvENKUlvE0_clEvEUlfE_EEvS5_RKT_EUlibE_EEviT1_
	.p2align	8
	.type	_ZN2at6native32elementwise_kernel_manual_unrollILi128ELi4EZNS0_22gpu_kernel_impl_nocastIZZZNS0_12_GLOBAL__N_117hardshrink_kernelERNS_18TensorIteratorBaseERKN3c106ScalarEENKUlvE_clEvENKUlvE0_clEvEUlfE_EEvS5_RKT_EUlibE_EEviT1_,@function
_ZN2at6native32elementwise_kernel_manual_unrollILi128ELi4EZNS0_22gpu_kernel_impl_nocastIZZZNS0_12_GLOBAL__N_117hardshrink_kernelERNS_18TensorIteratorBaseERKN3c106ScalarEENKUlvE_clEvENKUlvE0_clEvEUlfE_EEvS5_RKT_EUlibE_EEviT1_: ; @_ZN2at6native32elementwise_kernel_manual_unrollILi128ELi4EZNS0_22gpu_kernel_impl_nocastIZZZNS0_12_GLOBAL__N_117hardshrink_kernelERNS_18TensorIteratorBaseERKN3c106ScalarEENKUlvE_clEvENKUlvE0_clEvEUlfE_EEvS5_RKT_EUlibE_EEviT1_
; %bb.0:
	s_load_dword s58, s[4:5], 0x0
	s_load_dword s33, s[4:5], 0x8
	s_or_b32 s4, s4, 8
	v_lshl_or_b32 v8, s6, 9, v0
	v_or_b32_e32 v15, 0x180, v8
	s_waitcnt lgkmcnt(0)
	v_cmp_le_i32_e32 vcc, s58, v15
	s_add_i32 s56, s33, -1
	s_cmp_gt_u32 s56, 1
	s_cselect_b64 s[6:7], -1, 0
	s_and_saveexec_b64 s[0:1], vcc
	s_xor_b64 s[34:35], exec, s[0:1]
	s_cbranch_execz .LBB13_8
; %bb.1:
	s_load_dwordx4 s[28:31], s[4:5], 0x4
	s_load_dwordx2 s[40:41], s[4:5], 0x14
	s_load_dwordx4 s[24:27], s[4:5], 0xc4
	s_load_dwordx4 s[0:3], s[4:5], 0x148
	s_load_dword s57, s[4:5], 0x158
	s_cmp_lg_u32 s33, 0
	s_cselect_b64 s[46:47], -1, 0
	s_add_u32 s44, s4, 0xc4
	s_addc_u32 s45, s5, 0
	s_min_u32 s59, s56, 15
	s_cmp_gt_u32 s33, 1
	s_cselect_b64 s[42:43], -1, 0
	v_cmp_gt_i32_e32 vcc, s58, v8
	s_and_saveexec_b64 s[48:49], vcc
	s_cbranch_execz .LBB13_16
; %bb.2:
	s_andn2_b64 vcc, exec, s[6:7]
	s_cbranch_vccnz .LBB13_24
; %bb.3:
	s_mov_b32 s50, 0
	s_andn2_b64 vcc, exec, s[46:47]
	v_mov_b32_e32 v2, 0
	v_mov_b32_e32 v0, 0
	s_cbranch_vccnz .LBB13_80
; %bb.4:
	s_add_i32 s60, s59, 1
	s_cmp_eq_u32 s56, 2
	s_cbranch_scc1 .LBB13_75
; %bb.5:
	s_and_b32 s50, s60, 28
	s_mov_b32 s51, 0
	v_mov_b32_e32 v0, 0
	s_mov_b64 s[52:53], s[4:5]
	s_mov_b64 s[54:55], s[44:45]
	v_mov_b32_e32 v3, v8
	v_mov_b32_e32 v2, 0
.LBB13_6:                               ; =>This Inner Loop Header: Depth=1
	s_load_dwordx8 s[16:23], s[52:53], 0x4
	s_load_dwordx4 s[36:39], s[52:53], 0x24
	s_load_dwordx8 s[8:15], s[54:55], 0x0
	s_add_u32 s52, s52, 48
	s_addc_u32 s53, s53, 0
	s_waitcnt lgkmcnt(0)
	v_mul_hi_u32 v1, s17, v3
	v_add_u32_e32 v1, v3, v1
	v_lshrrev_b32_e32 v1, s18, v1
	v_mul_lo_u32 v4, v1, s16
	v_mul_hi_u32 v5, s20, v1
	v_sub_u32_e32 v3, v3, v4
	v_add_u32_e32 v4, v1, v5
	v_lshrrev_b32_e32 v4, s21, v4
	v_mul_lo_u32 v6, v4, s19
	v_mul_hi_u32 v7, s23, v4
	v_sub_u32_e32 v1, v1, v6
	v_add_u32_e32 v6, v4, v7
	v_mul_lo_u32 v5, v3, s9
	v_mul_lo_u32 v3, v3, s8
	;; [unrolled: 1-line block ×4, first 2 shown]
	v_lshrrev_b32_e32 v6, s36, v6
	v_add3_u32 v0, v3, v0, v1
	v_mul_hi_u32 v3, s38, v6
	v_add_u32_e32 v3, v6, v3
	v_lshrrev_b32_e32 v3, s39, v3
	s_add_i32 s51, s51, 4
	v_add3_u32 v1, v5, v2, v7
	v_mul_lo_u32 v2, v6, s22
	v_mul_lo_u32 v5, v3, s37
	s_add_u32 s54, s54, 32
	v_sub_u32_e32 v2, v4, v2
	v_sub_u32_e32 v5, v6, v5
	s_addc_u32 s55, s55, 0
	v_mul_lo_u32 v4, v2, s12
	v_mul_lo_u32 v2, v2, s13
	;; [unrolled: 1-line block ×4, first 2 shown]
	s_cmp_lg_u32 s50, s51
	v_add3_u32 v2, v2, v1, v5
	v_add3_u32 v0, v4, v0, v6
	s_cbranch_scc1 .LBB13_6
; %bb.7:
	v_mov_b32_e32 v1, v2
	s_branch .LBB13_76
.LBB13_8:
	s_andn2_saveexec_b64 s[0:1], s[34:35]
	s_cbranch_execz .LBB13_103
.LBB13_9:
	v_cndmask_b32_e64 v0, 0, 1, s[6:7]
	v_cmp_ne_u32_e64 s[0:1], 1, v0
	s_andn2_b64 vcc, exec, s[6:7]
	s_cbranch_vccnz .LBB13_23
; %bb.10:
	s_mov_b32 s2, 0
	s_cmp_lg_u32 s33, 0
	v_mov_b32_e32 v2, 0
	v_mov_b32_e32 v0, 0
	s_cbranch_scc0 .LBB13_15
; %bb.11:
	s_min_u32 s30, s56, 15
	s_add_i32 s30, s30, 1
	s_cmp_eq_u32 s56, 2
	s_cbranch_scc1 .LBB13_26
; %bb.12:
	s_add_u32 s6, s4, 0xc4
	s_addc_u32 s7, s5, 0
	s_and_b32 s2, s30, 28
	s_mov_b32 s3, 0
	v_mov_b32_e32 v0, 0
	s_mov_b64 s[28:29], s[4:5]
	v_mov_b32_e32 v3, v8
	v_mov_b32_e32 v2, 0
.LBB13_13:                              ; =>This Inner Loop Header: Depth=1
	s_load_dwordx8 s[16:23], s[28:29], 0x4
	s_load_dwordx4 s[24:27], s[28:29], 0x24
	s_load_dwordx8 s[8:15], s[6:7], 0x0
	s_add_u32 s28, s28, 48
	s_addc_u32 s29, s29, 0
	s_waitcnt lgkmcnt(0)
	v_mul_hi_u32 v1, s17, v3
	v_add_u32_e32 v1, v3, v1
	v_lshrrev_b32_e32 v1, s18, v1
	v_mul_lo_u32 v4, v1, s16
	v_mul_hi_u32 v5, s20, v1
	v_sub_u32_e32 v3, v3, v4
	v_add_u32_e32 v4, v1, v5
	v_lshrrev_b32_e32 v4, s21, v4
	v_mul_lo_u32 v6, v4, s19
	v_mul_hi_u32 v7, s23, v4
	v_sub_u32_e32 v1, v1, v6
	v_add_u32_e32 v6, v4, v7
	v_mul_lo_u32 v5, v3, s9
	v_mul_lo_u32 v3, v3, s8
	;; [unrolled: 1-line block ×4, first 2 shown]
	v_lshrrev_b32_e32 v6, s24, v6
	v_add3_u32 v0, v3, v0, v1
	v_mul_hi_u32 v3, s26, v6
	v_add_u32_e32 v3, v6, v3
	v_lshrrev_b32_e32 v3, s27, v3
	s_add_i32 s3, s3, 4
	v_add3_u32 v1, v5, v2, v7
	v_mul_lo_u32 v2, v6, s22
	v_mul_lo_u32 v5, v3, s25
	s_add_u32 s6, s6, 32
	v_sub_u32_e32 v2, v4, v2
	v_sub_u32_e32 v5, v6, v5
	s_addc_u32 s7, s7, 0
	v_mul_lo_u32 v4, v2, s12
	v_mul_lo_u32 v2, v2, s13
	;; [unrolled: 1-line block ×4, first 2 shown]
	s_cmp_lg_u32 s2, s3
	v_add3_u32 v2, v2, v1, v5
	v_add3_u32 v0, v4, v0, v6
	s_cbranch_scc1 .LBB13_13
; %bb.14:
	v_mov_b32_e32 v1, v2
	s_and_b32 s8, s30, 3
	s_cmp_eq_u32 s8, 0
	s_cbranch_scc0 .LBB13_27
.LBB13_15:
	s_cbranch_execz .LBB13_30
	s_branch .LBB13_32
.LBB13_16:
	s_or_b64 exec, exec, s[48:49]
	v_cmp_gt_i32_e32 vcc, s58, v8
	s_and_saveexec_b64 s[48:49], vcc
	s_cbranch_execz .LBB13_84
.LBB13_17:
	s_andn2_b64 vcc, exec, s[6:7]
	s_cbranch_vccnz .LBB13_25
; %bb.18:
	s_mov_b32 s50, 0
	s_andn2_b64 vcc, exec, s[46:47]
	v_mov_b32_e32 v2, 0
	v_mov_b32_e32 v0, 0
	s_cbranch_vccnz .LBB13_97
; %bb.19:
	s_add_i32 s60, s59, 1
	s_cmp_eq_u32 s56, 2
	s_cbranch_scc1 .LBB13_92
; %bb.20:
	s_and_b32 s50, s60, 28
	s_mov_b32 s51, 0
	v_mov_b32_e32 v0, 0
	s_mov_b64 s[52:53], s[4:5]
	s_mov_b64 s[54:55], s[44:45]
	v_mov_b32_e32 v3, v8
	v_mov_b32_e32 v2, 0
.LBB13_21:                              ; =>This Inner Loop Header: Depth=1
	s_load_dwordx8 s[16:23], s[52:53], 0x4
	s_load_dwordx4 s[36:39], s[52:53], 0x24
	s_load_dwordx8 s[8:15], s[54:55], 0x0
	s_add_u32 s52, s52, 48
	s_addc_u32 s53, s53, 0
	s_waitcnt lgkmcnt(0)
	v_mul_hi_u32 v1, s17, v3
	v_add_u32_e32 v1, v3, v1
	v_lshrrev_b32_e32 v1, s18, v1
	v_mul_lo_u32 v4, v1, s16
	v_mul_hi_u32 v5, s20, v1
	v_sub_u32_e32 v3, v3, v4
	v_add_u32_e32 v4, v1, v5
	v_lshrrev_b32_e32 v4, s21, v4
	v_mul_lo_u32 v6, v4, s19
	v_mul_hi_u32 v7, s23, v4
	v_sub_u32_e32 v1, v1, v6
	v_add_u32_e32 v6, v4, v7
	v_mul_lo_u32 v5, v3, s9
	v_mul_lo_u32 v3, v3, s8
	;; [unrolled: 1-line block ×4, first 2 shown]
	v_lshrrev_b32_e32 v6, s36, v6
	v_add3_u32 v0, v3, v0, v1
	v_mul_hi_u32 v3, s38, v6
	v_add_u32_e32 v3, v6, v3
	v_lshrrev_b32_e32 v3, s39, v3
	s_add_i32 s51, s51, 4
	v_add3_u32 v1, v5, v2, v7
	v_mul_lo_u32 v2, v6, s22
	v_mul_lo_u32 v5, v3, s37
	s_add_u32 s54, s54, 32
	v_sub_u32_e32 v2, v4, v2
	v_sub_u32_e32 v5, v6, v5
	s_addc_u32 s55, s55, 0
	v_mul_lo_u32 v4, v2, s12
	v_mul_lo_u32 v2, v2, s13
	;; [unrolled: 1-line block ×4, first 2 shown]
	s_cmp_eq_u32 s50, s51
	v_add3_u32 v2, v2, v1, v5
	v_add3_u32 v0, v4, v0, v6
	s_cbranch_scc0 .LBB13_21
; %bb.22:
	v_mov_b32_e32 v1, v2
	s_branch .LBB13_93
.LBB13_23:
                                        ; implicit-def: $vgpr2
                                        ; implicit-def: $vgpr0
	s_branch .LBB13_30
.LBB13_24:
                                        ; implicit-def: $vgpr2
                                        ; implicit-def: $vgpr0
	s_branch .LBB13_81
.LBB13_25:
                                        ; implicit-def: $vgpr2
                                        ; implicit-def: $vgpr0
	s_branch .LBB13_98
.LBB13_26:
	s_mov_b32 s3, s2
	v_pk_mov_b32 v[0:1], s[2:3], s[2:3] op_sel:[0,1]
                                        ; implicit-def: $vgpr2
	v_mov_b32_e32 v3, v8
	s_and_b32 s8, s30, 3
	s_cmp_eq_u32 s8, 0
	s_cbranch_scc1 .LBB13_15
.LBB13_27:
	s_lshl_b32 s3, s2, 3
	s_add_u32 s3, s3, s4
	s_addc_u32 s7, 0, s5
	s_add_u32 s6, s3, 0xc4
	s_addc_u32 s7, s7, 0
	s_mul_i32 s2, s2, 12
	s_add_u32 s2, s4, s2
	s_addc_u32 s3, 0, s5
.LBB13_28:                              ; =>This Inner Loop Header: Depth=1
	s_load_dwordx2 s[10:11], s[2:3], 0x4
	s_load_dword s9, s[2:3], 0xc
	s_load_dwordx2 s[12:13], s[6:7], 0x0
	v_mov_b32_e32 v2, v1
	s_add_u32 s2, s2, 12
	s_waitcnt lgkmcnt(0)
	v_mul_hi_u32 v1, s11, v3
	v_add_u32_e32 v1, v3, v1
	v_lshrrev_b32_e32 v1, s9, v1
	s_addc_u32 s3, s3, 0
	v_mul_lo_u32 v4, v1, s10
	s_add_u32 s6, s6, 8
	v_sub_u32_e32 v6, v3, v4
	v_mov_b32_e32 v3, v1
	s_addc_u32 s7, s7, 0
	s_add_i32 s8, s8, -1
	v_mad_u64_u32 v[4:5], s[10:11], v6, s13, v[2:3]
	v_mad_u64_u32 v[0:1], s[10:11], v6, s12, v[0:1]
	s_cmp_lg_u32 s8, 0
	v_mov_b32_e32 v1, v4
	s_cbranch_scc1 .LBB13_28
; %bb.29:
	v_mov_b32_e32 v2, v1
	s_cbranch_execnz .LBB13_32
.LBB13_30:
	s_load_dwordx4 s[8:11], s[4:5], 0x4
	s_load_dwordx2 s[2:3], s[4:5], 0xc4
	s_cmp_lt_u32 s33, 2
	s_waitcnt lgkmcnt(0)
	v_mul_hi_u32 v0, s9, v8
	v_add_u32_e32 v0, v8, v0
	v_lshrrev_b32_e32 v1, s10, v0
	v_mul_lo_u32 v0, v1, s8
	v_sub_u32_e32 v0, v8, v0
	v_mul_lo_u32 v2, v0, s3
	v_mul_lo_u32 v0, v0, s2
	s_cbranch_scc1 .LBB13_32
; %bb.31:
	s_load_dwordx4 s[8:11], s[4:5], 0x10
	s_load_dwordx2 s[2:3], s[4:5], 0xcc
	s_waitcnt lgkmcnt(0)
	v_mul_hi_u32 v3, s9, v1
	v_add_u32_e32 v3, v1, v3
	v_lshrrev_b32_e32 v3, s10, v3
	v_mul_lo_u32 v3, v3, s8
	v_sub_u32_e32 v3, v1, v3
	v_mad_u64_u32 v[0:1], s[6:7], v3, s2, v[0:1]
	v_mad_u64_u32 v[2:3], s[2:3], v3, s3, v[2:3]
.LBB13_32:
	s_and_b64 vcc, exec, s[0:1]
	v_add_u32_e32 v1, 0x80, v8
	s_cbranch_vccnz .LBB13_39
; %bb.33:
	s_mov_b32 s2, 0
	s_cmp_lg_u32 s33, 0
	v_mov_b32_e32 v6, 0
	v_mov_b32_e32 v4, 0
	s_cbranch_scc0 .LBB13_38
; %bb.34:
	s_min_u32 s30, s56, 15
	s_add_i32 s30, s30, 1
	s_cmp_eq_u32 s56, 2
	s_cbranch_scc1 .LBB13_40
; %bb.35:
	s_add_u32 s6, s4, 0xc4
	s_addc_u32 s7, s5, 0
	s_and_b32 s2, s30, 28
	s_mov_b32 s3, 0
	v_mov_b32_e32 v4, 0
	s_mov_b64 s[28:29], s[4:5]
	v_mov_b32_e32 v3, v1
	v_mov_b32_e32 v6, 0
.LBB13_36:                              ; =>This Inner Loop Header: Depth=1
	s_load_dwordx8 s[16:23], s[28:29], 0x4
	s_load_dwordx4 s[24:27], s[28:29], 0x24
	s_load_dwordx8 s[8:15], s[6:7], 0x0
	s_add_u32 s28, s28, 48
	s_addc_u32 s29, s29, 0
	s_waitcnt lgkmcnt(0)
	v_mul_hi_u32 v5, s17, v3
	v_add_u32_e32 v5, v3, v5
	v_lshrrev_b32_e32 v5, s18, v5
	v_mul_lo_u32 v7, v5, s16
	v_mul_hi_u32 v9, s20, v5
	v_sub_u32_e32 v3, v3, v7
	v_add_u32_e32 v7, v5, v9
	v_lshrrev_b32_e32 v7, s21, v7
	v_mul_lo_u32 v10, v7, s19
	v_mul_hi_u32 v11, s23, v7
	v_sub_u32_e32 v5, v5, v10
	v_add_u32_e32 v10, v7, v11
	v_mul_lo_u32 v9, v3, s9
	v_mul_lo_u32 v3, v3, s8
	;; [unrolled: 1-line block ×4, first 2 shown]
	v_lshrrev_b32_e32 v10, s24, v10
	v_add3_u32 v4, v3, v4, v5
	v_add3_u32 v5, v9, v6, v11
	v_mul_lo_u32 v3, v10, s22
	v_mul_hi_u32 v6, s26, v10
	v_sub_u32_e32 v3, v7, v3
	v_add_u32_e32 v6, v10, v6
	v_mul_lo_u32 v7, v3, s12
	v_mul_lo_u32 v9, v3, s13
	v_lshrrev_b32_e32 v3, s27, v6
	s_add_i32 s3, s3, 4
	v_mul_lo_u32 v6, v3, s25
	s_add_u32 s6, s6, 32
	v_sub_u32_e32 v6, v10, v6
	s_addc_u32 s7, s7, 0
	v_mul_lo_u32 v10, v6, s14
	v_mul_lo_u32 v6, v6, s15
	s_cmp_lg_u32 s2, s3
	v_add3_u32 v6, v9, v5, v6
	v_add3_u32 v4, v7, v4, v10
	s_cbranch_scc1 .LBB13_36
; %bb.37:
	v_mov_b32_e32 v5, v6
	s_and_b32 s8, s30, 3
	s_cmp_eq_u32 s8, 0
	s_cbranch_scc0 .LBB13_41
.LBB13_38:
	s_cbranch_execz .LBB13_44
	s_branch .LBB13_46
.LBB13_39:
                                        ; implicit-def: $vgpr6
                                        ; implicit-def: $vgpr4
	s_branch .LBB13_44
.LBB13_40:
	s_mov_b32 s3, s2
	v_pk_mov_b32 v[4:5], s[2:3], s[2:3] op_sel:[0,1]
                                        ; implicit-def: $vgpr6
	v_mov_b32_e32 v3, v1
	s_and_b32 s8, s30, 3
	s_cmp_eq_u32 s8, 0
	s_cbranch_scc1 .LBB13_38
.LBB13_41:
	s_lshl_b32 s3, s2, 3
	s_add_u32 s3, s3, s4
	s_addc_u32 s7, 0, s5
	s_add_u32 s6, s3, 0xc4
	s_addc_u32 s7, s7, 0
	s_mul_i32 s2, s2, 12
	s_add_u32 s2, s4, s2
	s_addc_u32 s3, 0, s5
.LBB13_42:                              ; =>This Inner Loop Header: Depth=1
	s_load_dwordx2 s[10:11], s[2:3], 0x4
	s_load_dword s9, s[2:3], 0xc
	s_load_dwordx2 s[12:13], s[6:7], 0x0
	v_mov_b32_e32 v6, v5
	s_add_u32 s2, s2, 12
	s_waitcnt lgkmcnt(0)
	v_mul_hi_u32 v5, s11, v3
	v_add_u32_e32 v5, v3, v5
	v_lshrrev_b32_e32 v5, s9, v5
	s_addc_u32 s3, s3, 0
	v_mul_lo_u32 v7, v5, s10
	s_add_u32 s6, s6, 8
	v_sub_u32_e32 v9, v3, v7
	s_addc_u32 s7, s7, 0
	s_add_i32 s8, s8, -1
	v_mov_b32_e32 v3, v5
	v_mad_u64_u32 v[6:7], s[10:11], v9, s13, v[6:7]
	v_mad_u64_u32 v[4:5], s[10:11], v9, s12, v[4:5]
	s_cmp_lg_u32 s8, 0
	v_mov_b32_e32 v5, v6
	s_cbranch_scc1 .LBB13_42
; %bb.43:
	v_mov_b32_e32 v6, v5
	s_cbranch_execnz .LBB13_46
.LBB13_44:
	s_load_dwordx4 s[8:11], s[4:5], 0x4
	s_load_dwordx2 s[2:3], s[4:5], 0xc4
	s_cmp_lt_u32 s33, 2
	s_waitcnt lgkmcnt(0)
	v_mul_hi_u32 v3, s9, v1
	v_add_u32_e32 v3, v1, v3
	v_lshrrev_b32_e32 v3, s10, v3
	v_mul_lo_u32 v4, v3, s8
	v_sub_u32_e32 v1, v1, v4
	v_mul_lo_u32 v6, v1, s3
	v_mul_lo_u32 v4, v1, s2
	s_cbranch_scc1 .LBB13_46
; %bb.45:
	s_load_dwordx4 s[8:11], s[4:5], 0x10
	s_load_dwordx2 s[2:3], s[4:5], 0xcc
	s_waitcnt lgkmcnt(0)
	v_mul_hi_u32 v1, s9, v3
	v_add_u32_e32 v1, v3, v1
	v_lshrrev_b32_e32 v1, s10, v1
	v_mul_lo_u32 v1, v1, s8
	v_sub_u32_e32 v1, v3, v1
	v_mad_u64_u32 v[4:5], s[6:7], v1, s2, v[4:5]
	v_mad_u64_u32 v[6:7], s[2:3], v1, s3, v[6:7]
.LBB13_46:
	s_and_b64 vcc, exec, s[0:1]
	v_add_u32_e32 v1, 0x100, v8
	s_cbranch_vccnz .LBB13_53
; %bb.47:
	s_mov_b32 s2, 0
	s_cmp_lg_u32 s33, 0
	v_mov_b32_e32 v10, 0
	v_mov_b32_e32 v8, 0
	s_cbranch_scc0 .LBB13_52
; %bb.48:
	s_min_u32 s30, s56, 15
	s_add_i32 s30, s30, 1
	s_cmp_eq_u32 s56, 2
	s_cbranch_scc1 .LBB13_54
; %bb.49:
	s_add_u32 s6, s4, 0xc4
	s_addc_u32 s7, s5, 0
	s_and_b32 s2, s30, 28
	s_mov_b32 s3, 0
	v_mov_b32_e32 v8, 0
	s_mov_b64 s[28:29], s[4:5]
	v_mov_b32_e32 v3, v1
	v_mov_b32_e32 v10, 0
.LBB13_50:                              ; =>This Inner Loop Header: Depth=1
	s_load_dwordx8 s[16:23], s[28:29], 0x4
	s_load_dwordx4 s[24:27], s[28:29], 0x24
	s_load_dwordx8 s[8:15], s[6:7], 0x0
	s_add_u32 s28, s28, 48
	s_addc_u32 s29, s29, 0
	s_waitcnt lgkmcnt(0)
	v_mul_hi_u32 v5, s17, v3
	v_add_u32_e32 v5, v3, v5
	v_lshrrev_b32_e32 v5, s18, v5
	v_mul_lo_u32 v7, v5, s16
	v_mul_hi_u32 v9, s20, v5
	v_sub_u32_e32 v3, v3, v7
	v_add_u32_e32 v7, v5, v9
	v_lshrrev_b32_e32 v7, s21, v7
	v_mul_lo_u32 v11, v7, s19
	v_mul_hi_u32 v12, s23, v7
	v_sub_u32_e32 v5, v5, v11
	v_add_u32_e32 v11, v7, v12
	v_mul_lo_u32 v9, v3, s9
	v_mul_lo_u32 v3, v3, s8
	v_mul_lo_u32 v12, v5, s11
	v_mul_lo_u32 v5, v5, s10
	v_lshrrev_b32_e32 v11, s24, v11
	v_add3_u32 v5, v3, v8, v5
	v_add3_u32 v8, v9, v10, v12
	v_mul_lo_u32 v3, v11, s22
	v_mul_hi_u32 v9, s26, v11
	v_sub_u32_e32 v3, v7, v3
	v_add_u32_e32 v7, v11, v9
	v_mul_lo_u32 v9, v3, s12
	v_mul_lo_u32 v10, v3, s13
	v_lshrrev_b32_e32 v3, s27, v7
	s_add_i32 s3, s3, 4
	v_mul_lo_u32 v7, v3, s25
	s_add_u32 s6, s6, 32
	v_sub_u32_e32 v7, v11, v7
	s_addc_u32 s7, s7, 0
	v_mul_lo_u32 v11, v7, s14
	v_mul_lo_u32 v7, v7, s15
	s_cmp_lg_u32 s2, s3
	v_add3_u32 v10, v10, v8, v7
	v_add3_u32 v8, v9, v5, v11
	s_cbranch_scc1 .LBB13_50
; %bb.51:
	v_mov_b32_e32 v9, v10
	s_and_b32 s8, s30, 3
	s_cmp_eq_u32 s8, 0
	s_cbranch_scc0 .LBB13_55
.LBB13_52:
	s_cbranch_execz .LBB13_58
	s_branch .LBB13_60
.LBB13_53:
                                        ; implicit-def: $vgpr10
                                        ; implicit-def: $vgpr8
	s_branch .LBB13_58
.LBB13_54:
	s_mov_b32 s3, s2
	v_pk_mov_b32 v[8:9], s[2:3], s[2:3] op_sel:[0,1]
                                        ; implicit-def: $vgpr10
	v_mov_b32_e32 v3, v1
	s_and_b32 s8, s30, 3
	s_cmp_eq_u32 s8, 0
	s_cbranch_scc1 .LBB13_52
.LBB13_55:
	s_lshl_b32 s3, s2, 3
	s_add_u32 s3, s3, s4
	s_addc_u32 s7, 0, s5
	s_add_u32 s6, s3, 0xc4
	s_addc_u32 s7, s7, 0
	s_mul_i32 s2, s2, 12
	s_add_u32 s2, s4, s2
	s_addc_u32 s3, 0, s5
.LBB13_56:                              ; =>This Inner Loop Header: Depth=1
	s_load_dwordx2 s[10:11], s[2:3], 0x4
	s_load_dword s9, s[2:3], 0xc
	s_load_dwordx2 s[12:13], s[6:7], 0x0
	s_add_u32 s2, s2, 12
	s_addc_u32 s3, s3, 0
	s_waitcnt lgkmcnt(0)
	v_mul_hi_u32 v5, s11, v3
	v_add_u32_e32 v5, v3, v5
	v_lshrrev_b32_e32 v5, s9, v5
	v_mul_lo_u32 v7, v5, s10
	v_mov_b32_e32 v10, v9
	s_add_u32 s6, s6, 8
	v_sub_u32_e32 v7, v3, v7
	s_addc_u32 s7, s7, 0
	s_add_i32 s8, s8, -1
	v_mad_u64_u32 v[10:11], s[10:11], v7, s13, v[10:11]
	v_mad_u64_u32 v[8:9], s[10:11], v7, s12, v[8:9]
	s_cmp_lg_u32 s8, 0
	v_mov_b32_e32 v3, v5
	v_mov_b32_e32 v9, v10
	s_cbranch_scc1 .LBB13_56
; %bb.57:
	v_mov_b32_e32 v10, v9
	s_cbranch_execnz .LBB13_60
.LBB13_58:
	s_load_dwordx4 s[8:11], s[4:5], 0x4
	s_load_dwordx2 s[2:3], s[4:5], 0xc4
	s_cmp_lt_u32 s33, 2
	s_waitcnt lgkmcnt(0)
	v_mul_hi_u32 v3, s9, v1
	v_add_u32_e32 v3, v1, v3
	v_lshrrev_b32_e32 v3, s10, v3
	v_mul_lo_u32 v5, v3, s8
	v_sub_u32_e32 v1, v1, v5
	v_mul_lo_u32 v10, v1, s3
	v_mul_lo_u32 v8, v1, s2
	s_cbranch_scc1 .LBB13_60
; %bb.59:
	s_load_dwordx4 s[8:11], s[4:5], 0x10
	s_load_dwordx2 s[2:3], s[4:5], 0xcc
	s_waitcnt lgkmcnt(0)
	v_mul_hi_u32 v1, s9, v3
	v_add_u32_e32 v1, v3, v1
	v_lshrrev_b32_e32 v1, s10, v1
	v_mul_lo_u32 v1, v1, s8
	v_sub_u32_e32 v1, v3, v1
	v_mad_u64_u32 v[8:9], s[6:7], v1, s2, v[8:9]
	v_mad_u64_u32 v[10:11], s[2:3], v1, s3, v[10:11]
.LBB13_60:
	s_and_b64 vcc, exec, s[0:1]
	s_cbranch_vccnz .LBB13_67
; %bb.61:
	s_mov_b32 s6, 0
	s_cmp_lg_u32 s33, 0
	v_mov_b32_e32 v14, 0
	v_mov_b32_e32 v12, 0
	s_cbranch_scc0 .LBB13_66
; %bb.62:
	s_min_u32 s28, s56, 15
	s_add_i32 s28, s28, 1
	s_cmp_eq_u32 s56, 2
	s_cbranch_scc1 .LBB13_68
; %bb.63:
	s_add_u32 s24, s4, 0xc4
	s_addc_u32 s25, s5, 0
	s_and_b32 s6, s28, 28
	s_mov_b32 s7, 0
	v_mov_b32_e32 v12, 0
	s_mov_b64 s[26:27], s[4:5]
	v_mov_b32_e32 v1, v15
	v_mov_b32_e32 v14, 0
.LBB13_64:                              ; =>This Inner Loop Header: Depth=1
	s_load_dwordx8 s[16:23], s[26:27], 0x4
	s_load_dwordx4 s[0:3], s[26:27], 0x24
	s_load_dwordx8 s[8:15], s[24:25], 0x0
	s_add_u32 s26, s26, 48
	s_addc_u32 s27, s27, 0
	s_waitcnt lgkmcnt(0)
	v_mul_hi_u32 v3, s17, v1
	v_add_u32_e32 v3, v1, v3
	v_lshrrev_b32_e32 v3, s18, v3
	v_mul_lo_u32 v5, v3, s16
	v_mul_hi_u32 v7, s20, v3
	v_sub_u32_e32 v1, v1, v5
	v_add_u32_e32 v5, v3, v7
	v_lshrrev_b32_e32 v5, s21, v5
	v_mul_lo_u32 v9, v5, s19
	v_mul_hi_u32 v11, s23, v5
	v_sub_u32_e32 v3, v3, v9
	v_add_u32_e32 v9, v5, v11
	v_mul_lo_u32 v7, v1, s9
	v_mul_lo_u32 v1, v1, s8
	;; [unrolled: 1-line block ×4, first 2 shown]
	v_lshrrev_b32_e32 v9, s0, v9
	v_add3_u32 v3, v1, v12, v3
	v_add3_u32 v7, v7, v14, v11
	v_mul_lo_u32 v1, v9, s22
	v_mul_hi_u32 v11, s2, v9
	v_sub_u32_e32 v1, v5, v1
	v_add_u32_e32 v5, v9, v11
	v_mul_lo_u32 v11, v1, s12
	v_mul_lo_u32 v12, v1, s13
	v_lshrrev_b32_e32 v1, s3, v5
	s_add_i32 s7, s7, 4
	v_mul_lo_u32 v5, v1, s1
	s_add_u32 s24, s24, 32
	v_sub_u32_e32 v5, v9, v5
	s_addc_u32 s25, s25, 0
	v_mul_lo_u32 v9, v5, s14
	v_mul_lo_u32 v5, v5, s15
	s_cmp_lg_u32 s6, s7
	v_add3_u32 v14, v12, v7, v5
	v_add3_u32 v12, v11, v3, v9
	s_cbranch_scc1 .LBB13_64
; %bb.65:
	v_mov_b32_e32 v13, v14
	s_and_b32 s7, s28, 3
	s_cmp_eq_u32 s7, 0
	s_cbranch_scc0 .LBB13_69
.LBB13_66:
	s_cbranch_execz .LBB13_72
	s_branch .LBB13_74
.LBB13_67:
                                        ; implicit-def: $vgpr14
                                        ; implicit-def: $vgpr12
	s_branch .LBB13_72
.LBB13_68:
	s_mov_b32 s7, s6
	v_pk_mov_b32 v[12:13], s[6:7], s[6:7] op_sel:[0,1]
                                        ; implicit-def: $vgpr14
	v_mov_b32_e32 v1, v15
	s_and_b32 s7, s28, 3
	s_cmp_eq_u32 s7, 0
	s_cbranch_scc1 .LBB13_66
.LBB13_69:
	s_lshl_b32 s0, s6, 3
	s_add_u32 s0, s0, s4
	s_addc_u32 s1, 0, s5
	s_add_u32 s0, s0, 0xc4
	s_addc_u32 s1, s1, 0
	s_mul_i32 s2, s6, 12
	s_add_u32 s2, s4, s2
	s_addc_u32 s3, 0, s5
.LBB13_70:                              ; =>This Inner Loop Header: Depth=1
	s_load_dwordx2 s[8:9], s[2:3], 0x4
	s_load_dword s6, s[2:3], 0xc
	s_load_dwordx2 s[10:11], s[0:1], 0x0
	s_add_u32 s2, s2, 12
	s_addc_u32 s3, s3, 0
	s_waitcnt lgkmcnt(0)
	v_mul_hi_u32 v3, s9, v1
	v_add_u32_e32 v3, v1, v3
	v_lshrrev_b32_e32 v3, s6, v3
	v_mul_lo_u32 v5, v3, s8
	v_mov_b32_e32 v14, v13
	s_add_u32 s0, s0, 8
	v_sub_u32_e32 v5, v1, v5
	s_addc_u32 s1, s1, 0
	s_add_i32 s7, s7, -1
	v_mad_u64_u32 v[16:17], s[8:9], v5, s11, v[14:15]
	v_mad_u64_u32 v[12:13], s[8:9], v5, s10, v[12:13]
	s_cmp_lg_u32 s7, 0
	v_mov_b32_e32 v1, v3
	v_mov_b32_e32 v13, v16
	s_cbranch_scc1 .LBB13_70
; %bb.71:
	v_mov_b32_e32 v14, v13
	s_cbranch_execnz .LBB13_74
.LBB13_72:
	s_load_dwordx4 s[0:3], s[4:5], 0x4
	s_load_dwordx2 s[6:7], s[4:5], 0xc4
	s_cmp_lt_u32 s33, 2
	s_waitcnt lgkmcnt(0)
	v_mul_hi_u32 v1, s1, v15
	v_add_u32_e32 v1, v15, v1
	v_lshrrev_b32_e32 v1, s2, v1
	v_mul_lo_u32 v3, v1, s0
	v_sub_u32_e32 v3, v15, v3
	v_mul_lo_u32 v14, v3, s7
	v_mul_lo_u32 v12, v3, s6
	s_cbranch_scc1 .LBB13_74
; %bb.73:
	s_load_dwordx4 s[0:3], s[4:5], 0x10
	s_load_dwordx2 s[6:7], s[4:5], 0xcc
	s_waitcnt lgkmcnt(0)
	v_mul_hi_u32 v3, s1, v1
	v_add_u32_e32 v3, v1, v3
	v_lshrrev_b32_e32 v3, s2, v3
	v_mul_lo_u32 v3, v3, s0
	v_sub_u32_e32 v1, v1, v3
	v_mad_u64_u32 v[12:13], s[0:1], v1, s6, v[12:13]
	v_mad_u64_u32 v[14:15], s[0:1], v1, s7, v[14:15]
.LBB13_74:
	s_load_dwordx4 s[8:11], s[4:5], 0x148
	s_load_dword s16, s[4:5], 0x158
	s_waitcnt lgkmcnt(0)
	global_load_dword v1, v2, s[10:11]
	global_load_dword v3, v6, s[10:11]
	;; [unrolled: 1-line block ×4, first 2 shown]
	s_waitcnt vmcnt(3)
	v_cmp_nge_f32_e64 s[6:7], v1, -s16
	v_cmp_nge_f32_e32 vcc, s16, v1
	s_waitcnt vmcnt(2)
	v_cmp_nge_f32_e64 s[10:11], v3, -s16
	v_cmp_nge_f32_e64 s[0:1], s16, v3
	s_or_b64 vcc, s[6:7], vcc
	s_waitcnt vmcnt(1)
	v_cmp_nge_f32_e64 s[12:13], v5, -s16
	v_cmp_nge_f32_e64 s[2:3], s16, v5
	v_cndmask_b32_e32 v1, 0, v1, vcc
	s_or_b64 vcc, s[10:11], s[0:1]
	s_waitcnt vmcnt(0)
	v_cmp_nge_f32_e64 s[14:15], v7, -s16
	v_cmp_nge_f32_e64 s[4:5], s16, v7
	v_cndmask_b32_e32 v2, 0, v3, vcc
	s_or_b64 vcc, s[12:13], s[2:3]
	v_cndmask_b32_e32 v3, 0, v5, vcc
	s_or_b64 vcc, s[14:15], s[4:5]
	v_cndmask_b32_e32 v5, 0, v7, vcc
	global_store_dword v0, v1, s[8:9]
	global_store_dword v4, v2, s[8:9]
	global_store_dword v8, v3, s[8:9]
	global_store_dword v12, v5, s[8:9]
	s_endpgm
.LBB13_75:
	s_mov_b32 s51, s50
	v_pk_mov_b32 v[0:1], s[50:51], s[50:51] op_sel:[0,1]
                                        ; implicit-def: $vgpr2
	v_mov_b32_e32 v3, v8
.LBB13_76:
	s_and_b32 s12, s60, 3
	s_cmp_eq_u32 s12, 0
	s_cbranch_scc1 .LBB13_80
; %bb.77:
	s_lshl_b32 s8, s50, 3
	s_add_u32 s8, s8, s4
	s_addc_u32 s9, s5, 0
	s_add_u32 s8, s8, 0xc4
	s_addc_u32 s9, s9, 0
	s_mul_i32 s10, s50, 12
	s_add_u32 s10, s4, s10
	s_addc_u32 s11, s5, 0
.LBB13_78:                              ; =>This Inner Loop Header: Depth=1
	s_load_dwordx2 s[14:15], s[10:11], 0x4
	s_load_dword s13, s[10:11], 0xc
	s_load_dwordx2 s[16:17], s[8:9], 0x0
	v_mov_b32_e32 v2, v1
	s_add_u32 s10, s10, 12
	s_waitcnt lgkmcnt(0)
	v_mul_hi_u32 v1, s15, v3
	v_add_u32_e32 v1, v3, v1
	v_lshrrev_b32_e32 v1, s13, v1
	s_addc_u32 s11, s11, 0
	v_mul_lo_u32 v4, v1, s14
	s_add_u32 s8, s8, 8
	v_sub_u32_e32 v6, v3, v4
	v_mov_b32_e32 v3, v1
	s_addc_u32 s9, s9, 0
	s_add_i32 s12, s12, -1
	v_mad_u64_u32 v[4:5], s[14:15], v6, s17, v[2:3]
	v_mad_u64_u32 v[0:1], s[14:15], v6, s16, v[0:1]
	s_cmp_lg_u32 s12, 0
	v_mov_b32_e32 v1, v4
	s_cbranch_scc1 .LBB13_78
; %bb.79:
	v_mov_b32_e32 v2, v1
.LBB13_80:
	s_cbranch_execnz .LBB13_83
.LBB13_81:
	s_waitcnt lgkmcnt(0)
	v_mul_hi_u32 v0, s29, v8
	v_add_u32_e32 v0, v8, v0
	v_lshrrev_b32_e32 v1, s30, v0
	v_mul_lo_u32 v0, v1, s28
	v_sub_u32_e32 v0, v8, v0
	v_mul_lo_u32 v2, v0, s25
	s_andn2_b64 vcc, exec, s[42:43]
	v_mul_lo_u32 v0, v0, s24
	s_cbranch_vccnz .LBB13_83
; %bb.82:
	v_mul_hi_u32 v3, s40, v1
	v_add_u32_e32 v3, v1, v3
	v_lshrrev_b32_e32 v3, s41, v3
	v_mul_lo_u32 v3, v3, s31
	v_sub_u32_e32 v3, v1, v3
	v_mad_u64_u32 v[0:1], s[8:9], v3, s26, v[0:1]
	v_mad_u64_u32 v[2:3], s[8:9], v3, s27, v[2:3]
.LBB13_83:
	s_waitcnt lgkmcnt(0)
	global_load_dword v1, v2, s[2:3]
	v_add_u32_e32 v8, 0x80, v8
	s_waitcnt vmcnt(0)
	v_cmp_nge_f32_e64 s[8:9], v1, -s57
	v_cmp_nge_f32_e32 vcc, s57, v1
	s_or_b64 vcc, s[8:9], vcc
	v_cndmask_b32_e32 v1, 0, v1, vcc
	global_store_dword v0, v1, s[0:1]
	s_or_b64 exec, exec, s[48:49]
	v_cmp_gt_i32_e32 vcc, s58, v8
	s_and_saveexec_b64 s[48:49], vcc
	s_cbranch_execnz .LBB13_17
.LBB13_84:
	s_or_b64 exec, exec, s[48:49]
	v_cmp_gt_i32_e32 vcc, s58, v8
	s_and_saveexec_b64 s[48:49], vcc
	s_cbranch_execz .LBB13_101
.LBB13_85:
	s_andn2_b64 vcc, exec, s[6:7]
	s_cbranch_vccnz .LBB13_91
; %bb.86:
	s_mov_b32 s50, 0
	s_andn2_b64 vcc, exec, s[46:47]
	v_mov_b32_e32 v2, 0
	v_mov_b32_e32 v0, 0
	s_cbranch_vccnz .LBB13_109
; %bb.87:
	s_add_i32 s60, s59, 1
	s_cmp_eq_u32 s56, 2
	s_cbranch_scc1 .LBB13_104
; %bb.88:
	s_and_b32 s50, s60, 28
	s_mov_b32 s51, 0
	v_mov_b32_e32 v0, 0
	s_mov_b64 s[52:53], s[4:5]
	s_mov_b64 s[54:55], s[44:45]
	v_mov_b32_e32 v3, v8
	v_mov_b32_e32 v2, 0
.LBB13_89:                              ; =>This Inner Loop Header: Depth=1
	s_load_dwordx8 s[16:23], s[52:53], 0x4
	s_load_dwordx4 s[36:39], s[52:53], 0x24
	s_load_dwordx8 s[8:15], s[54:55], 0x0
	s_add_u32 s52, s52, 48
	s_addc_u32 s53, s53, 0
	s_waitcnt lgkmcnt(0)
	v_mul_hi_u32 v1, s17, v3
	v_add_u32_e32 v1, v3, v1
	v_lshrrev_b32_e32 v1, s18, v1
	v_mul_lo_u32 v4, v1, s16
	v_mul_hi_u32 v5, s20, v1
	v_sub_u32_e32 v3, v3, v4
	v_add_u32_e32 v4, v1, v5
	v_lshrrev_b32_e32 v4, s21, v4
	v_mul_lo_u32 v6, v4, s19
	v_mul_hi_u32 v7, s23, v4
	v_sub_u32_e32 v1, v1, v6
	v_add_u32_e32 v6, v4, v7
	v_mul_lo_u32 v5, v3, s9
	v_mul_lo_u32 v3, v3, s8
	v_mul_lo_u32 v7, v1, s11
	v_mul_lo_u32 v1, v1, s10
	v_lshrrev_b32_e32 v6, s36, v6
	v_add3_u32 v0, v3, v0, v1
	v_mul_hi_u32 v3, s38, v6
	v_add_u32_e32 v3, v6, v3
	v_lshrrev_b32_e32 v3, s39, v3
	s_add_i32 s51, s51, 4
	v_add3_u32 v1, v5, v2, v7
	v_mul_lo_u32 v2, v6, s22
	v_mul_lo_u32 v5, v3, s37
	s_add_u32 s54, s54, 32
	v_sub_u32_e32 v2, v4, v2
	v_sub_u32_e32 v5, v6, v5
	s_addc_u32 s55, s55, 0
	v_mul_lo_u32 v4, v2, s12
	v_mul_lo_u32 v2, v2, s13
	;; [unrolled: 1-line block ×4, first 2 shown]
	s_cmp_eq_u32 s50, s51
	v_add3_u32 v2, v2, v1, v5
	v_add3_u32 v0, v4, v0, v6
	s_cbranch_scc0 .LBB13_89
; %bb.90:
	v_mov_b32_e32 v1, v2
	s_branch .LBB13_105
.LBB13_91:
                                        ; implicit-def: $vgpr2
                                        ; implicit-def: $vgpr0
	s_branch .LBB13_110
.LBB13_92:
	s_mov_b32 s51, s50
	v_pk_mov_b32 v[0:1], s[50:51], s[50:51] op_sel:[0,1]
                                        ; implicit-def: $vgpr2
	v_mov_b32_e32 v3, v8
.LBB13_93:
	s_and_b32 s12, s60, 3
	s_cmp_eq_u32 s12, 0
	s_cbranch_scc1 .LBB13_97
; %bb.94:
	s_lshl_b32 s8, s50, 3
	s_add_u32 s8, s8, s4
	s_addc_u32 s9, s5, 0
	s_add_u32 s8, s8, 0xc4
	s_addc_u32 s9, s9, 0
	s_mul_i32 s10, s50, 12
	s_add_u32 s10, s4, s10
	s_addc_u32 s11, s5, 0
.LBB13_95:                              ; =>This Inner Loop Header: Depth=1
	s_load_dwordx2 s[14:15], s[10:11], 0x4
	s_load_dword s13, s[10:11], 0xc
	s_load_dwordx2 s[16:17], s[8:9], 0x0
	v_mov_b32_e32 v2, v1
	s_add_u32 s10, s10, 12
	s_waitcnt lgkmcnt(0)
	v_mul_hi_u32 v1, s15, v3
	v_add_u32_e32 v1, v3, v1
	v_lshrrev_b32_e32 v1, s13, v1
	s_addc_u32 s11, s11, 0
	v_mul_lo_u32 v4, v1, s14
	s_add_u32 s8, s8, 8
	v_sub_u32_e32 v6, v3, v4
	v_mov_b32_e32 v3, v1
	s_addc_u32 s9, s9, 0
	s_add_i32 s12, s12, -1
	v_mad_u64_u32 v[4:5], s[14:15], v6, s17, v[2:3]
	v_mad_u64_u32 v[0:1], s[14:15], v6, s16, v[0:1]
	s_cmp_lg_u32 s12, 0
	v_mov_b32_e32 v1, v4
	s_cbranch_scc1 .LBB13_95
; %bb.96:
	v_mov_b32_e32 v2, v1
.LBB13_97:
	s_cbranch_execnz .LBB13_100
.LBB13_98:
	s_waitcnt lgkmcnt(0)
	v_mul_hi_u32 v0, s29, v8
	v_add_u32_e32 v0, v8, v0
	v_lshrrev_b32_e32 v1, s30, v0
	v_mul_lo_u32 v0, v1, s28
	v_sub_u32_e32 v0, v8, v0
	v_mul_lo_u32 v2, v0, s25
	s_andn2_b64 vcc, exec, s[42:43]
	v_mul_lo_u32 v0, v0, s24
	s_cbranch_vccnz .LBB13_100
; %bb.99:
	v_mul_hi_u32 v3, s40, v1
	v_add_u32_e32 v3, v1, v3
	v_lshrrev_b32_e32 v3, s41, v3
	v_mul_lo_u32 v3, v3, s31
	v_sub_u32_e32 v3, v1, v3
	v_mad_u64_u32 v[0:1], s[8:9], v3, s26, v[0:1]
	v_mad_u64_u32 v[2:3], s[8:9], v3, s27, v[2:3]
.LBB13_100:
	s_waitcnt lgkmcnt(0)
	global_load_dword v1, v2, s[2:3]
	v_add_u32_e32 v8, 0x80, v8
	s_waitcnt vmcnt(0)
	v_cmp_nge_f32_e64 s[8:9], v1, -s57
	v_cmp_nge_f32_e32 vcc, s57, v1
	s_or_b64 vcc, s[8:9], vcc
	v_cndmask_b32_e32 v1, 0, v1, vcc
	global_store_dword v0, v1, s[0:1]
	s_or_b64 exec, exec, s[48:49]
	v_cmp_gt_i32_e32 vcc, s58, v8
	s_and_saveexec_b64 s[48:49], vcc
	s_cbranch_execnz .LBB13_85
.LBB13_101:
	s_or_b64 exec, exec, s[48:49]
	v_cmp_gt_i32_e32 vcc, s58, v8
	s_and_saveexec_b64 s[48:49], vcc
	s_cbranch_execnz .LBB13_113
.LBB13_102:
	s_or_b64 exec, exec, s[48:49]
                                        ; implicit-def: $vgpr15
                                        ; implicit-def: $vgpr8
	s_waitcnt lgkmcnt(0)
	s_andn2_saveexec_b64 s[0:1], s[34:35]
	s_cbranch_execnz .LBB13_9
.LBB13_103:
	s_endpgm
.LBB13_104:
	s_mov_b32 s51, s50
	v_pk_mov_b32 v[0:1], s[50:51], s[50:51] op_sel:[0,1]
                                        ; implicit-def: $vgpr2
	v_mov_b32_e32 v3, v8
.LBB13_105:
	s_and_b32 s12, s60, 3
	s_cmp_eq_u32 s12, 0
	s_cbranch_scc1 .LBB13_109
; %bb.106:
	s_lshl_b32 s8, s50, 3
	s_add_u32 s8, s8, s4
	s_addc_u32 s9, s5, 0
	s_add_u32 s8, s8, 0xc4
	s_addc_u32 s9, s9, 0
	s_mul_i32 s10, s50, 12
	s_add_u32 s10, s4, s10
	s_addc_u32 s11, s5, 0
.LBB13_107:                             ; =>This Inner Loop Header: Depth=1
	s_load_dwordx2 s[14:15], s[10:11], 0x4
	s_load_dword s13, s[10:11], 0xc
	s_load_dwordx2 s[16:17], s[8:9], 0x0
	v_mov_b32_e32 v2, v1
	s_add_u32 s10, s10, 12
	s_waitcnt lgkmcnt(0)
	v_mul_hi_u32 v1, s15, v3
	v_add_u32_e32 v1, v3, v1
	v_lshrrev_b32_e32 v1, s13, v1
	s_addc_u32 s11, s11, 0
	v_mul_lo_u32 v4, v1, s14
	s_add_u32 s8, s8, 8
	v_sub_u32_e32 v6, v3, v4
	v_mov_b32_e32 v3, v1
	s_addc_u32 s9, s9, 0
	s_add_i32 s12, s12, -1
	v_mad_u64_u32 v[4:5], s[14:15], v6, s17, v[2:3]
	v_mad_u64_u32 v[0:1], s[14:15], v6, s16, v[0:1]
	s_cmp_lg_u32 s12, 0
	v_mov_b32_e32 v1, v4
	s_cbranch_scc1 .LBB13_107
; %bb.108:
	v_mov_b32_e32 v2, v1
.LBB13_109:
	s_cbranch_execnz .LBB13_112
.LBB13_110:
	s_waitcnt lgkmcnt(0)
	v_mul_hi_u32 v0, s29, v8
	v_add_u32_e32 v0, v8, v0
	v_lshrrev_b32_e32 v1, s30, v0
	v_mul_lo_u32 v0, v1, s28
	v_sub_u32_e32 v0, v8, v0
	v_mul_lo_u32 v2, v0, s25
	s_andn2_b64 vcc, exec, s[42:43]
	v_mul_lo_u32 v0, v0, s24
	s_cbranch_vccnz .LBB13_112
; %bb.111:
	v_mul_hi_u32 v3, s40, v1
	v_add_u32_e32 v3, v1, v3
	v_lshrrev_b32_e32 v3, s41, v3
	v_mul_lo_u32 v3, v3, s31
	v_sub_u32_e32 v3, v1, v3
	v_mad_u64_u32 v[0:1], s[8:9], v3, s26, v[0:1]
	v_mad_u64_u32 v[2:3], s[8:9], v3, s27, v[2:3]
.LBB13_112:
	s_waitcnt lgkmcnt(0)
	global_load_dword v1, v2, s[2:3]
	v_add_u32_e32 v8, 0x80, v8
	s_waitcnt vmcnt(0)
	v_cmp_nge_f32_e64 s[8:9], v1, -s57
	v_cmp_nge_f32_e32 vcc, s57, v1
	s_or_b64 vcc, s[8:9], vcc
	v_cndmask_b32_e32 v1, 0, v1, vcc
	global_store_dword v0, v1, s[0:1]
	s_or_b64 exec, exec, s[48:49]
	v_cmp_gt_i32_e32 vcc, s58, v8
	s_and_saveexec_b64 s[48:49], vcc
	s_cbranch_execz .LBB13_102
.LBB13_113:
	s_andn2_b64 vcc, exec, s[6:7]
	s_cbranch_vccnz .LBB13_119
; %bb.114:
	s_mov_b32 s50, 0
	s_andn2_b64 vcc, exec, s[46:47]
	v_mov_b32_e32 v2, 0
	v_mov_b32_e32 v0, 0
	s_cbranch_vccnz .LBB13_125
; %bb.115:
	s_add_i32 s59, s59, 1
	s_cmp_eq_u32 s56, 2
	s_cbranch_scc1 .LBB13_120
; %bb.116:
	s_and_b32 s50, s59, 28
	s_mov_b32 s51, 0
	v_mov_b32_e32 v0, 0
	s_mov_b64 s[46:47], s[4:5]
	v_mov_b32_e32 v3, v8
	v_mov_b32_e32 v2, 0
.LBB13_117:                             ; =>This Inner Loop Header: Depth=1
	s_load_dwordx8 s[16:23], s[46:47], 0x4
	s_load_dwordx4 s[36:39], s[46:47], 0x24
	s_load_dwordx8 s[8:15], s[44:45], 0x0
	s_add_u32 s46, s46, 48
	s_addc_u32 s47, s47, 0
	s_waitcnt lgkmcnt(0)
	v_mul_hi_u32 v1, s17, v3
	v_add_u32_e32 v1, v3, v1
	v_lshrrev_b32_e32 v1, s18, v1
	v_mul_lo_u32 v4, v1, s16
	v_mul_hi_u32 v5, s20, v1
	v_sub_u32_e32 v3, v3, v4
	v_add_u32_e32 v4, v1, v5
	v_lshrrev_b32_e32 v4, s21, v4
	v_mul_lo_u32 v6, v4, s19
	v_mul_hi_u32 v7, s23, v4
	v_sub_u32_e32 v1, v1, v6
	v_add_u32_e32 v6, v4, v7
	v_mul_lo_u32 v5, v3, s9
	v_mul_lo_u32 v3, v3, s8
	v_mul_lo_u32 v7, v1, s11
	v_mul_lo_u32 v1, v1, s10
	v_lshrrev_b32_e32 v6, s36, v6
	v_add3_u32 v0, v3, v0, v1
	v_mul_hi_u32 v3, s38, v6
	v_add_u32_e32 v3, v6, v3
	v_lshrrev_b32_e32 v3, s39, v3
	s_add_i32 s51, s51, 4
	v_add3_u32 v1, v5, v2, v7
	v_mul_lo_u32 v2, v6, s22
	v_mul_lo_u32 v5, v3, s37
	s_add_u32 s44, s44, 32
	v_sub_u32_e32 v2, v4, v2
	v_sub_u32_e32 v5, v6, v5
	s_addc_u32 s45, s45, 0
	v_mul_lo_u32 v4, v2, s12
	v_mul_lo_u32 v2, v2, s13
	;; [unrolled: 1-line block ×4, first 2 shown]
	s_cmp_eq_u32 s50, s51
	v_add3_u32 v2, v2, v1, v5
	v_add3_u32 v0, v4, v0, v6
	s_cbranch_scc0 .LBB13_117
; %bb.118:
	v_mov_b32_e32 v1, v2
	s_branch .LBB13_121
.LBB13_119:
                                        ; implicit-def: $vgpr2
                                        ; implicit-def: $vgpr0
	s_branch .LBB13_126
.LBB13_120:
	s_mov_b32 s51, s50
	v_pk_mov_b32 v[0:1], s[50:51], s[50:51] op_sel:[0,1]
                                        ; implicit-def: $vgpr2
	v_mov_b32_e32 v3, v8
.LBB13_121:
	s_and_b32 s12, s59, 3
	s_cmp_eq_u32 s12, 0
	s_cbranch_scc1 .LBB13_125
; %bb.122:
	s_lshl_b32 s8, s50, 3
	s_add_u32 s8, s8, s4
	s_addc_u32 s9, s5, 0
	s_add_u32 s8, s8, 0xc4
	s_addc_u32 s9, s9, 0
	s_mul_i32 s10, s50, 12
	s_add_u32 s10, s4, s10
	s_addc_u32 s11, s5, 0
.LBB13_123:                             ; =>This Inner Loop Header: Depth=1
	s_load_dwordx2 s[14:15], s[10:11], 0x4
	s_load_dword s13, s[10:11], 0xc
	s_load_dwordx2 s[16:17], s[8:9], 0x0
	v_mov_b32_e32 v2, v1
	s_add_u32 s10, s10, 12
	s_waitcnt lgkmcnt(0)
	v_mul_hi_u32 v1, s15, v3
	v_add_u32_e32 v1, v3, v1
	v_lshrrev_b32_e32 v1, s13, v1
	s_addc_u32 s11, s11, 0
	v_mul_lo_u32 v4, v1, s14
	s_add_u32 s8, s8, 8
	v_sub_u32_e32 v6, v3, v4
	v_mov_b32_e32 v3, v1
	s_addc_u32 s9, s9, 0
	s_add_i32 s12, s12, -1
	v_mad_u64_u32 v[4:5], s[14:15], v6, s17, v[2:3]
	v_mad_u64_u32 v[0:1], s[14:15], v6, s16, v[0:1]
	s_cmp_lg_u32 s12, 0
	v_mov_b32_e32 v1, v4
	s_cbranch_scc1 .LBB13_123
; %bb.124:
	v_mov_b32_e32 v2, v1
.LBB13_125:
	s_cbranch_execnz .LBB13_128
.LBB13_126:
	s_waitcnt lgkmcnt(0)
	v_mul_hi_u32 v0, s29, v8
	v_add_u32_e32 v0, v8, v0
	v_lshrrev_b32_e32 v1, s30, v0
	v_mul_lo_u32 v0, v1, s28
	v_sub_u32_e32 v0, v8, v0
	v_mul_lo_u32 v2, v0, s25
	s_andn2_b64 vcc, exec, s[42:43]
	v_mul_lo_u32 v0, v0, s24
	s_cbranch_vccnz .LBB13_128
; %bb.127:
	v_mul_hi_u32 v3, s40, v1
	v_add_u32_e32 v3, v1, v3
	v_lshrrev_b32_e32 v3, s41, v3
	v_mul_lo_u32 v3, v3, s31
	v_sub_u32_e32 v3, v1, v3
	v_mad_u64_u32 v[0:1], s[8:9], v3, s26, v[0:1]
	v_mad_u64_u32 v[2:3], s[8:9], v3, s27, v[2:3]
.LBB13_128:
	s_waitcnt lgkmcnt(0)
	global_load_dword v1, v2, s[2:3]
	s_waitcnt vmcnt(0)
	v_cmp_nge_f32_e64 s[2:3], v1, -s57
	v_cmp_nge_f32_e32 vcc, s57, v1
	s_or_b64 vcc, s[2:3], vcc
	v_cndmask_b32_e32 v1, 0, v1, vcc
	global_store_dword v0, v1, s[0:1]
	s_or_b64 exec, exec, s[48:49]
                                        ; implicit-def: $vgpr15
                                        ; implicit-def: $vgpr8
	s_andn2_saveexec_b64 s[0:1], s[34:35]
	s_cbranch_execz .LBB13_103
	s_branch .LBB13_9
	.section	.rodata,"a",@progbits
	.p2align	6, 0x0
	.amdhsa_kernel _ZN2at6native32elementwise_kernel_manual_unrollILi128ELi4EZNS0_22gpu_kernel_impl_nocastIZZZNS0_12_GLOBAL__N_117hardshrink_kernelERNS_18TensorIteratorBaseERKN3c106ScalarEENKUlvE_clEvENKUlvE0_clEvEUlfE_EEvS5_RKT_EUlibE_EEviT1_
		.amdhsa_group_segment_fixed_size 0
		.amdhsa_private_segment_fixed_size 0
		.amdhsa_kernarg_size 360
		.amdhsa_user_sgpr_count 6
		.amdhsa_user_sgpr_private_segment_buffer 1
		.amdhsa_user_sgpr_dispatch_ptr 0
		.amdhsa_user_sgpr_queue_ptr 0
		.amdhsa_user_sgpr_kernarg_segment_ptr 1
		.amdhsa_user_sgpr_dispatch_id 0
		.amdhsa_user_sgpr_flat_scratch_init 0
		.amdhsa_user_sgpr_kernarg_preload_length 0
		.amdhsa_user_sgpr_kernarg_preload_offset 0
		.amdhsa_user_sgpr_private_segment_size 0
		.amdhsa_uses_dynamic_stack 0
		.amdhsa_system_sgpr_private_segment_wavefront_offset 0
		.amdhsa_system_sgpr_workgroup_id_x 1
		.amdhsa_system_sgpr_workgroup_id_y 0
		.amdhsa_system_sgpr_workgroup_id_z 0
		.amdhsa_system_sgpr_workgroup_info 0
		.amdhsa_system_vgpr_workitem_id 0
		.amdhsa_next_free_vgpr 18
		.amdhsa_next_free_sgpr 61
		.amdhsa_accum_offset 20
		.amdhsa_reserve_vcc 1
		.amdhsa_reserve_flat_scratch 0
		.amdhsa_float_round_mode_32 0
		.amdhsa_float_round_mode_16_64 0
		.amdhsa_float_denorm_mode_32 3
		.amdhsa_float_denorm_mode_16_64 3
		.amdhsa_dx10_clamp 1
		.amdhsa_ieee_mode 1
		.amdhsa_fp16_overflow 0
		.amdhsa_tg_split 0
		.amdhsa_exception_fp_ieee_invalid_op 0
		.amdhsa_exception_fp_denorm_src 0
		.amdhsa_exception_fp_ieee_div_zero 0
		.amdhsa_exception_fp_ieee_overflow 0
		.amdhsa_exception_fp_ieee_underflow 0
		.amdhsa_exception_fp_ieee_inexact 0
		.amdhsa_exception_int_div_zero 0
	.end_amdhsa_kernel
	.section	.text._ZN2at6native32elementwise_kernel_manual_unrollILi128ELi4EZNS0_22gpu_kernel_impl_nocastIZZZNS0_12_GLOBAL__N_117hardshrink_kernelERNS_18TensorIteratorBaseERKN3c106ScalarEENKUlvE_clEvENKUlvE0_clEvEUlfE_EEvS5_RKT_EUlibE_EEviT1_,"axG",@progbits,_ZN2at6native32elementwise_kernel_manual_unrollILi128ELi4EZNS0_22gpu_kernel_impl_nocastIZZZNS0_12_GLOBAL__N_117hardshrink_kernelERNS_18TensorIteratorBaseERKN3c106ScalarEENKUlvE_clEvENKUlvE0_clEvEUlfE_EEvS5_RKT_EUlibE_EEviT1_,comdat
.Lfunc_end13:
	.size	_ZN2at6native32elementwise_kernel_manual_unrollILi128ELi4EZNS0_22gpu_kernel_impl_nocastIZZZNS0_12_GLOBAL__N_117hardshrink_kernelERNS_18TensorIteratorBaseERKN3c106ScalarEENKUlvE_clEvENKUlvE0_clEvEUlfE_EEvS5_RKT_EUlibE_EEviT1_, .Lfunc_end13-_ZN2at6native32elementwise_kernel_manual_unrollILi128ELi4EZNS0_22gpu_kernel_impl_nocastIZZZNS0_12_GLOBAL__N_117hardshrink_kernelERNS_18TensorIteratorBaseERKN3c106ScalarEENKUlvE_clEvENKUlvE0_clEvEUlfE_EEvS5_RKT_EUlibE_EEviT1_
                                        ; -- End function
	.section	.AMDGPU.csdata,"",@progbits
; Kernel info:
; codeLenInByte = 5996
; NumSgprs: 65
; NumVgprs: 18
; NumAgprs: 0
; TotalNumVgprs: 18
; ScratchSize: 0
; MemoryBound: 0
; FloatMode: 240
; IeeeMode: 1
; LDSByteSize: 0 bytes/workgroup (compile time only)
; SGPRBlocks: 8
; VGPRBlocks: 2
; NumSGPRsForWavesPerEU: 65
; NumVGPRsForWavesPerEU: 18
; AccumOffset: 20
; Occupancy: 8
; WaveLimiterHint : 1
; COMPUTE_PGM_RSRC2:SCRATCH_EN: 0
; COMPUTE_PGM_RSRC2:USER_SGPR: 6
; COMPUTE_PGM_RSRC2:TRAP_HANDLER: 0
; COMPUTE_PGM_RSRC2:TGID_X_EN: 1
; COMPUTE_PGM_RSRC2:TGID_Y_EN: 0
; COMPUTE_PGM_RSRC2:TGID_Z_EN: 0
; COMPUTE_PGM_RSRC2:TIDIG_COMP_CNT: 0
; COMPUTE_PGM_RSRC3_GFX90A:ACCUM_OFFSET: 4
; COMPUTE_PGM_RSRC3_GFX90A:TG_SPLIT: 0
	.section	.text._ZN2at6native32elementwise_kernel_manual_unrollILi128ELi4EZNS0_15gpu_kernel_implIZZZNS0_12_GLOBAL__N_117hardshrink_kernelERNS_18TensorIteratorBaseERKN3c106ScalarEENKUlvE_clEvENKUlvE0_clEvEUlfE_EEvS5_RKT_EUlibE_EEviT1_,"axG",@progbits,_ZN2at6native32elementwise_kernel_manual_unrollILi128ELi4EZNS0_15gpu_kernel_implIZZZNS0_12_GLOBAL__N_117hardshrink_kernelERNS_18TensorIteratorBaseERKN3c106ScalarEENKUlvE_clEvENKUlvE0_clEvEUlfE_EEvS5_RKT_EUlibE_EEviT1_,comdat
	.globl	_ZN2at6native32elementwise_kernel_manual_unrollILi128ELi4EZNS0_15gpu_kernel_implIZZZNS0_12_GLOBAL__N_117hardshrink_kernelERNS_18TensorIteratorBaseERKN3c106ScalarEENKUlvE_clEvENKUlvE0_clEvEUlfE_EEvS5_RKT_EUlibE_EEviT1_ ; -- Begin function _ZN2at6native32elementwise_kernel_manual_unrollILi128ELi4EZNS0_15gpu_kernel_implIZZZNS0_12_GLOBAL__N_117hardshrink_kernelERNS_18TensorIteratorBaseERKN3c106ScalarEENKUlvE_clEvENKUlvE0_clEvEUlfE_EEvS5_RKT_EUlibE_EEviT1_
	.p2align	8
	.type	_ZN2at6native32elementwise_kernel_manual_unrollILi128ELi4EZNS0_15gpu_kernel_implIZZZNS0_12_GLOBAL__N_117hardshrink_kernelERNS_18TensorIteratorBaseERKN3c106ScalarEENKUlvE_clEvENKUlvE0_clEvEUlfE_EEvS5_RKT_EUlibE_EEviT1_,@function
_ZN2at6native32elementwise_kernel_manual_unrollILi128ELi4EZNS0_15gpu_kernel_implIZZZNS0_12_GLOBAL__N_117hardshrink_kernelERNS_18TensorIteratorBaseERKN3c106ScalarEENKUlvE_clEvENKUlvE0_clEvEUlfE_EEvS5_RKT_EUlibE_EEviT1_: ; @_ZN2at6native32elementwise_kernel_manual_unrollILi128ELi4EZNS0_15gpu_kernel_implIZZZNS0_12_GLOBAL__N_117hardshrink_kernelERNS_18TensorIteratorBaseERKN3c106ScalarEENKUlvE_clEvENKUlvE0_clEvEUlfE_EEvS5_RKT_EUlibE_EEviT1_
; %bb.0:
	s_load_dword s33, s[4:5], 0x24
	s_load_dword s40, s[4:5], 0x0
	s_load_dwordx8 s[8:15], s[4:5], 0x8
	v_lshl_or_b32 v4, s6, 9, v0
	v_or_b32_e32 v0, 0x180, v4
	s_waitcnt lgkmcnt(0)
	v_lshrrev_b16_e64 v5, 8, s33
	v_cmp_le_i32_e32 vcc, s40, v0
	s_mov_b64 s[4:5], 0
	s_mov_b64 s[16:17], 0
	s_and_saveexec_b64 s[0:1], vcc
	s_xor_b64 s[6:7], exec, s[0:1]
	s_cbranch_execz .LBB14_1026
; %bb.1:
	v_cmp_gt_i32_e32 vcc, s40, v4
	s_mov_b64 s[2:3], -1
	s_mov_b64 s[24:25], 0
	s_mov_b64 s[18:19], 0
	s_and_saveexec_b64 s[20:21], vcc
	s_cbranch_execz .LBB14_251
; %bb.2:
	v_mul_lo_u32 v0, v4, s13
	v_ashrrev_i32_e32 v1, 31, v0
	v_mov_b32_e32 v2, s11
	v_add_co_u32_e32 v0, vcc, s10, v0
	v_addc_co_u32_e32 v1, vcc, v2, v1, vcc
	v_cmp_gt_i16_e32 vcc, 11, v5
	s_cbranch_vccnz .LBB14_9
; %bb.3:
	v_cmp_lt_i16_e32 vcc, 25, v5
	s_cbranch_vccz .LBB14_18
; %bb.4:
	v_cmp_lt_i16_e32 vcc, 28, v5
	s_cbranch_vccz .LBB14_22
	;; [unrolled: 3-line block ×4, first 2 shown]
; %bb.7:
	v_cmp_eq_u16_e32 vcc, 46, v5
	s_mov_b64 s[2:3], 0
	s_cbranch_vccz .LBB14_27
; %bb.8:
	global_load_dword v2, v[0:1], off
	s_mov_b64 s[0:1], -1
	s_waitcnt vmcnt(0)
	v_lshlrev_b32_e32 v3, 16, v2
	s_branch .LBB14_29
.LBB14_9:
                                        ; implicit-def: $vgpr3
	s_mov_b64 s[0:1], 0
	s_and_b64 vcc, exec, s[2:3]
	s_cbranch_vccnz .LBB14_202
.LBB14_10:
	s_andn2_b64 vcc, exec, s[0:1]
	s_cbranch_vccnz .LBB14_249
.LBB14_11:
	s_waitcnt vmcnt(0)
	v_cmp_nge_f32_e64 s[0:1], v3, -s14
	v_cmp_nge_f32_e32 vcc, s14, v3
	v_mul_lo_u32 v0, v4, s12
	s_or_b64 s[0:1], s[0:1], vcc
	v_ashrrev_i32_e32 v1, 31, v0
	v_mov_b32_e32 v6, s9
	v_add_co_u32_e32 v0, vcc, s8, v0
	v_addc_co_u32_e32 v1, vcc, v6, v1, vcc
	v_mov_b32_e32 v6, 11
	v_cmp_lt_i16_sdwa s[2:3], s33, v6 src0_sel:BYTE_0 src1_sel:DWORD
	v_cndmask_b32_e64 v2, 0, v3, s[0:1]
	s_and_b64 vcc, exec, s[2:3]
	s_cbranch_vccnz .LBB14_19
; %bb.12:
	v_mov_b32_e32 v6, 25
	v_cmp_gt_i16_sdwa s[2:3], s33, v6 src0_sel:BYTE_0 src1_sel:DWORD
	s_and_b64 vcc, exec, s[2:3]
	s_cbranch_vccz .LBB14_23
; %bb.13:
	v_mov_b32_e32 v6, 28
	v_cmp_gt_i16_sdwa s[2:3], s33, v6 src0_sel:BYTE_0 src1_sel:DWORD
	s_and_b64 vcc, exec, s[2:3]
	s_cbranch_vccz .LBB14_25
	;; [unrolled: 5-line block ×4, first 2 shown]
; %bb.16:
	v_mov_b32_e32 v6, 46
	v_cmp_eq_u16_sdwa s[16:17], s33, v6 src0_sel:BYTE_0 src1_sel:DWORD
	s_mov_b64 s[22:23], 0
	s_mov_b64 s[2:3], -1
	s_and_b64 vcc, exec, s[16:17]
	s_mov_b64 s[16:17], 0
	s_cbranch_vccz .LBB14_33
; %bb.17:
	v_bfe_u32 v6, v2, 16, 1
	s_movk_i32 s2, 0x7fff
	v_add3_u32 v6, v2, v6, s2
	v_lshrrev_b32_e32 v6, 16, v6
	v_mov_b32_e32 v7, 0x7fc0
	v_cmp_o_f32_e32 vcc, v2, v2
	v_cndmask_b32_e32 v6, v7, v6, vcc
	global_store_dword v[0:1], v6, off
	s_mov_b64 s[16:17], -1
	s_mov_b64 s[2:3], 0
	s_branch .LBB14_33
.LBB14_18:
	s_mov_b64 s[0:1], 0
                                        ; implicit-def: $vgpr3
	s_and_b64 vcc, exec, s[2:3]
	s_cbranch_vccnz .LBB14_167
	s_branch .LBB14_201
.LBB14_19:
	s_mov_b64 s[2:3], 0
	s_mov_b64 s[16:17], 0
	s_cbranch_execnz .LBB14_102
.LBB14_20:
	s_andn2_b64 vcc, exec, s[16:17]
	s_cbranch_vccnz .LBB14_140
.LBB14_21:
	v_add_u32_e32 v4, 0x80, v4
	s_mov_b64 s[0:1], -1
	s_branch .LBB14_250
.LBB14_22:
	s_mov_b64 s[0:1], 0
                                        ; implicit-def: $vgpr3
	s_branch .LBB14_148
.LBB14_23:
	s_mov_b64 s[22:23], -1
	s_mov_b64 s[2:3], 0
	s_mov_b64 s[16:17], 0
	s_branch .LBB14_60
.LBB14_24:
	s_mov_b64 s[0:1], 0
                                        ; implicit-def: $vgpr3
	s_branch .LBB14_143
.LBB14_25:
	s_mov_b64 s[22:23], -1
	s_mov_b64 s[2:3], 0
	s_mov_b64 s[16:17], 0
	s_branch .LBB14_43
.LBB14_26:
	s_mov_b64 s[22:23], -1
	s_mov_b64 s[2:3], 0
	s_mov_b64 s[16:17], 0
	s_branch .LBB14_39
.LBB14_27:
	s_mov_b64 s[18:19], -1
.LBB14_28:
	s_mov_b64 s[0:1], 0
                                        ; implicit-def: $vgpr3
.LBB14_29:
	s_and_b64 vcc, exec, s[2:3]
	s_cbranch_vccz .LBB14_142
; %bb.30:
	v_cmp_eq_u16_e32 vcc, 44, v5
	s_cbranch_vccz .LBB14_141
; %bb.31:
	global_load_ubyte v2, v[0:1], off
	s_movk_i32 s2, 0xff
	v_mov_b32_e32 v3, 0x7f800001
	v_mov_b32_e32 v6, 0x400000
	s_mov_b64 s[0:1], -1
	s_mov_b64 s[18:19], 0
	s_waitcnt vmcnt(0)
	v_lshlrev_b32_e32 v7, 23, v2
	v_cmp_ne_u32_e32 vcc, s2, v2
	v_cndmask_b32_e32 v3, v3, v7, vcc
	v_cmp_ne_u32_e32 vcc, 0, v2
	v_cndmask_b32_e32 v3, v6, v3, vcc
	s_branch .LBB14_142
.LBB14_32:
	s_mov_b64 s[22:23], -1
	s_mov_b64 s[2:3], 0
	s_mov_b64 s[16:17], 0
.LBB14_33:
	s_and_b64 vcc, exec, s[22:23]
	s_cbranch_vccz .LBB14_38
; %bb.34:
	v_mov_b32_e32 v6, 44
	v_cmp_eq_u16_sdwa s[22:23], s33, v6 src0_sel:BYTE_0 src1_sel:DWORD
	s_mov_b64 s[2:3], -1
	s_and_b64 vcc, exec, s[22:23]
	s_cbranch_vccz .LBB14_38
; %bb.35:
	v_bfe_u32 v6, v2, 23, 8
	s_movk_i32 s2, 0xff
	v_cmp_ne_u32_e32 vcc, s2, v6
	v_mov_b32_e32 v7, 0xff
	s_and_saveexec_b64 s[16:17], vcc
; %bb.36:
	s_mov_b32 s2, 0x3fffff
	v_and_b32_e32 v8, 0x400000, v2
	v_and_or_b32 v6, v2, s2, v6
	v_cmp_ne_u32_e32 vcc, 0, v8
	v_cmp_ne_u32_e64 s[2:3], 0, v6
	s_and_b64 s[2:3], vcc, s[2:3]
	v_lshrrev_b32_e32 v7, 23, v2
	v_cndmask_b32_e64 v6, 0, 1, s[2:3]
	v_add_u32_e32 v7, v7, v6
; %bb.37:
	s_or_b64 exec, exec, s[16:17]
	s_mov_b64 s[16:17], -1
	s_mov_b64 s[2:3], 0
	global_store_byte v[0:1], v7, off
.LBB14_38:
	s_mov_b64 s[22:23], 0
.LBB14_39:
	s_and_b64 vcc, exec, s[22:23]
	s_cbranch_vccz .LBB14_42
; %bb.40:
	v_mov_b32_e32 v6, 29
	v_cmp_eq_u16_sdwa s[22:23], s33, v6 src0_sel:BYTE_0 src1_sel:DWORD
	s_mov_b64 s[2:3], -1
	s_and_b64 vcc, exec, s[22:23]
	s_cbranch_vccz .LBB14_42
; %bb.41:
	v_trunc_f32_e32 v6, v2
	v_mul_f32_e32 v7, 0x2f800000, v6
	v_floor_f32_e32 v8, v7
	v_fmac_f32_e32 v6, 0xcf800000, v8
	v_cvt_u32_f32_e32 v7, v8
	v_cvt_u32_f32_e32 v6, v6
	s_mov_b64 s[16:17], -1
	s_mov_b64 s[2:3], 0
	s_mov_b64 s[22:23], 0
	global_store_dwordx2 v[0:1], v[6:7], off
	s_branch .LBB14_43
.LBB14_42:
	s_mov_b64 s[22:23], 0
.LBB14_43:
	s_and_b64 vcc, exec, s[22:23]
	s_cbranch_vccz .LBB14_59
; %bb.44:
	v_mov_b32_e32 v6, 27
	v_cmp_lt_i16_sdwa s[22:23], s33, v6 src0_sel:BYTE_0 src1_sel:DWORD
	s_mov_b64 s[16:17], -1
	s_and_b64 vcc, exec, s[22:23]
	s_cbranch_vccnz .LBB14_50
; %bb.45:
	v_cmp_gt_i16_sdwa s[22:23], s33, v6 src0_sel:BYTE_0 src1_sel:DWORD
	v_cvt_u32_f32_e32 v6, v2
	s_and_b64 vcc, exec, s[22:23]
	s_cbranch_vccz .LBB14_47
; %bb.46:
	s_mov_b64 s[16:17], 0
	global_store_dword v[0:1], v6, off
.LBB14_47:
	s_andn2_b64 vcc, exec, s[16:17]
	s_cbranch_vccnz .LBB14_49
; %bb.48:
	global_store_short v[0:1], v6, off
.LBB14_49:
	s_mov_b64 s[16:17], 0
.LBB14_50:
	s_andn2_b64 vcc, exec, s[16:17]
	s_cbranch_vccnz .LBB14_58
; %bb.51:
	v_cndmask_b32_e64 v7, 0, |v3|, s[0:1]
	s_mov_b32 s15, 0x43800000
	v_cmp_gt_u32_e32 vcc, s15, v7
	v_mov_b32_e32 v8, 0x80
	s_and_saveexec_b64 s[16:17], vcc
	s_cbranch_execz .LBB14_57
; %bb.52:
	s_mov_b32 s15, 0x3bffffff
	v_cmp_lt_u32_e32 vcc, s15, v7
	s_mov_b64 s[22:23], 0
                                        ; implicit-def: $vgpr6
	s_and_saveexec_b64 s[26:27], vcc
	s_xor_b64 s[26:27], exec, s[26:27]
	s_cbranch_execz .LBB14_278
; %bb.53:
	v_bfe_u32 v6, v2, 20, 1
	s_mov_b32 s15, 0x487ffff
	v_add3_u32 v6, v2, v6, s15
	s_mov_b64 s[22:23], exec
	v_lshrrev_b32_e32 v6, 20, v6
                                        ; implicit-def: $vgpr7
	s_or_saveexec_b64 s[26:27], s[26:27]
                                        ; implicit-def: $sgpr15
	s_xor_b64 exec, exec, s[26:27]
	s_cbranch_execnz .LBB14_279
.LBB14_54:
	s_or_b64 exec, exec, s[26:27]
	v_mov_b32_e32 v8, s15
	s_and_saveexec_b64 s[26:27], s[22:23]
.LBB14_55:
	v_lshrrev_b32_e32 v7, 24, v2
	s_movk_i32 s15, 0x80
	v_and_or_b32 v8, v7, s15, v6
.LBB14_56:
	s_or_b64 exec, exec, s[26:27]
.LBB14_57:
	s_or_b64 exec, exec, s[16:17]
	global_store_byte v[0:1], v8, off
.LBB14_58:
	s_mov_b64 s[16:17], -1
.LBB14_59:
	s_mov_b64 s[22:23], 0
.LBB14_60:
	s_and_b64 vcc, exec, s[22:23]
	s_cbranch_vccz .LBB14_101
; %bb.61:
	v_mov_b32_e32 v6, 22
	v_cmp_gt_i16_sdwa s[26:27], s33, v6 src0_sel:BYTE_0 src1_sel:DWORD
	s_mov_b64 s[22:23], -1
	s_and_b64 vcc, exec, s[26:27]
	s_cbranch_vccz .LBB14_93
; %bb.62:
	v_mov_b32_e32 v6, 24
	v_cmp_lt_i16_sdwa s[22:23], s33, v6 src0_sel:BYTE_0 src1_sel:DWORD
	s_mov_b64 s[16:17], -1
	s_and_b64 vcc, exec, s[22:23]
	s_cbranch_vccnz .LBB14_82
; %bb.63:
	v_cmp_gt_i16_sdwa s[22:23], s33, v6 src0_sel:BYTE_0 src1_sel:DWORD
	s_and_b64 vcc, exec, s[22:23]
	s_cbranch_vccz .LBB14_71
; %bb.64:
	v_cndmask_b32_e64 v7, 0, |v3|, s[0:1]
	s_mov_b32 s15, 0x47800000
	v_cmp_gt_u32_e32 vcc, s15, v7
	v_mov_b32_e32 v8, 0x80
	s_and_saveexec_b64 s[16:17], vcc
	s_cbranch_execz .LBB14_70
; %bb.65:
	s_mov_b32 s15, 0x37ffffff
	v_cmp_lt_u32_e32 vcc, s15, v7
	s_mov_b64 s[22:23], 0
                                        ; implicit-def: $vgpr6
	s_and_saveexec_b64 s[26:27], vcc
	s_xor_b64 s[26:27], exec, s[26:27]
	s_cbranch_execz .LBB14_282
; %bb.66:
	v_bfe_u32 v6, v2, 21, 1
	s_mov_b32 s15, 0x88fffff
	v_add3_u32 v6, v2, v6, s15
	s_mov_b64 s[22:23], exec
	v_lshrrev_b32_e32 v6, 21, v6
                                        ; implicit-def: $vgpr7
	s_or_saveexec_b64 s[26:27], s[26:27]
                                        ; implicit-def: $sgpr15
	s_xor_b64 exec, exec, s[26:27]
	s_cbranch_execnz .LBB14_283
.LBB14_67:
	s_or_b64 exec, exec, s[26:27]
	v_mov_b32_e32 v8, s15
	s_and_saveexec_b64 s[26:27], s[22:23]
.LBB14_68:
	v_lshrrev_b32_e32 v7, 24, v2
	s_movk_i32 s15, 0x80
	v_and_or_b32 v8, v7, s15, v6
.LBB14_69:
	s_or_b64 exec, exec, s[26:27]
.LBB14_70:
	s_or_b64 exec, exec, s[16:17]
	s_mov_b64 s[16:17], 0
	global_store_byte v[0:1], v8, off
.LBB14_71:
	s_and_b64 vcc, exec, s[16:17]
	s_cbranch_vccz .LBB14_81
; %bb.72:
	v_cndmask_b32_e64 v7, 0, |v3|, s[0:1]
	s_mov_b32 s15, 0x43f00000
	v_cmp_gt_u32_e32 vcc, s15, v7
                                        ; implicit-def: $vgpr6
	s_and_saveexec_b64 s[16:17], vcc
	s_xor_b64 s[16:17], exec, s[16:17]
	s_cbranch_execz .LBB14_78
; %bb.73:
	s_mov_b32 s15, 0x3c7fffff
	v_cmp_lt_u32_e32 vcc, s15, v7
                                        ; implicit-def: $vgpr6
	s_and_saveexec_b64 s[22:23], vcc
	s_xor_b64 s[22:23], exec, s[22:23]
; %bb.74:
	v_bfe_u32 v6, v2, 20, 1
	s_mov_b32 s15, 0x407ffff
	v_add3_u32 v6, v2, v6, s15
	v_lshrrev_b32_e32 v7, 20, v6
	v_and_b32_e32 v6, 0xff00000, v6
	s_mov_b32 s15, 0x7f00000
	v_mov_b32_e32 v8, 0x7e
	v_cmp_ne_u32_e32 vcc, s15, v6
	v_cndmask_b32_e32 v6, v8, v7, vcc
                                        ; implicit-def: $vgpr7
; %bb.75:
	s_andn2_saveexec_b64 s[22:23], s[22:23]
; %bb.76:
	v_add_f32_e32 v6, 0x46800000, v7
; %bb.77:
	s_or_b64 exec, exec, s[22:23]
                                        ; implicit-def: $vgpr7
.LBB14_78:
	s_andn2_saveexec_b64 s[16:17], s[16:17]
; %bb.79:
	s_mov_b32 s15, 0x7f800000
	v_mov_b32_e32 v6, 0x7e
	v_mov_b32_e32 v8, 0x7f
	v_cmp_lt_u32_e32 vcc, s15, v7
	v_cndmask_b32_e32 v6, v6, v8, vcc
; %bb.80:
	s_or_b64 exec, exec, s[16:17]
	v_lshrrev_b32_e32 v7, 24, v2
	s_movk_i32 s15, 0x80
	v_and_or_b32 v6, v7, s15, v6
	global_store_byte v[0:1], v6, off
.LBB14_81:
	s_mov_b64 s[16:17], 0
.LBB14_82:
	s_andn2_b64 vcc, exec, s[16:17]
	s_cbranch_vccnz .LBB14_92
; %bb.83:
	v_cndmask_b32_e64 v6, 0, |v3|, s[0:1]
	s_mov_b32 s0, 0x47800000
	v_cmp_gt_u32_e32 vcc, s0, v6
                                        ; implicit-def: $vgpr3
	s_and_saveexec_b64 s[0:1], vcc
	s_xor_b64 s[0:1], exec, s[0:1]
	s_cbranch_execz .LBB14_89
; %bb.84:
	s_mov_b32 s15, 0x387fffff
	v_cmp_lt_u32_e32 vcc, s15, v6
                                        ; implicit-def: $vgpr3
	s_and_saveexec_b64 s[16:17], vcc
	s_xor_b64 s[16:17], exec, s[16:17]
; %bb.85:
	v_bfe_u32 v3, v2, 21, 1
	s_mov_b32 s15, 0x80fffff
	v_add3_u32 v3, v2, v3, s15
	v_lshrrev_b32_e32 v3, 21, v3
                                        ; implicit-def: $vgpr6
; %bb.86:
	s_andn2_saveexec_b64 s[16:17], s[16:17]
; %bb.87:
	v_add_f32_e32 v3, 0x43000000, v6
; %bb.88:
	s_or_b64 exec, exec, s[16:17]
                                        ; implicit-def: $vgpr6
.LBB14_89:
	s_andn2_saveexec_b64 s[0:1], s[0:1]
; %bb.90:
	s_mov_b32 s15, 0x7f800000
	v_mov_b32_e32 v3, 0x7c
	v_mov_b32_e32 v7, 0x7f
	v_cmp_lt_u32_e32 vcc, s15, v6
	v_cndmask_b32_e32 v3, v3, v7, vcc
; %bb.91:
	s_or_b64 exec, exec, s[0:1]
	v_lshrrev_b32_e32 v6, 24, v2
	s_movk_i32 s0, 0x80
	v_and_or_b32 v3, v6, s0, v3
	global_store_byte v[0:1], v3, off
.LBB14_92:
	s_mov_b64 s[22:23], 0
	s_mov_b64 s[16:17], -1
.LBB14_93:
	s_andn2_b64 vcc, exec, s[22:23]
	s_cbranch_vccnz .LBB14_101
; %bb.94:
	v_mov_b32_e32 v3, 14
	v_cmp_gt_i16_sdwa s[22:23], s33, v3 src0_sel:BYTE_0 src1_sel:DWORD
	s_mov_b64 s[0:1], -1
	s_and_b64 vcc, exec, s[22:23]
	s_cbranch_vccz .LBB14_98
; %bb.95:
	v_mov_b32_e32 v3, 15
	v_cmp_eq_u16_sdwa s[0:1], s33, v3 src0_sel:BYTE_0 src1_sel:DWORD
	s_mov_b64 s[2:3], -1
	s_and_b64 vcc, exec, s[0:1]
	s_cbranch_vccz .LBB14_97
; %bb.96:
	v_bfe_u32 v3, v2, 16, 1
	s_movk_i32 s0, 0x7fff
	v_add3_u32 v3, v2, v3, s0
	v_lshrrev_b32_e32 v3, 16, v3
	v_mov_b32_e32 v6, 0x7fc0
	v_cmp_o_f32_e32 vcc, v2, v2
	v_cndmask_b32_e32 v3, v6, v3, vcc
	global_store_short v[0:1], v3, off
	s_mov_b64 s[16:17], -1
	s_mov_b64 s[2:3], 0
.LBB14_97:
	s_mov_b64 s[0:1], 0
.LBB14_98:
	s_and_b64 vcc, exec, s[0:1]
	s_cbranch_vccz .LBB14_101
; %bb.99:
	v_mov_b32_e32 v3, 11
	v_cmp_eq_u16_sdwa s[0:1], s33, v3 src0_sel:BYTE_0 src1_sel:DWORD
	s_mov_b64 s[2:3], -1
	s_and_b64 vcc, exec, s[0:1]
	s_cbranch_vccz .LBB14_101
; %bb.100:
	v_cmp_neq_f32_e32 vcc, 0, v2
	v_cndmask_b32_e64 v3, 0, 1, vcc
	s_mov_b64 s[16:17], -1
	s_mov_b64 s[2:3], 0
	global_store_byte v[0:1], v3, off
.LBB14_101:
	s_branch .LBB14_20
.LBB14_102:
	v_mov_b32_e32 v3, 5
	v_cmp_lt_i16_sdwa s[16:17], s33, v3 src0_sel:BYTE_0 src1_sel:DWORD
	s_mov_b64 s[0:1], -1
	s_and_b64 vcc, exec, s[16:17]
	s_cbranch_vccnz .LBB14_123
; %bb.103:
	v_mov_b32_e32 v3, 8
	v_cmp_lt_i16_sdwa s[16:17], s33, v3 src0_sel:BYTE_0 src1_sel:DWORD
	s_and_b64 vcc, exec, s[16:17]
	s_cbranch_vccnz .LBB14_113
; %bb.104:
	v_mov_b32_e32 v3, 9
	v_cmp_lt_i16_sdwa s[16:17], s33, v3 src0_sel:BYTE_0 src1_sel:DWORD
	s_and_b64 vcc, exec, s[16:17]
	s_cbranch_vccnz .LBB14_110
; %bb.105:
	v_cmp_gt_i16_sdwa s[16:17], s33, v3 src0_sel:BYTE_0 src1_sel:DWORD
	s_and_b64 vcc, exec, s[16:17]
	s_cbranch_vccz .LBB14_107
; %bb.106:
	v_mov_b32_e32 v8, 0
	v_cvt_f64_f32_e32 v[6:7], v2
	v_mov_b32_e32 v9, v8
	global_store_dwordx4 v[0:1], v[6:9], off
	s_mov_b64 s[0:1], 0
.LBB14_107:
	s_andn2_b64 vcc, exec, s[0:1]
	s_cbranch_vccnz .LBB14_109
; %bb.108:
	v_mov_b32_e32 v3, 0
	global_store_dwordx2 v[0:1], v[2:3], off
.LBB14_109:
	s_mov_b64 s[0:1], 0
.LBB14_110:
	s_andn2_b64 vcc, exec, s[0:1]
	s_cbranch_vccnz .LBB14_112
; %bb.111:
	v_cvt_f16_f32_e32 v3, v2
	global_store_dword v[0:1], v3, off
.LBB14_112:
	s_mov_b64 s[0:1], 0
.LBB14_113:
	s_andn2_b64 vcc, exec, s[0:1]
	s_cbranch_vccnz .LBB14_122
; %bb.114:
	v_mov_b32_e32 v3, 6
	v_cmp_lt_i16_sdwa s[16:17], s33, v3 src0_sel:BYTE_0 src1_sel:DWORD
	s_mov_b64 s[0:1], -1
	s_and_b64 vcc, exec, s[16:17]
	s_cbranch_vccnz .LBB14_120
; %bb.115:
	v_cmp_gt_i16_sdwa s[16:17], s33, v3 src0_sel:BYTE_0 src1_sel:DWORD
	s_and_b64 vcc, exec, s[16:17]
	s_cbranch_vccz .LBB14_117
; %bb.116:
	v_cvt_f64_f32_e32 v[6:7], v2
	global_store_dwordx2 v[0:1], v[6:7], off
	s_mov_b64 s[0:1], 0
.LBB14_117:
	s_andn2_b64 vcc, exec, s[0:1]
	s_cbranch_vccnz .LBB14_119
; %bb.118:
	global_store_dword v[0:1], v2, off
.LBB14_119:
	s_mov_b64 s[0:1], 0
.LBB14_120:
	s_andn2_b64 vcc, exec, s[0:1]
	s_cbranch_vccnz .LBB14_122
; %bb.121:
	v_cvt_f16_f32_e32 v3, v2
	global_store_short v[0:1], v3, off
.LBB14_122:
	s_mov_b64 s[0:1], 0
.LBB14_123:
	s_andn2_b64 vcc, exec, s[0:1]
	s_cbranch_vccnz .LBB14_139
; %bb.124:
	v_mov_b32_e32 v3, 2
	v_cmp_lt_i16_sdwa s[16:17], s33, v3 src0_sel:BYTE_0 src1_sel:DWORD
	s_mov_b64 s[0:1], -1
	s_and_b64 vcc, exec, s[16:17]
	s_cbranch_vccnz .LBB14_134
; %bb.125:
	v_mov_b32_e32 v3, 3
	v_cmp_lt_i16_sdwa s[16:17], s33, v3 src0_sel:BYTE_0 src1_sel:DWORD
	s_and_b64 vcc, exec, s[16:17]
	s_cbranch_vccnz .LBB14_131
; %bb.126:
	v_cmp_gt_i16_sdwa s[16:17], s33, v3 src0_sel:BYTE_0 src1_sel:DWORD
	s_and_b64 vcc, exec, s[16:17]
	s_cbranch_vccz .LBB14_128
; %bb.127:
	v_trunc_f32_e32 v3, v2
	s_mov_b32 s0, 0x2f800000
	v_mul_f32_e64 v6, |v3|, s0
	v_floor_f32_e32 v6, v6
	s_mov_b32 s0, 0xcf800000
	v_cvt_u32_f32_e32 v7, v6
	v_fma_f32 v6, v6, s0, |v3|
	v_cvt_u32_f32_e32 v6, v6
	v_ashrrev_i32_e32 v3, 31, v3
	v_xor_b32_e32 v7, v7, v3
	s_mov_b64 s[0:1], 0
	v_xor_b32_e32 v6, v6, v3
	v_sub_co_u32_e32 v6, vcc, v6, v3
	v_subb_co_u32_e32 v7, vcc, v7, v3, vcc
	global_store_dwordx2 v[0:1], v[6:7], off
.LBB14_128:
	s_andn2_b64 vcc, exec, s[0:1]
	s_cbranch_vccnz .LBB14_130
; %bb.129:
	v_cvt_i32_f32_e32 v3, v2
	global_store_dword v[0:1], v3, off
.LBB14_130:
	s_mov_b64 s[0:1], 0
.LBB14_131:
	s_andn2_b64 vcc, exec, s[0:1]
	s_cbranch_vccnz .LBB14_133
; %bb.132:
	v_cvt_i32_f32_e32 v3, v2
	global_store_short v[0:1], v3, off
.LBB14_133:
	s_mov_b64 s[0:1], 0
.LBB14_134:
	s_andn2_b64 vcc, exec, s[0:1]
	s_cbranch_vccnz .LBB14_139
; %bb.135:
	v_mov_b32_e32 v3, 0
	v_cmp_gt_i16_sdwa s[16:17], s33, v3 src0_sel:BYTE_0 src1_sel:DWORD
	s_mov_b64 s[0:1], -1
	s_and_b64 vcc, exec, s[16:17]
	s_cbranch_vccz .LBB14_137
; %bb.136:
	v_cvt_i32_f32_e32 v3, v2
	s_mov_b64 s[0:1], 0
	global_store_byte v[0:1], v3, off
.LBB14_137:
	s_andn2_b64 vcc, exec, s[0:1]
	s_cbranch_vccnz .LBB14_139
; %bb.138:
	v_trunc_f32_e32 v2, v2
	s_mov_b32 s0, 0x2f800000
	v_mul_f32_e64 v3, |v2|, s0
	v_floor_f32_e32 v3, v3
	s_mov_b32 s0, 0xcf800000
	v_fma_f32 v3, v3, s0, |v2|
	v_cvt_u32_f32_e32 v3, v3
	v_ashrrev_i32_e32 v2, 31, v2
	v_xor_b32_e32 v3, v3, v2
	v_sub_u32_e32 v2, v3, v2
	global_store_byte v[0:1], v2, off
.LBB14_139:
	s_branch .LBB14_21
.LBB14_140:
	s_mov_b64 s[0:1], 0
                                        ; implicit-def: $vgpr4
	s_branch .LBB14_250
.LBB14_141:
	s_mov_b64 s[18:19], -1
                                        ; implicit-def: $vgpr3
.LBB14_142:
	s_mov_b64 s[2:3], 0
.LBB14_143:
	s_and_b64 vcc, exec, s[2:3]
	s_cbranch_vccz .LBB14_147
; %bb.144:
	v_cmp_eq_u16_e32 vcc, 29, v5
	s_cbranch_vccz .LBB14_146
; %bb.145:
	global_load_dwordx2 v[2:3], v[0:1], off
	s_mov_b64 s[0:1], -1
	s_mov_b64 s[18:19], 0
	s_mov_b64 s[2:3], 0
	s_waitcnt vmcnt(0)
	v_ffbh_u32_e32 v6, v3
	v_min_u32_e32 v6, 32, v6
	v_lshlrev_b64 v[2:3], v6, v[2:3]
	v_min_u32_e32 v2, 1, v2
	v_or_b32_e32 v2, v3, v2
	v_cvt_f32_u32_e32 v2, v2
	v_sub_u32_e32 v3, 32, v6
	v_ldexp_f32 v3, v2, v3
	s_branch .LBB14_148
.LBB14_146:
	s_mov_b64 s[18:19], -1
                                        ; implicit-def: $vgpr3
.LBB14_147:
	s_mov_b64 s[2:3], 0
.LBB14_148:
	s_and_b64 vcc, exec, s[2:3]
	s_cbranch_vccz .LBB14_166
; %bb.149:
	v_cmp_gt_i16_e32 vcc, 27, v5
	s_cbranch_vccnz .LBB14_152
; %bb.150:
	v_cmp_lt_i16_e32 vcc, 27, v5
	s_cbranch_vccz .LBB14_153
; %bb.151:
	global_load_dword v2, v[0:1], off
	s_mov_b64 s[0:1], 0
	s_waitcnt vmcnt(0)
	v_cvt_f32_u32_e32 v3, v2
	s_branch .LBB14_154
.LBB14_152:
	s_mov_b64 s[0:1], -1
                                        ; implicit-def: $vgpr3
	s_branch .LBB14_157
.LBB14_153:
	s_mov_b64 s[0:1], -1
                                        ; implicit-def: $vgpr3
.LBB14_154:
	s_andn2_b64 vcc, exec, s[0:1]
	s_cbranch_vccnz .LBB14_156
; %bb.155:
	global_load_ushort v2, v[0:1], off
	s_waitcnt vmcnt(0)
	v_cvt_f32_u32_e32 v3, v2
.LBB14_156:
	s_mov_b64 s[0:1], 0
.LBB14_157:
	s_andn2_b64 vcc, exec, s[0:1]
	s_cbranch_vccnz .LBB14_165
; %bb.158:
	global_load_ubyte v2, v[0:1], off
	s_movk_i32 s0, 0x7f
                                        ; implicit-def: $sgpr15
	s_waitcnt vmcnt(0)
	v_cmp_lt_i16_e32 vcc, s0, v2
	s_mov_b64 s[0:1], 0
	s_and_saveexec_b64 s[2:3], vcc
	s_xor_b64 s[2:3], exec, s[2:3]
	s_cbranch_execz .LBB14_178
; %bb.159:
	s_movk_i32 s0, 0x80
	v_cmp_eq_u16_e32 vcc, s0, v2
	s_mov_b64 s[0:1], -1
                                        ; implicit-def: $sgpr15
	s_and_saveexec_b64 s[16:17], vcc
; %bb.160:
	s_mov_b32 s15, 0x7f800001
	s_xor_b64 s[0:1], exec, -1
; %bb.161:
	s_or_b64 exec, exec, s[16:17]
	s_and_b64 s[0:1], s[0:1], exec
	s_or_saveexec_b64 s[2:3], s[2:3]
	v_mov_b32_e32 v3, s15
	s_xor_b64 exec, exec, s[2:3]
	s_cbranch_execnz .LBB14_179
.LBB14_162:
	s_or_b64 exec, exec, s[2:3]
	s_and_saveexec_b64 s[2:3], s[0:1]
	s_cbranch_execz .LBB14_164
.LBB14_163:
	v_lshlrev_b32_e32 v3, 24, v2
	v_and_b32_e32 v2, 0xffff, v2
	v_and_b32_e32 v6, 7, v2
	v_ffbh_u32_e32 v8, v6
	v_min_u32_e32 v8, 32, v8
	v_subrev_u32_e32 v9, 28, v8
	v_bfe_u32 v7, v2, 3, 4
	v_lshlrev_b32_e32 v2, v9, v2
	v_sub_u32_e32 v8, 29, v8
	v_and_b32_e32 v2, 7, v2
	v_cmp_eq_u32_e32 vcc, 0, v7
	v_cndmask_b32_e32 v7, v7, v8, vcc
	v_cndmask_b32_e32 v2, v6, v2, vcc
	v_mov_b32_e32 v6, 0x3b800000
	v_lshlrev_b32_e32 v2, 20, v2
	v_and_b32_e32 v3, 0x80000000, v3
	v_lshl_add_u32 v6, v7, 23, v6
	v_or3_b32 v3, v3, v6, v2
.LBB14_164:
	s_or_b64 exec, exec, s[2:3]
.LBB14_165:
	s_mov_b64 s[0:1], -1
.LBB14_166:
	s_branch .LBB14_201
.LBB14_167:
	v_cmp_lt_i16_e32 vcc, 22, v5
	s_cbranch_vccz .LBB14_177
; %bb.168:
	v_cmp_gt_i16_e32 vcc, 24, v5
	s_cbranch_vccnz .LBB14_180
; %bb.169:
	v_cmp_lt_i16_e32 vcc, 24, v5
	s_cbranch_vccz .LBB14_181
; %bb.170:
	global_load_ubyte v2, v[0:1], off
	s_movk_i32 s0, 0x7f
                                        ; implicit-def: $sgpr15
	s_waitcnt vmcnt(0)
	v_cmp_lt_i16_e32 vcc, s0, v2
	s_mov_b64 s[0:1], 0
	s_and_saveexec_b64 s[2:3], vcc
	s_xor_b64 s[2:3], exec, s[2:3]
	s_cbranch_execz .LBB14_193
; %bb.171:
	s_movk_i32 s0, 0x80
	v_cmp_eq_u16_e32 vcc, s0, v2
	s_mov_b64 s[0:1], -1
                                        ; implicit-def: $sgpr15
	s_and_saveexec_b64 s[16:17], vcc
; %bb.172:
	s_mov_b32 s15, 0x7f800001
	s_xor_b64 s[0:1], exec, -1
; %bb.173:
	s_or_b64 exec, exec, s[16:17]
	s_and_b64 s[0:1], s[0:1], exec
	s_or_saveexec_b64 s[2:3], s[2:3]
	v_mov_b32_e32 v3, s15
	s_xor_b64 exec, exec, s[2:3]
	s_cbranch_execnz .LBB14_194
.LBB14_174:
	s_or_b64 exec, exec, s[2:3]
	s_and_saveexec_b64 s[2:3], s[0:1]
	s_cbranch_execz .LBB14_176
.LBB14_175:
	v_lshlrev_b32_e32 v3, 24, v2
	v_and_b32_e32 v2, 0xffff, v2
	v_and_b32_e32 v6, 3, v2
	v_ffbh_u32_e32 v8, v6
	v_min_u32_e32 v8, 32, v8
	v_subrev_u32_e32 v9, 29, v8
	v_bfe_u32 v7, v2, 2, 5
	v_lshlrev_b32_e32 v2, v9, v2
	v_sub_u32_e32 v8, 30, v8
	v_and_b32_e32 v2, 3, v2
	v_cmp_eq_u32_e32 vcc, 0, v7
	v_cndmask_b32_e32 v7, v7, v8, vcc
	v_cndmask_b32_e32 v2, v6, v2, vcc
	v_mov_b32_e32 v6, 0x37800000
	v_lshlrev_b32_e32 v2, 21, v2
	v_and_b32_e32 v3, 0x80000000, v3
	v_lshl_add_u32 v6, v7, 23, v6
	v_or3_b32 v3, v3, v6, v2
.LBB14_176:
	s_or_b64 exec, exec, s[2:3]
	s_mov_b64 s[0:1], 0
	s_branch .LBB14_182
.LBB14_177:
	s_mov_b64 s[2:3], -1
                                        ; implicit-def: $vgpr3
	s_branch .LBB14_188
.LBB14_178:
	s_or_saveexec_b64 s[2:3], s[2:3]
	v_mov_b32_e32 v3, s15
	s_xor_b64 exec, exec, s[2:3]
	s_cbranch_execz .LBB14_162
.LBB14_179:
	v_cmp_ne_u16_e32 vcc, 0, v2
	s_andn2_b64 s[0:1], s[0:1], exec
	s_and_b64 s[16:17], vcc, exec
	v_mov_b32_e32 v3, 0
	s_or_b64 s[0:1], s[0:1], s[16:17]
	s_or_b64 exec, exec, s[2:3]
	s_and_saveexec_b64 s[2:3], s[0:1]
	s_cbranch_execnz .LBB14_163
	s_branch .LBB14_164
.LBB14_180:
	s_mov_b64 s[0:1], -1
                                        ; implicit-def: $vgpr3
	s_branch .LBB14_185
.LBB14_181:
	s_mov_b64 s[0:1], -1
                                        ; implicit-def: $vgpr3
.LBB14_182:
	s_and_b64 vcc, exec, s[0:1]
	s_cbranch_vccz .LBB14_184
; %bb.183:
	global_load_ubyte v2, v[0:1], off
	s_mov_b32 s0, 0x7f800000
	s_waitcnt vmcnt(0)
	v_lshlrev_b32_e32 v2, 24, v2
	v_and_b32_e32 v3, 0x7f000000, v2
	v_ffbh_u32_e32 v6, v3
	v_min_u32_e32 v6, 32, v6
	v_sub_u32_e64 v6, v6, 4 clamp
	v_lshlrev_b32_e32 v8, v6, v3
	v_lshlrev_b32_e32 v6, 23, v6
	v_lshrrev_b32_e32 v8, 4, v8
	v_add_u32_e32 v7, 0x1000000, v3
	v_sub_u32_e32 v6, v8, v6
	v_ashrrev_i32_e32 v7, 8, v7
	v_add_u32_e32 v6, 0x3c000000, v6
	v_and_or_b32 v6, v7, s0, v6
	v_cmp_ne_u32_e32 vcc, 0, v3
	v_cndmask_b32_e32 v3, 0, v6, vcc
	s_brev_b32 s0, 1
	v_and_or_b32 v3, v2, s0, v3
.LBB14_184:
	s_mov_b64 s[0:1], 0
.LBB14_185:
	s_andn2_b64 vcc, exec, s[0:1]
	s_cbranch_vccnz .LBB14_187
; %bb.186:
	global_load_ubyte v2, v[0:1], off
	s_movk_i32 s0, 0x7f00
	s_brev_b32 s1, 16
	s_waitcnt vmcnt(0)
	v_lshlrev_b16_e32 v3, 8, v2
	v_lshlrev_b32_e32 v2, 25, v2
	v_lshrrev_b32_e32 v6, 4, v2
	v_and_or_b32 v7, v3, s0, 0.5
	v_or_b32_e32 v6, 0x70000000, v6
	v_add_f32_e32 v7, -0.5, v7
	v_mul_f32_e32 v6, 0x7800000, v6
	v_cmp_gt_u32_e32 vcc, s1, v2
	v_bfe_i32 v3, v3, 0, 16
	v_cndmask_b32_e32 v2, v6, v7, vcc
	s_brev_b32 s0, 1
	v_and_or_b32 v3, v3, s0, v2
.LBB14_187:
	s_mov_b64 s[2:3], 0
	s_mov_b64 s[0:1], -1
.LBB14_188:
	s_andn2_b64 vcc, exec, s[2:3]
	s_cbranch_vccnz .LBB14_201
; %bb.189:
	v_cmp_lt_i16_e32 vcc, 14, v5
	s_cbranch_vccz .LBB14_192
; %bb.190:
	v_cmp_eq_u16_e32 vcc, 15, v5
	s_cbranch_vccz .LBB14_195
; %bb.191:
	global_load_ushort v2, v[0:1], off
	s_mov_b64 s[0:1], -1
	s_mov_b64 s[18:19], 0
	s_waitcnt vmcnt(0)
	v_lshlrev_b32_e32 v3, 16, v2
	s_branch .LBB14_196
.LBB14_192:
	s_mov_b64 s[2:3], -1
                                        ; implicit-def: $vgpr3
	s_branch .LBB14_197
.LBB14_193:
	s_or_saveexec_b64 s[2:3], s[2:3]
	v_mov_b32_e32 v3, s15
	s_xor_b64 exec, exec, s[2:3]
	s_cbranch_execz .LBB14_174
.LBB14_194:
	v_cmp_ne_u16_e32 vcc, 0, v2
	s_andn2_b64 s[0:1], s[0:1], exec
	s_and_b64 s[16:17], vcc, exec
	v_mov_b32_e32 v3, 0
	s_or_b64 s[0:1], s[0:1], s[16:17]
	s_or_b64 exec, exec, s[2:3]
	s_and_saveexec_b64 s[2:3], s[0:1]
	s_cbranch_execnz .LBB14_175
	s_branch .LBB14_176
.LBB14_195:
	s_mov_b64 s[18:19], -1
                                        ; implicit-def: $vgpr3
.LBB14_196:
	s_mov_b64 s[2:3], 0
.LBB14_197:
	s_and_b64 vcc, exec, s[2:3]
	s_cbranch_vccz .LBB14_201
; %bb.198:
	v_cmp_eq_u16_e32 vcc, 11, v5
	s_cbranch_vccz .LBB14_200
; %bb.199:
	global_load_ubyte v2, v[0:1], off
	s_mov_b64 s[0:1], -1
	s_mov_b64 s[18:19], 0
	s_waitcnt vmcnt(0)
	v_cmp_ne_u16_e32 vcc, 0, v2
	v_cndmask_b32_e64 v3, 0, 1.0, vcc
	s_branch .LBB14_201
.LBB14_200:
	s_mov_b64 s[18:19], -1
                                        ; implicit-def: $vgpr3
.LBB14_201:
	s_branch .LBB14_10
.LBB14_202:
	v_cmp_gt_i16_e32 vcc, 5, v5
	s_cbranch_vccnz .LBB14_207
; %bb.203:
	v_cmp_gt_i16_e32 vcc, 8, v5
	s_cbranch_vccnz .LBB14_208
; %bb.204:
	;; [unrolled: 3-line block ×3, first 2 shown]
	v_cmp_lt_i16_e32 vcc, 9, v5
	s_cbranch_vccz .LBB14_210
; %bb.206:
	global_load_dwordx2 v[2:3], v[0:1], off
	s_mov_b64 s[0:1], 0
	s_waitcnt vmcnt(0)
	v_cvt_f32_f64_e32 v3, v[2:3]
	s_branch .LBB14_211
.LBB14_207:
                                        ; implicit-def: $vgpr3
	s_branch .LBB14_229
.LBB14_208:
	s_mov_b64 s[0:1], -1
                                        ; implicit-def: $vgpr3
	s_branch .LBB14_217
.LBB14_209:
	s_mov_b64 s[0:1], -1
                                        ; implicit-def: $vgpr3
	s_branch .LBB14_214
.LBB14_210:
	s_mov_b64 s[0:1], -1
                                        ; implicit-def: $vgpr3
.LBB14_211:
	s_andn2_b64 vcc, exec, s[0:1]
	s_cbranch_vccnz .LBB14_213
; %bb.212:
	global_load_dword v3, v[0:1], off
.LBB14_213:
	s_mov_b64 s[0:1], 0
.LBB14_214:
	s_andn2_b64 vcc, exec, s[0:1]
	s_cbranch_vccnz .LBB14_216
; %bb.215:
	global_load_dword v2, v[0:1], off
	s_waitcnt vmcnt(0)
	v_cvt_f32_f16_e32 v3, v2
.LBB14_216:
	s_mov_b64 s[0:1], 0
.LBB14_217:
	s_andn2_b64 vcc, exec, s[0:1]
	s_cbranch_vccnz .LBB14_228
; %bb.218:
	v_cmp_gt_i16_e32 vcc, 6, v5
	s_cbranch_vccnz .LBB14_221
; %bb.219:
	v_cmp_lt_i16_e32 vcc, 6, v5
	s_cbranch_vccz .LBB14_222
; %bb.220:
	global_load_dwordx2 v[2:3], v[0:1], off
	s_mov_b64 s[0:1], 0
	s_waitcnt vmcnt(0)
	v_cvt_f32_f64_e32 v3, v[2:3]
	s_branch .LBB14_223
.LBB14_221:
	s_mov_b64 s[0:1], -1
                                        ; implicit-def: $vgpr3
	s_branch .LBB14_226
.LBB14_222:
	s_mov_b64 s[0:1], -1
                                        ; implicit-def: $vgpr3
.LBB14_223:
	s_andn2_b64 vcc, exec, s[0:1]
	s_cbranch_vccnz .LBB14_225
; %bb.224:
	global_load_dword v3, v[0:1], off
.LBB14_225:
	s_mov_b64 s[0:1], 0
.LBB14_226:
	s_andn2_b64 vcc, exec, s[0:1]
	s_cbranch_vccnz .LBB14_228
; %bb.227:
	global_load_ushort v2, v[0:1], off
	s_waitcnt vmcnt(0)
	v_cvt_f32_f16_e32 v3, v2
.LBB14_228:
	s_cbranch_execnz .LBB14_248
.LBB14_229:
	v_cmp_gt_i16_e32 vcc, 2, v5
	s_cbranch_vccnz .LBB14_233
; %bb.230:
	v_cmp_gt_i16_e32 vcc, 3, v5
	s_cbranch_vccnz .LBB14_234
; %bb.231:
	v_cmp_lt_i16_e32 vcc, 3, v5
	s_cbranch_vccz .LBB14_235
; %bb.232:
	global_load_dwordx2 v[2:3], v[0:1], off
	s_mov_b64 s[0:1], 0
	s_waitcnt vmcnt(0)
	v_xor_b32_e32 v7, v2, v3
	v_ffbh_i32_e32 v6, v3
	v_ashrrev_i32_e32 v7, 31, v7
	v_add_u32_e32 v6, -1, v6
	v_add_u32_e32 v7, 32, v7
	v_min_u32_e32 v6, v6, v7
	v_lshlrev_b64 v[2:3], v6, v[2:3]
	v_min_u32_e32 v2, 1, v2
	v_or_b32_e32 v2, v3, v2
	v_cvt_f32_i32_e32 v2, v2
	v_sub_u32_e32 v3, 32, v6
	v_ldexp_f32 v3, v2, v3
	s_branch .LBB14_236
.LBB14_233:
	s_mov_b64 s[0:1], -1
                                        ; implicit-def: $vgpr3
	s_branch .LBB14_242
.LBB14_234:
	s_mov_b64 s[0:1], -1
                                        ; implicit-def: $vgpr3
	s_branch .LBB14_239
.LBB14_235:
	s_mov_b64 s[0:1], -1
                                        ; implicit-def: $vgpr3
.LBB14_236:
	s_andn2_b64 vcc, exec, s[0:1]
	s_cbranch_vccnz .LBB14_238
; %bb.237:
	global_load_dword v2, v[0:1], off
	s_waitcnt vmcnt(0)
	v_cvt_f32_i32_e32 v3, v2
.LBB14_238:
	s_mov_b64 s[0:1], 0
.LBB14_239:
	s_andn2_b64 vcc, exec, s[0:1]
	s_cbranch_vccnz .LBB14_241
; %bb.240:
	global_load_sshort v2, v[0:1], off
	s_waitcnt vmcnt(0)
	v_cvt_f32_i32_e32 v3, v2
.LBB14_241:
	s_mov_b64 s[0:1], 0
.LBB14_242:
	s_andn2_b64 vcc, exec, s[0:1]
	s_cbranch_vccnz .LBB14_248
; %bb.243:
	v_cmp_lt_i16_e32 vcc, 0, v5
	s_cbranch_vccz .LBB14_245
; %bb.244:
	global_load_sbyte v2, v[0:1], off
	s_mov_b64 s[0:1], 0
	s_waitcnt vmcnt(0)
	v_cvt_f32_i32_e32 v3, v2
	s_branch .LBB14_246
.LBB14_245:
	s_mov_b64 s[0:1], -1
                                        ; implicit-def: $vgpr3
.LBB14_246:
	s_andn2_b64 vcc, exec, s[0:1]
	s_cbranch_vccnz .LBB14_248
; %bb.247:
	global_load_ubyte v0, v[0:1], off
	s_waitcnt vmcnt(0)
	v_cvt_f32_ubyte0_e32 v3, v0
.LBB14_248:
	s_branch .LBB14_11
.LBB14_249:
	s_mov_b64 s[2:3], 0
                                        ; implicit-def: $vgpr4
	s_mov_b64 s[0:1], 0
.LBB14_250:
	s_and_b64 s[16:17], s[2:3], exec
	s_and_b64 s[18:19], s[18:19], exec
	s_orn2_b64 s[2:3], s[0:1], exec
.LBB14_251:
	s_or_b64 exec, exec, s[20:21]
	s_mov_b64 s[26:27], 0
	s_mov_b64 s[0:1], 0
                                        ; implicit-def: $vgpr0_vgpr1
                                        ; implicit-def: $vgpr3
	s_and_saveexec_b64 s[20:21], s[2:3]
	s_cbranch_execz .LBB14_260
; %bb.252:
	v_cmp_gt_i32_e32 vcc, s40, v4
	s_mov_b64 s[0:1], -1
	s_mov_b64 s[22:23], s[18:19]
	s_mov_b64 s[24:25], s[16:17]
	s_and_saveexec_b64 s[26:27], vcc
	s_cbranch_execz .LBB14_512
; %bb.253:
	v_mul_lo_u32 v0, v4, s13
	v_ashrrev_i32_e32 v1, 31, v0
	v_mov_b32_e32 v2, s11
	v_add_co_u32_e32 v0, vcc, s10, v0
	v_addc_co_u32_e32 v1, vcc, v2, v1, vcc
	v_cmp_gt_i16_e32 vcc, 11, v5
	s_cbranch_vccnz .LBB14_263
; %bb.254:
	v_cmp_lt_i16_e32 vcc, 25, v5
	s_cbranch_vccz .LBB14_272
; %bb.255:
	v_cmp_lt_i16_e32 vcc, 28, v5
	s_cbranch_vccz .LBB14_274
	;; [unrolled: 3-line block ×4, first 2 shown]
; %bb.258:
	v_cmp_eq_u16_e32 vcc, 46, v5
	s_mov_b64 s[2:3], 0
	s_cbranch_vccz .LBB14_284
; %bb.259:
	global_load_dword v2, v[0:1], off
	s_mov_b64 s[22:23], 0
	s_waitcnt vmcnt(0)
	v_lshlrev_b32_e32 v3, 16, v2
	s_branch .LBB14_285
.LBB14_260:
	s_or_b64 exec, exec, s[20:21]
	s_mov_b64 s[20:21], 0
	s_and_saveexec_b64 s[2:3], s[18:19]
	s_cbranch_execnz .LBB14_858
.LBB14_261:
	s_or_b64 exec, exec, s[2:3]
	s_and_saveexec_b64 s[2:3], s[24:25]
	s_xor_b64 s[2:3], exec, s[2:3]
	s_cbranch_execz .LBB14_859
.LBB14_262:
	global_load_ubyte v2, v[0:1], off
	s_or_b64 s[0:1], s[0:1], exec
	s_waitcnt vmcnt(0)
	v_cmp_ne_u16_e32 vcc, 0, v2
	v_cndmask_b32_e64 v3, 0, 1.0, vcc
	s_or_b64 exec, exec, s[2:3]
	s_and_saveexec_b64 s[2:3], s[26:27]
	s_cbranch_execz .LBB14_905
	s_branch .LBB14_860
.LBB14_263:
	s_mov_b64 s[0:1], 0
                                        ; implicit-def: $vgpr3
	s_mov_b64 s[22:23], s[18:19]
	s_cbranch_execnz .LBB14_462
.LBB14_264:
	s_andn2_b64 vcc, exec, s[0:1]
	s_cbranch_vccnz .LBB14_510
.LBB14_265:
	s_waitcnt vmcnt(0)
	v_cmp_nge_f32_e64 s[0:1], v3, -s14
	v_cmp_nge_f32_e32 vcc, s14, v3
	v_mul_lo_u32 v0, v4, s12
	s_or_b64 s[0:1], s[0:1], vcc
	v_ashrrev_i32_e32 v1, 31, v0
	v_mov_b32_e32 v6, s9
	v_add_co_u32_e32 v0, vcc, s8, v0
	v_addc_co_u32_e32 v1, vcc, v6, v1, vcc
	v_mov_b32_e32 v6, 11
	v_cmp_lt_i16_sdwa s[2:3], s33, v6 src0_sel:BYTE_0 src1_sel:DWORD
	v_cndmask_b32_e64 v2, 0, v3, s[0:1]
	s_and_b64 vcc, exec, s[2:3]
	s_cbranch_vccnz .LBB14_273
; %bb.266:
	v_mov_b32_e32 v6, 25
	v_cmp_gt_i16_sdwa s[2:3], s33, v6 src0_sel:BYTE_0 src1_sel:DWORD
	s_and_b64 vcc, exec, s[2:3]
	s_cbranch_vccz .LBB14_275
; %bb.267:
	v_mov_b32_e32 v6, 28
	v_cmp_gt_i16_sdwa s[2:3], s33, v6 src0_sel:BYTE_0 src1_sel:DWORD
	s_and_b64 vcc, exec, s[2:3]
	s_cbranch_vccz .LBB14_277
	;; [unrolled: 5-line block ×4, first 2 shown]
; %bb.270:
	v_mov_b32_e32 v6, 46
	v_cmp_eq_u16_sdwa s[24:25], s33, v6 src0_sel:BYTE_0 src1_sel:DWORD
	s_mov_b64 s[28:29], 0
	s_mov_b64 s[2:3], -1
	s_and_b64 vcc, exec, s[24:25]
	s_mov_b64 s[24:25], 0
	s_cbranch_vccz .LBB14_289
; %bb.271:
	v_bfe_u32 v6, v2, 16, 1
	s_movk_i32 s2, 0x7fff
	v_add3_u32 v6, v2, v6, s2
	v_lshrrev_b32_e32 v6, 16, v6
	v_mov_b32_e32 v7, 0x7fc0
	v_cmp_o_f32_e32 vcc, v2, v2
	v_cndmask_b32_e32 v6, v7, v6, vcc
	global_store_dword v[0:1], v6, off
	s_mov_b64 s[24:25], -1
	s_mov_b64 s[2:3], 0
	s_branch .LBB14_289
.LBB14_272:
	s_mov_b64 s[2:3], -1
	s_mov_b64 s[0:1], 0
	s_mov_b64 s[22:23], s[18:19]
                                        ; implicit-def: $vgpr3
	s_branch .LBB14_426
.LBB14_273:
	s_mov_b64 s[0:1], -1
	s_mov_b64 s[24:25], 0
	s_mov_b64 s[2:3], s[16:17]
	s_branch .LBB14_358
.LBB14_274:
	s_mov_b64 s[2:3], -1
	s_mov_b64 s[0:1], 0
	s_mov_b64 s[22:23], s[18:19]
                                        ; implicit-def: $vgpr3
	s_branch .LBB14_407
.LBB14_275:
	s_mov_b64 s[28:29], -1
	s_mov_b64 s[24:25], 0
	s_mov_b64 s[2:3], s[16:17]
	s_branch .LBB14_316
.LBB14_276:
	s_mov_b64 s[2:3], -1
	s_mov_b64 s[0:1], 0
	s_mov_b64 s[22:23], s[18:19]
                                        ; implicit-def: $vgpr3
	s_branch .LBB14_402
.LBB14_277:
	s_mov_b64 s[28:29], -1
	s_mov_b64 s[24:25], 0
	s_mov_b64 s[2:3], s[16:17]
	s_branch .LBB14_299
.LBB14_278:
	s_or_saveexec_b64 s[26:27], s[26:27]
                                        ; implicit-def: $sgpr15
	s_xor_b64 exec, exec, s[26:27]
	s_cbranch_execz .LBB14_54
.LBB14_279:
	v_add_f32_e32 v6, 0x46000000, v7
	v_and_b32_e32 v6, 0xff, v6
	v_cmp_ne_u32_e32 vcc, 0, v6
	s_andn2_b64 s[22:23], s[22:23], exec
	s_and_b64 s[28:29], vcc, exec
	s_mov_b32 s15, 0
	s_or_b64 s[22:23], s[22:23], s[28:29]
	s_or_b64 exec, exec, s[26:27]
	v_mov_b32_e32 v8, s15
	s_and_saveexec_b64 s[26:27], s[22:23]
	s_cbranch_execnz .LBB14_55
	s_branch .LBB14_56
.LBB14_280:
	s_mov_b64 s[2:3], -1
	s_mov_b64 s[0:1], 0
	s_mov_b64 s[22:23], s[18:19]
                                        ; implicit-def: $vgpr3
	s_branch .LBB14_285
.LBB14_281:
	s_mov_b64 s[28:29], -1
	s_mov_b64 s[24:25], 0
	s_mov_b64 s[2:3], s[16:17]
	s_branch .LBB14_295
.LBB14_282:
	s_or_saveexec_b64 s[26:27], s[26:27]
                                        ; implicit-def: $sgpr15
	s_xor_b64 exec, exec, s[26:27]
	s_cbranch_execz .LBB14_67
.LBB14_283:
	v_add_f32_e32 v6, 0x42800000, v7
	v_and_b32_e32 v6, 0xff, v6
	v_cmp_ne_u32_e32 vcc, 0, v6
	s_andn2_b64 s[22:23], s[22:23], exec
	s_and_b64 s[28:29], vcc, exec
	s_mov_b32 s15, 0
	s_or_b64 s[22:23], s[22:23], s[28:29]
	s_or_b64 exec, exec, s[26:27]
	v_mov_b32_e32 v8, s15
	s_and_saveexec_b64 s[26:27], s[22:23]
	s_cbranch_execnz .LBB14_68
	s_branch .LBB14_69
.LBB14_284:
	s_mov_b64 s[22:23], -1
                                        ; implicit-def: $vgpr3
	s_mov_b64 s[0:1], 0
.LBB14_285:
	s_and_b64 vcc, exec, s[2:3]
	s_cbranch_vccz .LBB14_401
; %bb.286:
	v_cmp_eq_u16_e32 vcc, 44, v5
	s_cbranch_vccz .LBB14_400
; %bb.287:
	global_load_ubyte v2, v[0:1], off
	s_movk_i32 s2, 0xff
	s_waitcnt vmcnt(1)
	v_mov_b32_e32 v3, 0x7f800001
	v_mov_b32_e32 v6, 0x400000
	s_mov_b64 s[0:1], -1
	s_mov_b64 s[22:23], 0
	s_waitcnt vmcnt(0)
	v_lshlrev_b32_e32 v7, 23, v2
	v_cmp_ne_u32_e32 vcc, s2, v2
	v_cndmask_b32_e32 v3, v3, v7, vcc
	v_cmp_ne_u32_e32 vcc, 0, v2
	v_cndmask_b32_e32 v3, v6, v3, vcc
	s_branch .LBB14_401
.LBB14_288:
	s_mov_b64 s[28:29], -1
	s_mov_b64 s[24:25], 0
	s_mov_b64 s[2:3], s[16:17]
.LBB14_289:
	s_and_b64 vcc, exec, s[28:29]
	s_cbranch_vccz .LBB14_294
; %bb.290:
	v_mov_b32_e32 v6, 44
	v_cmp_eq_u16_sdwa s[28:29], s33, v6 src0_sel:BYTE_0 src1_sel:DWORD
	s_mov_b64 s[2:3], -1
	s_and_b64 vcc, exec, s[28:29]
	s_cbranch_vccz .LBB14_294
; %bb.291:
	v_bfe_u32 v6, v2, 23, 8
	s_movk_i32 s2, 0xff
	v_cmp_ne_u32_e32 vcc, s2, v6
	v_mov_b32_e32 v7, 0xff
	s_and_saveexec_b64 s[24:25], vcc
; %bb.292:
	s_mov_b32 s2, 0x3fffff
	v_and_b32_e32 v8, 0x400000, v2
	v_and_or_b32 v6, v2, s2, v6
	v_cmp_ne_u32_e32 vcc, 0, v8
	v_cmp_ne_u32_e64 s[2:3], 0, v6
	s_and_b64 s[2:3], vcc, s[2:3]
	v_lshrrev_b32_e32 v7, 23, v2
	v_cndmask_b32_e64 v6, 0, 1, s[2:3]
	v_add_u32_e32 v7, v7, v6
; %bb.293:
	s_or_b64 exec, exec, s[24:25]
	s_mov_b64 s[24:25], -1
	s_mov_b64 s[2:3], 0
	global_store_byte v[0:1], v7, off
.LBB14_294:
	s_mov_b64 s[28:29], 0
.LBB14_295:
	s_and_b64 vcc, exec, s[28:29]
	s_cbranch_vccz .LBB14_298
; %bb.296:
	v_mov_b32_e32 v6, 29
	v_cmp_eq_u16_sdwa s[28:29], s33, v6 src0_sel:BYTE_0 src1_sel:DWORD
	s_mov_b64 s[2:3], -1
	s_and_b64 vcc, exec, s[28:29]
	s_cbranch_vccz .LBB14_298
; %bb.297:
	v_trunc_f32_e32 v6, v2
	v_mul_f32_e32 v7, 0x2f800000, v6
	v_floor_f32_e32 v8, v7
	v_fmac_f32_e32 v6, 0xcf800000, v8
	v_cvt_u32_f32_e32 v7, v8
	v_cvt_u32_f32_e32 v6, v6
	s_mov_b64 s[24:25], -1
	s_mov_b64 s[2:3], 0
	s_mov_b64 s[28:29], 0
	global_store_dwordx2 v[0:1], v[6:7], off
	s_branch .LBB14_299
.LBB14_298:
	s_mov_b64 s[28:29], 0
.LBB14_299:
	s_and_b64 vcc, exec, s[28:29]
	s_cbranch_vccz .LBB14_315
; %bb.300:
	v_mov_b32_e32 v6, 27
	v_cmp_lt_i16_sdwa s[28:29], s33, v6 src0_sel:BYTE_0 src1_sel:DWORD
	s_mov_b64 s[24:25], -1
	s_and_b64 vcc, exec, s[28:29]
	s_cbranch_vccnz .LBB14_306
; %bb.301:
	v_cmp_gt_i16_sdwa s[28:29], s33, v6 src0_sel:BYTE_0 src1_sel:DWORD
	v_cvt_u32_f32_e32 v6, v2
	s_and_b64 vcc, exec, s[28:29]
	s_cbranch_vccz .LBB14_303
; %bb.302:
	s_mov_b64 s[24:25], 0
	global_store_dword v[0:1], v6, off
.LBB14_303:
	s_andn2_b64 vcc, exec, s[24:25]
	s_cbranch_vccnz .LBB14_305
; %bb.304:
	global_store_short v[0:1], v6, off
.LBB14_305:
	s_mov_b64 s[24:25], 0
.LBB14_306:
	s_andn2_b64 vcc, exec, s[24:25]
	s_cbranch_vccnz .LBB14_314
; %bb.307:
	v_cndmask_b32_e64 v7, 0, |v3|, s[0:1]
	s_mov_b32 s15, 0x43800000
	v_cmp_gt_u32_e32 vcc, s15, v7
	v_mov_b32_e32 v8, 0x80
	s_and_saveexec_b64 s[24:25], vcc
	s_cbranch_execz .LBB14_313
; %bb.308:
	s_mov_b32 s15, 0x3bffffff
	v_cmp_lt_u32_e32 vcc, s15, v7
	s_mov_b64 s[28:29], 0
                                        ; implicit-def: $vgpr6
	s_and_saveexec_b64 s[30:31], vcc
	s_xor_b64 s[30:31], exec, s[30:31]
	s_cbranch_execz .LBB14_525
; %bb.309:
	v_bfe_u32 v6, v2, 20, 1
	s_mov_b32 s15, 0x487ffff
	v_add3_u32 v6, v2, v6, s15
	s_mov_b64 s[28:29], exec
	v_lshrrev_b32_e32 v6, 20, v6
                                        ; implicit-def: $vgpr7
	s_or_saveexec_b64 s[30:31], s[30:31]
                                        ; implicit-def: $sgpr15
	s_xor_b64 exec, exec, s[30:31]
	s_cbranch_execnz .LBB14_526
.LBB14_310:
	s_or_b64 exec, exec, s[30:31]
	v_mov_b32_e32 v8, s15
	s_and_saveexec_b64 s[30:31], s[28:29]
.LBB14_311:
	v_lshrrev_b32_e32 v7, 24, v2
	s_movk_i32 s15, 0x80
	v_and_or_b32 v8, v7, s15, v6
.LBB14_312:
	s_or_b64 exec, exec, s[30:31]
.LBB14_313:
	s_or_b64 exec, exec, s[24:25]
	global_store_byte v[0:1], v8, off
.LBB14_314:
	s_mov_b64 s[24:25], -1
.LBB14_315:
	s_mov_b64 s[28:29], 0
.LBB14_316:
	s_and_b64 vcc, exec, s[28:29]
	s_cbranch_vccz .LBB14_357
; %bb.317:
	v_mov_b32_e32 v6, 22
	v_cmp_gt_i16_sdwa s[30:31], s33, v6 src0_sel:BYTE_0 src1_sel:DWORD
	s_mov_b64 s[28:29], -1
	s_and_b64 vcc, exec, s[30:31]
	s_cbranch_vccz .LBB14_349
; %bb.318:
	v_mov_b32_e32 v6, 24
	v_cmp_lt_i16_sdwa s[28:29], s33, v6 src0_sel:BYTE_0 src1_sel:DWORD
	s_mov_b64 s[24:25], -1
	s_and_b64 vcc, exec, s[28:29]
	s_cbranch_vccnz .LBB14_338
; %bb.319:
	v_cmp_gt_i16_sdwa s[28:29], s33, v6 src0_sel:BYTE_0 src1_sel:DWORD
	s_and_b64 vcc, exec, s[28:29]
	s_cbranch_vccz .LBB14_327
; %bb.320:
	v_cndmask_b32_e64 v7, 0, |v3|, s[0:1]
	s_mov_b32 s15, 0x47800000
	v_cmp_gt_u32_e32 vcc, s15, v7
	v_mov_b32_e32 v8, 0x80
	s_and_saveexec_b64 s[24:25], vcc
	s_cbranch_execz .LBB14_326
; %bb.321:
	s_mov_b32 s15, 0x37ffffff
	v_cmp_lt_u32_e32 vcc, s15, v7
	s_mov_b64 s[28:29], 0
                                        ; implicit-def: $vgpr6
	s_and_saveexec_b64 s[30:31], vcc
	s_xor_b64 s[30:31], exec, s[30:31]
	s_cbranch_execz .LBB14_528
; %bb.322:
	v_bfe_u32 v6, v2, 21, 1
	s_mov_b32 s15, 0x88fffff
	v_add3_u32 v6, v2, v6, s15
	s_mov_b64 s[28:29], exec
	v_lshrrev_b32_e32 v6, 21, v6
                                        ; implicit-def: $vgpr7
	s_or_saveexec_b64 s[30:31], s[30:31]
                                        ; implicit-def: $sgpr15
	s_xor_b64 exec, exec, s[30:31]
	s_cbranch_execnz .LBB14_529
.LBB14_323:
	s_or_b64 exec, exec, s[30:31]
	v_mov_b32_e32 v8, s15
	s_and_saveexec_b64 s[30:31], s[28:29]
.LBB14_324:
	v_lshrrev_b32_e32 v7, 24, v2
	s_movk_i32 s15, 0x80
	v_and_or_b32 v8, v7, s15, v6
.LBB14_325:
	s_or_b64 exec, exec, s[30:31]
.LBB14_326:
	s_or_b64 exec, exec, s[24:25]
	s_mov_b64 s[24:25], 0
	global_store_byte v[0:1], v8, off
.LBB14_327:
	s_and_b64 vcc, exec, s[24:25]
	s_cbranch_vccz .LBB14_337
; %bb.328:
	v_cndmask_b32_e64 v7, 0, |v3|, s[0:1]
	s_mov_b32 s15, 0x43f00000
	v_cmp_gt_u32_e32 vcc, s15, v7
                                        ; implicit-def: $vgpr6
	s_and_saveexec_b64 s[24:25], vcc
	s_xor_b64 s[24:25], exec, s[24:25]
	s_cbranch_execz .LBB14_334
; %bb.329:
	s_mov_b32 s15, 0x3c7fffff
	v_cmp_lt_u32_e32 vcc, s15, v7
                                        ; implicit-def: $vgpr6
	s_and_saveexec_b64 s[28:29], vcc
	s_xor_b64 s[28:29], exec, s[28:29]
; %bb.330:
	v_bfe_u32 v6, v2, 20, 1
	s_mov_b32 s15, 0x407ffff
	v_add3_u32 v6, v2, v6, s15
	v_lshrrev_b32_e32 v7, 20, v6
	v_and_b32_e32 v6, 0xff00000, v6
	s_mov_b32 s15, 0x7f00000
	v_mov_b32_e32 v8, 0x7e
	v_cmp_ne_u32_e32 vcc, s15, v6
	v_cndmask_b32_e32 v6, v8, v7, vcc
                                        ; implicit-def: $vgpr7
; %bb.331:
	s_andn2_saveexec_b64 s[28:29], s[28:29]
; %bb.332:
	v_add_f32_e32 v6, 0x46800000, v7
; %bb.333:
	s_or_b64 exec, exec, s[28:29]
                                        ; implicit-def: $vgpr7
.LBB14_334:
	s_andn2_saveexec_b64 s[24:25], s[24:25]
; %bb.335:
	s_mov_b32 s15, 0x7f800000
	v_mov_b32_e32 v6, 0x7e
	v_mov_b32_e32 v8, 0x7f
	v_cmp_lt_u32_e32 vcc, s15, v7
	v_cndmask_b32_e32 v6, v6, v8, vcc
; %bb.336:
	s_or_b64 exec, exec, s[24:25]
	v_lshrrev_b32_e32 v7, 24, v2
	s_movk_i32 s15, 0x80
	v_and_or_b32 v6, v7, s15, v6
	global_store_byte v[0:1], v6, off
.LBB14_337:
	s_mov_b64 s[24:25], 0
.LBB14_338:
	s_andn2_b64 vcc, exec, s[24:25]
	s_cbranch_vccnz .LBB14_348
; %bb.339:
	v_cndmask_b32_e64 v6, 0, |v3|, s[0:1]
	s_mov_b32 s0, 0x47800000
	v_cmp_gt_u32_e32 vcc, s0, v6
                                        ; implicit-def: $vgpr3
	s_and_saveexec_b64 s[0:1], vcc
	s_xor_b64 s[0:1], exec, s[0:1]
	s_cbranch_execz .LBB14_345
; %bb.340:
	s_mov_b32 s15, 0x387fffff
	v_cmp_lt_u32_e32 vcc, s15, v6
                                        ; implicit-def: $vgpr3
	s_and_saveexec_b64 s[24:25], vcc
	s_xor_b64 s[24:25], exec, s[24:25]
; %bb.341:
	v_bfe_u32 v3, v2, 21, 1
	s_mov_b32 s15, 0x80fffff
	v_add3_u32 v3, v2, v3, s15
	v_lshrrev_b32_e32 v3, 21, v3
                                        ; implicit-def: $vgpr6
; %bb.342:
	s_andn2_saveexec_b64 s[24:25], s[24:25]
; %bb.343:
	v_add_f32_e32 v3, 0x43000000, v6
; %bb.344:
	s_or_b64 exec, exec, s[24:25]
                                        ; implicit-def: $vgpr6
.LBB14_345:
	s_andn2_saveexec_b64 s[0:1], s[0:1]
; %bb.346:
	s_mov_b32 s15, 0x7f800000
	v_mov_b32_e32 v3, 0x7c
	v_mov_b32_e32 v7, 0x7f
	v_cmp_lt_u32_e32 vcc, s15, v6
	v_cndmask_b32_e32 v3, v3, v7, vcc
; %bb.347:
	s_or_b64 exec, exec, s[0:1]
	v_lshrrev_b32_e32 v6, 24, v2
	s_movk_i32 s0, 0x80
	v_and_or_b32 v3, v6, s0, v3
	global_store_byte v[0:1], v3, off
.LBB14_348:
	s_mov_b64 s[28:29], 0
	s_mov_b64 s[24:25], -1
.LBB14_349:
	s_andn2_b64 vcc, exec, s[28:29]
	s_cbranch_vccnz .LBB14_357
; %bb.350:
	v_mov_b32_e32 v3, 14
	v_cmp_gt_i16_sdwa s[28:29], s33, v3 src0_sel:BYTE_0 src1_sel:DWORD
	s_mov_b64 s[0:1], -1
	s_and_b64 vcc, exec, s[28:29]
	s_cbranch_vccz .LBB14_354
; %bb.351:
	v_mov_b32_e32 v3, 15
	v_cmp_eq_u16_sdwa s[0:1], s33, v3 src0_sel:BYTE_0 src1_sel:DWORD
	s_mov_b64 s[2:3], -1
	s_and_b64 vcc, exec, s[0:1]
	s_cbranch_vccz .LBB14_353
; %bb.352:
	v_bfe_u32 v3, v2, 16, 1
	s_movk_i32 s0, 0x7fff
	v_add3_u32 v3, v2, v3, s0
	v_lshrrev_b32_e32 v3, 16, v3
	v_mov_b32_e32 v6, 0x7fc0
	v_cmp_o_f32_e32 vcc, v2, v2
	v_cndmask_b32_e32 v3, v6, v3, vcc
	global_store_short v[0:1], v3, off
	s_mov_b64 s[24:25], -1
	s_mov_b64 s[2:3], 0
.LBB14_353:
	s_mov_b64 s[0:1], 0
.LBB14_354:
	s_and_b64 vcc, exec, s[0:1]
	s_cbranch_vccz .LBB14_357
; %bb.355:
	v_mov_b32_e32 v3, 11
	v_cmp_eq_u16_sdwa s[0:1], s33, v3 src0_sel:BYTE_0 src1_sel:DWORD
	s_mov_b64 s[2:3], -1
	s_and_b64 vcc, exec, s[0:1]
	s_cbranch_vccz .LBB14_357
; %bb.356:
	v_cmp_neq_f32_e32 vcc, 0, v2
	v_cndmask_b32_e64 v3, 0, 1, vcc
	s_mov_b64 s[24:25], -1
	s_mov_b64 s[2:3], 0
	global_store_byte v[0:1], v3, off
.LBB14_357:
	s_mov_b64 s[0:1], 0
.LBB14_358:
	s_and_b64 vcc, exec, s[0:1]
	s_cbranch_vccz .LBB14_397
; %bb.359:
	v_mov_b32_e32 v3, 5
	v_cmp_lt_i16_sdwa s[24:25], s33, v3 src0_sel:BYTE_0 src1_sel:DWORD
	s_mov_b64 s[0:1], -1
	s_and_b64 vcc, exec, s[24:25]
	s_cbranch_vccnz .LBB14_380
; %bb.360:
	v_mov_b32_e32 v3, 8
	v_cmp_lt_i16_sdwa s[24:25], s33, v3 src0_sel:BYTE_0 src1_sel:DWORD
	s_and_b64 vcc, exec, s[24:25]
	s_cbranch_vccnz .LBB14_370
; %bb.361:
	v_mov_b32_e32 v3, 9
	v_cmp_lt_i16_sdwa s[24:25], s33, v3 src0_sel:BYTE_0 src1_sel:DWORD
	s_and_b64 vcc, exec, s[24:25]
	s_cbranch_vccnz .LBB14_367
; %bb.362:
	v_cmp_gt_i16_sdwa s[24:25], s33, v3 src0_sel:BYTE_0 src1_sel:DWORD
	s_and_b64 vcc, exec, s[24:25]
	s_cbranch_vccz .LBB14_364
; %bb.363:
	v_mov_b32_e32 v8, 0
	v_cvt_f64_f32_e32 v[6:7], v2
	v_mov_b32_e32 v9, v8
	s_mov_b64 s[0:1], 0
	global_store_dwordx4 v[0:1], v[6:9], off
.LBB14_364:
	s_andn2_b64 vcc, exec, s[0:1]
	s_cbranch_vccnz .LBB14_366
; %bb.365:
	v_mov_b32_e32 v3, 0
	global_store_dwordx2 v[0:1], v[2:3], off
.LBB14_366:
	s_mov_b64 s[0:1], 0
.LBB14_367:
	s_andn2_b64 vcc, exec, s[0:1]
	s_cbranch_vccnz .LBB14_369
; %bb.368:
	v_cvt_f16_f32_e32 v3, v2
	global_store_dword v[0:1], v3, off
.LBB14_369:
	s_mov_b64 s[0:1], 0
.LBB14_370:
	s_andn2_b64 vcc, exec, s[0:1]
	s_cbranch_vccnz .LBB14_379
; %bb.371:
	v_mov_b32_e32 v3, 6
	v_cmp_lt_i16_sdwa s[24:25], s33, v3 src0_sel:BYTE_0 src1_sel:DWORD
	s_mov_b64 s[0:1], -1
	s_and_b64 vcc, exec, s[24:25]
	s_cbranch_vccnz .LBB14_377
; %bb.372:
	v_cmp_gt_i16_sdwa s[24:25], s33, v3 src0_sel:BYTE_0 src1_sel:DWORD
	s_and_b64 vcc, exec, s[24:25]
	s_cbranch_vccz .LBB14_374
; %bb.373:
	v_cvt_f64_f32_e32 v[6:7], v2
	s_mov_b64 s[0:1], 0
	global_store_dwordx2 v[0:1], v[6:7], off
.LBB14_374:
	s_andn2_b64 vcc, exec, s[0:1]
	s_cbranch_vccnz .LBB14_376
; %bb.375:
	global_store_dword v[0:1], v2, off
.LBB14_376:
	s_mov_b64 s[0:1], 0
.LBB14_377:
	s_andn2_b64 vcc, exec, s[0:1]
	s_cbranch_vccnz .LBB14_379
; %bb.378:
	v_cvt_f16_f32_e32 v3, v2
	global_store_short v[0:1], v3, off
.LBB14_379:
	s_mov_b64 s[0:1], 0
.LBB14_380:
	s_andn2_b64 vcc, exec, s[0:1]
	s_cbranch_vccnz .LBB14_396
; %bb.381:
	v_mov_b32_e32 v3, 2
	v_cmp_lt_i16_sdwa s[24:25], s33, v3 src0_sel:BYTE_0 src1_sel:DWORD
	s_mov_b64 s[0:1], -1
	s_and_b64 vcc, exec, s[24:25]
	s_cbranch_vccnz .LBB14_391
; %bb.382:
	v_mov_b32_e32 v3, 3
	v_cmp_lt_i16_sdwa s[24:25], s33, v3 src0_sel:BYTE_0 src1_sel:DWORD
	s_and_b64 vcc, exec, s[24:25]
	s_cbranch_vccnz .LBB14_388
; %bb.383:
	v_cmp_gt_i16_sdwa s[24:25], s33, v3 src0_sel:BYTE_0 src1_sel:DWORD
	s_and_b64 vcc, exec, s[24:25]
	s_cbranch_vccz .LBB14_385
; %bb.384:
	v_trunc_f32_e32 v3, v2
	s_mov_b32 s0, 0x2f800000
	v_mul_f32_e64 v6, |v3|, s0
	v_floor_f32_e32 v6, v6
	s_mov_b32 s0, 0xcf800000
	v_cvt_u32_f32_e32 v7, v6
	v_fma_f32 v6, v6, s0, |v3|
	v_cvt_u32_f32_e32 v6, v6
	v_ashrrev_i32_e32 v3, 31, v3
	v_xor_b32_e32 v7, v7, v3
	s_mov_b64 s[0:1], 0
	v_xor_b32_e32 v6, v6, v3
	v_sub_co_u32_e32 v6, vcc, v6, v3
	v_subb_co_u32_e32 v7, vcc, v7, v3, vcc
	global_store_dwordx2 v[0:1], v[6:7], off
.LBB14_385:
	s_andn2_b64 vcc, exec, s[0:1]
	s_cbranch_vccnz .LBB14_387
; %bb.386:
	v_cvt_i32_f32_e32 v3, v2
	global_store_dword v[0:1], v3, off
.LBB14_387:
	s_mov_b64 s[0:1], 0
.LBB14_388:
	s_andn2_b64 vcc, exec, s[0:1]
	s_cbranch_vccnz .LBB14_390
; %bb.389:
	v_cvt_i32_f32_e32 v3, v2
	global_store_short v[0:1], v3, off
.LBB14_390:
	s_mov_b64 s[0:1], 0
.LBB14_391:
	s_andn2_b64 vcc, exec, s[0:1]
	s_cbranch_vccnz .LBB14_396
; %bb.392:
	v_mov_b32_e32 v3, 0
	v_cmp_gt_i16_sdwa s[24:25], s33, v3 src0_sel:BYTE_0 src1_sel:DWORD
	s_mov_b64 s[0:1], -1
	s_and_b64 vcc, exec, s[24:25]
	s_cbranch_vccz .LBB14_394
; %bb.393:
	v_cvt_i32_f32_e32 v3, v2
	s_mov_b64 s[0:1], 0
	global_store_byte v[0:1], v3, off
.LBB14_394:
	s_andn2_b64 vcc, exec, s[0:1]
	s_cbranch_vccnz .LBB14_396
; %bb.395:
	v_trunc_f32_e32 v2, v2
	s_mov_b32 s0, 0x2f800000
	v_mul_f32_e64 v3, |v2|, s0
	v_floor_f32_e32 v3, v3
	s_mov_b32 s0, 0xcf800000
	v_fma_f32 v3, v3, s0, |v2|
	v_cvt_u32_f32_e32 v3, v3
	v_ashrrev_i32_e32 v2, 31, v2
	v_xor_b32_e32 v3, v3, v2
	v_sub_u32_e32 v2, v3, v2
	global_store_byte v[0:1], v2, off
.LBB14_396:
	s_mov_b64 s[24:25], -1
.LBB14_397:
	s_andn2_b64 vcc, exec, s[24:25]
	s_cbranch_vccnz .LBB14_399
; %bb.398:
	v_add_u32_e32 v4, 0x80, v4
	s_mov_b64 s[0:1], -1
	s_branch .LBB14_511
.LBB14_399:
	s_mov_b64 s[0:1], 0
                                        ; implicit-def: $vgpr4
	s_branch .LBB14_511
.LBB14_400:
	s_mov_b64 s[22:23], -1
                                        ; implicit-def: $vgpr3
.LBB14_401:
	s_mov_b64 s[2:3], 0
.LBB14_402:
	s_and_b64 vcc, exec, s[2:3]
	s_cbranch_vccz .LBB14_406
; %bb.403:
	v_cmp_eq_u16_e32 vcc, 29, v5
	s_cbranch_vccz .LBB14_405
; %bb.404:
	global_load_dwordx2 v[2:3], v[0:1], off
	s_mov_b64 s[0:1], -1
	s_mov_b64 s[22:23], 0
	s_mov_b64 s[2:3], 0
	s_waitcnt vmcnt(0)
	v_ffbh_u32_e32 v6, v3
	v_min_u32_e32 v6, 32, v6
	v_lshlrev_b64 v[2:3], v6, v[2:3]
	v_min_u32_e32 v2, 1, v2
	v_or_b32_e32 v2, v3, v2
	v_cvt_f32_u32_e32 v2, v2
	v_sub_u32_e32 v3, 32, v6
	v_ldexp_f32 v3, v2, v3
	s_branch .LBB14_407
.LBB14_405:
	s_mov_b64 s[22:23], -1
                                        ; implicit-def: $vgpr3
.LBB14_406:
	s_mov_b64 s[2:3], 0
.LBB14_407:
	s_and_b64 vcc, exec, s[2:3]
	s_cbranch_vccz .LBB14_425
; %bb.408:
	v_cmp_gt_i16_e32 vcc, 27, v5
	s_cbranch_vccnz .LBB14_411
; %bb.409:
	v_cmp_lt_i16_e32 vcc, 27, v5
	s_cbranch_vccz .LBB14_412
; %bb.410:
	global_load_dword v2, v[0:1], off
	s_mov_b64 s[0:1], 0
	s_waitcnt vmcnt(0)
	v_cvt_f32_u32_e32 v3, v2
	s_branch .LBB14_413
.LBB14_411:
	s_mov_b64 s[0:1], -1
                                        ; implicit-def: $vgpr3
	s_branch .LBB14_416
.LBB14_412:
	s_mov_b64 s[0:1], -1
                                        ; implicit-def: $vgpr3
.LBB14_413:
	s_andn2_b64 vcc, exec, s[0:1]
	s_cbranch_vccnz .LBB14_415
; %bb.414:
	global_load_ushort v2, v[0:1], off
	s_waitcnt vmcnt(0)
	v_cvt_f32_u32_e32 v3, v2
.LBB14_415:
	s_mov_b64 s[0:1], 0
.LBB14_416:
	s_andn2_b64 vcc, exec, s[0:1]
	s_cbranch_vccnz .LBB14_424
; %bb.417:
	global_load_ubyte v2, v[0:1], off
	s_movk_i32 s0, 0x7f
                                        ; implicit-def: $sgpr15
	s_waitcnt vmcnt(0)
	v_cmp_lt_i16_e32 vcc, s0, v2
	s_mov_b64 s[0:1], 0
	s_and_saveexec_b64 s[2:3], vcc
	s_xor_b64 s[2:3], exec, s[2:3]
	s_cbranch_execz .LBB14_438
; %bb.418:
	s_movk_i32 s0, 0x80
	v_cmp_eq_u16_e32 vcc, s0, v2
	s_mov_b64 s[0:1], -1
                                        ; implicit-def: $sgpr15
	s_and_saveexec_b64 s[24:25], vcc
; %bb.419:
	s_mov_b32 s15, 0x7f800001
	s_xor_b64 s[0:1], exec, -1
; %bb.420:
	s_or_b64 exec, exec, s[24:25]
	s_and_b64 s[0:1], s[0:1], exec
	s_or_saveexec_b64 s[2:3], s[2:3]
	v_mov_b32_e32 v3, s15
	s_xor_b64 exec, exec, s[2:3]
	s_cbranch_execnz .LBB14_439
.LBB14_421:
	s_or_b64 exec, exec, s[2:3]
	s_and_saveexec_b64 s[2:3], s[0:1]
	s_cbranch_execz .LBB14_423
.LBB14_422:
	v_lshlrev_b32_e32 v3, 24, v2
	v_and_b32_e32 v2, 0xffff, v2
	v_and_b32_e32 v6, 7, v2
	v_ffbh_u32_e32 v8, v6
	v_min_u32_e32 v8, 32, v8
	v_subrev_u32_e32 v9, 28, v8
	v_bfe_u32 v7, v2, 3, 4
	v_lshlrev_b32_e32 v2, v9, v2
	v_sub_u32_e32 v8, 29, v8
	v_and_b32_e32 v2, 7, v2
	v_cmp_eq_u32_e32 vcc, 0, v7
	v_cndmask_b32_e32 v7, v7, v8, vcc
	v_cndmask_b32_e32 v2, v6, v2, vcc
	v_mov_b32_e32 v6, 0x3b800000
	v_lshlrev_b32_e32 v2, 20, v2
	v_and_b32_e32 v3, 0x80000000, v3
	v_lshl_add_u32 v6, v7, 23, v6
	v_or3_b32 v3, v3, v6, v2
.LBB14_423:
	s_or_b64 exec, exec, s[2:3]
.LBB14_424:
	s_mov_b64 s[0:1], -1
.LBB14_425:
	s_mov_b64 s[2:3], 0
.LBB14_426:
	s_and_b64 vcc, exec, s[2:3]
	s_cbranch_vccz .LBB14_461
; %bb.427:
	v_cmp_lt_i16_e32 vcc, 22, v5
	s_cbranch_vccz .LBB14_437
; %bb.428:
	v_cmp_gt_i16_e32 vcc, 24, v5
	s_cbranch_vccnz .LBB14_440
; %bb.429:
	v_cmp_lt_i16_e32 vcc, 24, v5
	s_cbranch_vccz .LBB14_441
; %bb.430:
	global_load_ubyte v2, v[0:1], off
	s_movk_i32 s0, 0x7f
                                        ; implicit-def: $sgpr15
	s_waitcnt vmcnt(0)
	v_cmp_lt_i16_e32 vcc, s0, v2
	s_mov_b64 s[0:1], 0
	s_and_saveexec_b64 s[2:3], vcc
	s_xor_b64 s[2:3], exec, s[2:3]
	s_cbranch_execz .LBB14_453
; %bb.431:
	s_movk_i32 s0, 0x80
	v_cmp_eq_u16_e32 vcc, s0, v2
	s_mov_b64 s[0:1], -1
                                        ; implicit-def: $sgpr15
	s_and_saveexec_b64 s[24:25], vcc
; %bb.432:
	s_mov_b32 s15, 0x7f800001
	s_xor_b64 s[0:1], exec, -1
; %bb.433:
	s_or_b64 exec, exec, s[24:25]
	s_and_b64 s[0:1], s[0:1], exec
	s_or_saveexec_b64 s[2:3], s[2:3]
	v_mov_b32_e32 v3, s15
	s_xor_b64 exec, exec, s[2:3]
	s_cbranch_execnz .LBB14_454
.LBB14_434:
	s_or_b64 exec, exec, s[2:3]
	s_and_saveexec_b64 s[2:3], s[0:1]
	s_cbranch_execz .LBB14_436
.LBB14_435:
	v_lshlrev_b32_e32 v3, 24, v2
	v_and_b32_e32 v2, 0xffff, v2
	v_and_b32_e32 v6, 3, v2
	v_ffbh_u32_e32 v8, v6
	v_min_u32_e32 v8, 32, v8
	v_subrev_u32_e32 v9, 29, v8
	v_bfe_u32 v7, v2, 2, 5
	v_lshlrev_b32_e32 v2, v9, v2
	v_sub_u32_e32 v8, 30, v8
	v_and_b32_e32 v2, 3, v2
	v_cmp_eq_u32_e32 vcc, 0, v7
	v_cndmask_b32_e32 v7, v7, v8, vcc
	v_cndmask_b32_e32 v2, v6, v2, vcc
	v_mov_b32_e32 v6, 0x37800000
	v_lshlrev_b32_e32 v2, 21, v2
	v_and_b32_e32 v3, 0x80000000, v3
	v_lshl_add_u32 v6, v7, 23, v6
	v_or3_b32 v3, v3, v6, v2
.LBB14_436:
	s_or_b64 exec, exec, s[2:3]
	s_mov_b64 s[0:1], 0
	s_branch .LBB14_442
.LBB14_437:
	s_mov_b64 s[2:3], -1
                                        ; implicit-def: $vgpr3
	s_branch .LBB14_448
.LBB14_438:
	s_or_saveexec_b64 s[2:3], s[2:3]
	v_mov_b32_e32 v3, s15
	s_xor_b64 exec, exec, s[2:3]
	s_cbranch_execz .LBB14_421
.LBB14_439:
	v_cmp_ne_u16_e32 vcc, 0, v2
	s_andn2_b64 s[0:1], s[0:1], exec
	s_and_b64 s[24:25], vcc, exec
	v_mov_b32_e32 v3, 0
	s_or_b64 s[0:1], s[0:1], s[24:25]
	s_or_b64 exec, exec, s[2:3]
	s_and_saveexec_b64 s[2:3], s[0:1]
	s_cbranch_execnz .LBB14_422
	s_branch .LBB14_423
.LBB14_440:
	s_mov_b64 s[0:1], -1
                                        ; implicit-def: $vgpr3
	s_branch .LBB14_445
.LBB14_441:
	s_mov_b64 s[0:1], -1
                                        ; implicit-def: $vgpr3
.LBB14_442:
	s_and_b64 vcc, exec, s[0:1]
	s_cbranch_vccz .LBB14_444
; %bb.443:
	global_load_ubyte v2, v[0:1], off
	s_mov_b32 s0, 0x7f800000
	s_waitcnt vmcnt(0)
	v_lshlrev_b32_e32 v2, 24, v2
	v_and_b32_e32 v3, 0x7f000000, v2
	v_ffbh_u32_e32 v6, v3
	v_min_u32_e32 v6, 32, v6
	v_sub_u32_e64 v6, v6, 4 clamp
	v_lshlrev_b32_e32 v8, v6, v3
	v_lshlrev_b32_e32 v6, 23, v6
	v_lshrrev_b32_e32 v8, 4, v8
	v_add_u32_e32 v7, 0x1000000, v3
	v_sub_u32_e32 v6, v8, v6
	v_ashrrev_i32_e32 v7, 8, v7
	v_add_u32_e32 v6, 0x3c000000, v6
	v_and_or_b32 v6, v7, s0, v6
	v_cmp_ne_u32_e32 vcc, 0, v3
	v_cndmask_b32_e32 v3, 0, v6, vcc
	s_brev_b32 s0, 1
	v_and_or_b32 v3, v2, s0, v3
.LBB14_444:
	s_mov_b64 s[0:1], 0
.LBB14_445:
	s_andn2_b64 vcc, exec, s[0:1]
	s_cbranch_vccnz .LBB14_447
; %bb.446:
	global_load_ubyte v2, v[0:1], off
	s_movk_i32 s0, 0x7f00
	s_brev_b32 s1, 16
	s_waitcnt vmcnt(0)
	v_lshlrev_b16_e32 v3, 8, v2
	v_lshlrev_b32_e32 v2, 25, v2
	v_lshrrev_b32_e32 v6, 4, v2
	v_and_or_b32 v7, v3, s0, 0.5
	v_or_b32_e32 v6, 0x70000000, v6
	v_add_f32_e32 v7, -0.5, v7
	v_mul_f32_e32 v6, 0x7800000, v6
	v_cmp_gt_u32_e32 vcc, s1, v2
	v_bfe_i32 v3, v3, 0, 16
	v_cndmask_b32_e32 v2, v6, v7, vcc
	s_brev_b32 s0, 1
	v_and_or_b32 v3, v3, s0, v2
.LBB14_447:
	s_mov_b64 s[2:3], 0
	s_mov_b64 s[0:1], -1
.LBB14_448:
	s_andn2_b64 vcc, exec, s[2:3]
	s_cbranch_vccnz .LBB14_461
; %bb.449:
	v_cmp_lt_i16_e32 vcc, 14, v5
	s_cbranch_vccz .LBB14_452
; %bb.450:
	v_cmp_eq_u16_e32 vcc, 15, v5
	s_cbranch_vccz .LBB14_455
; %bb.451:
	global_load_ushort v2, v[0:1], off
	s_mov_b64 s[0:1], -1
	s_mov_b64 s[22:23], 0
	s_waitcnt vmcnt(0)
	v_lshlrev_b32_e32 v3, 16, v2
	s_branch .LBB14_456
.LBB14_452:
	s_mov_b64 s[2:3], -1
                                        ; implicit-def: $vgpr3
	s_branch .LBB14_457
.LBB14_453:
	s_or_saveexec_b64 s[2:3], s[2:3]
	v_mov_b32_e32 v3, s15
	s_xor_b64 exec, exec, s[2:3]
	s_cbranch_execz .LBB14_434
.LBB14_454:
	v_cmp_ne_u16_e32 vcc, 0, v2
	s_andn2_b64 s[0:1], s[0:1], exec
	s_and_b64 s[24:25], vcc, exec
	v_mov_b32_e32 v3, 0
	s_or_b64 s[0:1], s[0:1], s[24:25]
	s_or_b64 exec, exec, s[2:3]
	s_and_saveexec_b64 s[2:3], s[0:1]
	s_cbranch_execnz .LBB14_435
	s_branch .LBB14_436
.LBB14_455:
	s_mov_b64 s[22:23], -1
                                        ; implicit-def: $vgpr3
.LBB14_456:
	s_mov_b64 s[2:3], 0
.LBB14_457:
	s_and_b64 vcc, exec, s[2:3]
	s_cbranch_vccz .LBB14_461
; %bb.458:
	v_cmp_eq_u16_e32 vcc, 11, v5
	s_cbranch_vccz .LBB14_460
; %bb.459:
	global_load_ubyte v2, v[0:1], off
	s_mov_b64 s[0:1], -1
	s_mov_b64 s[22:23], 0
	s_waitcnt vmcnt(0)
	v_cmp_ne_u16_e32 vcc, 0, v2
	v_cndmask_b32_e64 v3, 0, 1.0, vcc
	s_branch .LBB14_461
.LBB14_460:
	s_mov_b64 s[22:23], -1
                                        ; implicit-def: $vgpr3
.LBB14_461:
	s_branch .LBB14_264
.LBB14_462:
	v_cmp_gt_i16_e32 vcc, 5, v5
	s_cbranch_vccnz .LBB14_467
; %bb.463:
	v_cmp_gt_i16_e32 vcc, 8, v5
	s_cbranch_vccnz .LBB14_468
; %bb.464:
	v_cmp_gt_i16_e32 vcc, 9, v5
	s_cbranch_vccnz .LBB14_469
; %bb.465:
	v_cmp_lt_i16_e32 vcc, 9, v5
	s_cbranch_vccz .LBB14_470
; %bb.466:
	global_load_dwordx2 v[2:3], v[0:1], off
	s_mov_b64 s[0:1], 0
	s_waitcnt vmcnt(0)
	v_cvt_f32_f64_e32 v3, v[2:3]
	s_branch .LBB14_471
.LBB14_467:
	s_mov_b64 s[0:1], -1
                                        ; implicit-def: $vgpr3
	s_branch .LBB14_489
.LBB14_468:
	s_mov_b64 s[0:1], -1
                                        ; implicit-def: $vgpr3
	s_branch .LBB14_477
.LBB14_469:
	s_mov_b64 s[0:1], -1
                                        ; implicit-def: $vgpr3
	s_branch .LBB14_474
.LBB14_470:
	s_mov_b64 s[0:1], -1
                                        ; implicit-def: $vgpr3
.LBB14_471:
	s_andn2_b64 vcc, exec, s[0:1]
	s_cbranch_vccnz .LBB14_473
; %bb.472:
	global_load_dword v3, v[0:1], off
.LBB14_473:
	s_mov_b64 s[0:1], 0
.LBB14_474:
	s_andn2_b64 vcc, exec, s[0:1]
	s_cbranch_vccnz .LBB14_476
; %bb.475:
	global_load_dword v2, v[0:1], off
	s_waitcnt vmcnt(0)
	v_cvt_f32_f16_e32 v3, v2
.LBB14_476:
	s_mov_b64 s[0:1], 0
.LBB14_477:
	s_andn2_b64 vcc, exec, s[0:1]
	s_cbranch_vccnz .LBB14_488
; %bb.478:
	v_cmp_gt_i16_e32 vcc, 6, v5
	s_cbranch_vccnz .LBB14_481
; %bb.479:
	v_cmp_lt_i16_e32 vcc, 6, v5
	s_cbranch_vccz .LBB14_482
; %bb.480:
	global_load_dwordx2 v[2:3], v[0:1], off
	s_mov_b64 s[0:1], 0
	s_waitcnt vmcnt(0)
	v_cvt_f32_f64_e32 v3, v[2:3]
	s_branch .LBB14_483
.LBB14_481:
	s_mov_b64 s[0:1], -1
                                        ; implicit-def: $vgpr3
	s_branch .LBB14_486
.LBB14_482:
	s_mov_b64 s[0:1], -1
                                        ; implicit-def: $vgpr3
.LBB14_483:
	s_andn2_b64 vcc, exec, s[0:1]
	s_cbranch_vccnz .LBB14_485
; %bb.484:
	global_load_dword v3, v[0:1], off
.LBB14_485:
	s_mov_b64 s[0:1], 0
.LBB14_486:
	s_andn2_b64 vcc, exec, s[0:1]
	s_cbranch_vccnz .LBB14_488
; %bb.487:
	global_load_ushort v2, v[0:1], off
	s_waitcnt vmcnt(0)
	v_cvt_f32_f16_e32 v3, v2
.LBB14_488:
	s_mov_b64 s[0:1], 0
.LBB14_489:
	s_andn2_b64 vcc, exec, s[0:1]
	s_cbranch_vccnz .LBB14_509
; %bb.490:
	v_cmp_gt_i16_e32 vcc, 2, v5
	s_cbranch_vccnz .LBB14_494
; %bb.491:
	v_cmp_gt_i16_e32 vcc, 3, v5
	s_cbranch_vccnz .LBB14_495
; %bb.492:
	v_cmp_lt_i16_e32 vcc, 3, v5
	s_cbranch_vccz .LBB14_496
; %bb.493:
	global_load_dwordx2 v[2:3], v[0:1], off
	s_mov_b64 s[0:1], 0
	s_waitcnt vmcnt(0)
	v_xor_b32_e32 v7, v2, v3
	v_ffbh_i32_e32 v6, v3
	v_ashrrev_i32_e32 v7, 31, v7
	v_add_u32_e32 v6, -1, v6
	v_add_u32_e32 v7, 32, v7
	v_min_u32_e32 v6, v6, v7
	v_lshlrev_b64 v[2:3], v6, v[2:3]
	v_min_u32_e32 v2, 1, v2
	v_or_b32_e32 v2, v3, v2
	v_cvt_f32_i32_e32 v2, v2
	v_sub_u32_e32 v3, 32, v6
	v_ldexp_f32 v3, v2, v3
	s_branch .LBB14_497
.LBB14_494:
	s_mov_b64 s[0:1], -1
                                        ; implicit-def: $vgpr3
	s_branch .LBB14_503
.LBB14_495:
	s_mov_b64 s[0:1], -1
                                        ; implicit-def: $vgpr3
	s_branch .LBB14_500
.LBB14_496:
	s_mov_b64 s[0:1], -1
                                        ; implicit-def: $vgpr3
.LBB14_497:
	s_andn2_b64 vcc, exec, s[0:1]
	s_cbranch_vccnz .LBB14_499
; %bb.498:
	global_load_dword v2, v[0:1], off
	s_waitcnt vmcnt(0)
	v_cvt_f32_i32_e32 v3, v2
.LBB14_499:
	s_mov_b64 s[0:1], 0
.LBB14_500:
	s_andn2_b64 vcc, exec, s[0:1]
	s_cbranch_vccnz .LBB14_502
; %bb.501:
	global_load_sshort v2, v[0:1], off
	s_waitcnt vmcnt(0)
	v_cvt_f32_i32_e32 v3, v2
.LBB14_502:
	s_mov_b64 s[0:1], 0
.LBB14_503:
	s_andn2_b64 vcc, exec, s[0:1]
	s_cbranch_vccnz .LBB14_509
; %bb.504:
	v_cmp_lt_i16_e32 vcc, 0, v5
	s_cbranch_vccz .LBB14_506
; %bb.505:
	global_load_sbyte v2, v[0:1], off
	s_mov_b64 s[0:1], 0
	s_waitcnt vmcnt(0)
	v_cvt_f32_i32_e32 v3, v2
	s_branch .LBB14_507
.LBB14_506:
	s_mov_b64 s[0:1], -1
                                        ; implicit-def: $vgpr3
.LBB14_507:
	s_andn2_b64 vcc, exec, s[0:1]
	s_cbranch_vccnz .LBB14_509
; %bb.508:
	global_load_ubyte v0, v[0:1], off
	s_waitcnt vmcnt(0)
	v_cvt_f32_ubyte0_e32 v3, v0
.LBB14_509:
	s_branch .LBB14_265
.LBB14_510:
	s_mov_b64 s[0:1], 0
                                        ; implicit-def: $vgpr4
	s_mov_b64 s[2:3], s[16:17]
.LBB14_511:
	s_andn2_b64 s[24:25], s[16:17], exec
	s_and_b64 s[2:3], s[2:3], exec
	s_or_b64 s[24:25], s[24:25], s[2:3]
	s_andn2_b64 s[2:3], s[18:19], exec
	s_and_b64 s[22:23], s[22:23], exec
	s_or_b64 s[22:23], s[2:3], s[22:23]
	s_orn2_b64 s[0:1], s[0:1], exec
.LBB14_512:
	s_or_b64 exec, exec, s[26:27]
	s_mov_b64 s[2:3], 0
	s_mov_b64 s[28:29], 0
	;; [unrolled: 1-line block ×3, first 2 shown]
                                        ; implicit-def: $vgpr0_vgpr1
                                        ; implicit-def: $vgpr3
	s_and_saveexec_b64 s[26:27], s[0:1]
	s_cbranch_execz .LBB14_857
; %bb.513:
	v_cmp_gt_i32_e32 vcc, s40, v4
	s_mov_b64 s[36:37], -1
	s_mov_b64 s[0:1], s[22:23]
	s_mov_b64 s[2:3], s[24:25]
	s_and_saveexec_b64 s[28:29], vcc
	s_cbranch_execz .LBB14_771
; %bb.514:
	v_mul_lo_u32 v0, v4, s13
	v_ashrrev_i32_e32 v1, 31, v0
	v_mov_b32_e32 v2, s11
	v_add_co_u32_e32 v0, vcc, s10, v0
	v_addc_co_u32_e32 v1, vcc, v2, v1, vcc
	v_cmp_gt_i16_e32 vcc, 11, v5
	s_cbranch_vccnz .LBB14_521
; %bb.515:
	v_cmp_lt_i16_e32 vcc, 25, v5
	s_cbranch_vccz .LBB14_522
; %bb.516:
	v_cmp_lt_i16_e32 vcc, 28, v5
	s_cbranch_vccz .LBB14_523
	;; [unrolled: 3-line block ×4, first 2 shown]
; %bb.519:
	v_cmp_eq_u16_e32 vcc, 46, v5
	s_mov_b64 s[2:3], 0
	s_cbranch_vccz .LBB14_530
; %bb.520:
	global_load_dword v2, v[0:1], off
	s_mov_b64 s[0:1], -1
	s_waitcnt vmcnt(0)
	v_lshlrev_b32_e32 v3, 16, v2
	s_branch .LBB14_531
.LBB14_521:
	s_mov_b64 s[2:3], -1
	s_mov_b64 s[0:1], 0
                                        ; implicit-def: $vgpr3
	s_mov_b64 s[30:31], s[22:23]
	s_branch .LBB14_596
.LBB14_522:
	s_mov_b64 s[2:3], -1
	s_mov_b64 s[0:1], 0
	s_mov_b64 s[30:31], s[22:23]
                                        ; implicit-def: $vgpr3
	s_branch .LBB14_560
.LBB14_523:
	s_mov_b64 s[2:3], -1
	s_mov_b64 s[0:1], 0
	s_mov_b64 s[30:31], s[22:23]
                                        ; implicit-def: $vgpr3
	s_branch .LBB14_541
.LBB14_524:
	s_mov_b64 s[2:3], -1
	s_mov_b64 s[0:1], 0
	s_mov_b64 s[30:31], s[22:23]
                                        ; implicit-def: $vgpr3
	s_branch .LBB14_536
.LBB14_525:
	s_or_saveexec_b64 s[30:31], s[30:31]
                                        ; implicit-def: $sgpr15
	s_xor_b64 exec, exec, s[30:31]
	s_cbranch_execz .LBB14_310
.LBB14_526:
	v_add_f32_e32 v6, 0x46000000, v7
	v_and_b32_e32 v6, 0xff, v6
	v_cmp_ne_u32_e32 vcc, 0, v6
	s_andn2_b64 s[28:29], s[28:29], exec
	s_and_b64 s[34:35], vcc, exec
	s_mov_b32 s15, 0
	s_or_b64 s[28:29], s[28:29], s[34:35]
	s_or_b64 exec, exec, s[30:31]
	v_mov_b32_e32 v8, s15
	s_and_saveexec_b64 s[30:31], s[28:29]
	s_cbranch_execnz .LBB14_311
	s_branch .LBB14_312
.LBB14_527:
	s_mov_b64 s[2:3], -1
	s_mov_b64 s[0:1], 0
	s_mov_b64 s[30:31], s[22:23]
                                        ; implicit-def: $vgpr3
	s_branch .LBB14_531
.LBB14_528:
	s_or_saveexec_b64 s[30:31], s[30:31]
                                        ; implicit-def: $sgpr15
	s_xor_b64 exec, exec, s[30:31]
	s_cbranch_execz .LBB14_323
.LBB14_529:
	v_add_f32_e32 v6, 0x42800000, v7
	v_and_b32_e32 v6, 0xff, v6
	v_cmp_ne_u32_e32 vcc, 0, v6
	s_andn2_b64 s[28:29], s[28:29], exec
	s_and_b64 s[34:35], vcc, exec
	s_mov_b32 s15, 0
	s_or_b64 s[28:29], s[28:29], s[34:35]
	s_or_b64 exec, exec, s[30:31]
	v_mov_b32_e32 v8, s15
	s_and_saveexec_b64 s[30:31], s[28:29]
	s_cbranch_execnz .LBB14_324
	s_branch .LBB14_325
.LBB14_530:
	s_mov_b64 s[30:31], -1
                                        ; implicit-def: $vgpr3
	s_mov_b64 s[0:1], 0
.LBB14_531:
	s_and_b64 vcc, exec, s[2:3]
	s_cbranch_vccz .LBB14_535
; %bb.532:
	v_cmp_eq_u16_e32 vcc, 44, v5
	s_cbranch_vccz .LBB14_534
; %bb.533:
	global_load_ubyte v2, v[0:1], off
	s_movk_i32 s2, 0xff
	s_waitcnt vmcnt(1)
	v_mov_b32_e32 v3, 0x7f800001
	v_mov_b32_e32 v6, 0x400000
	s_mov_b64 s[0:1], -1
	s_mov_b64 s[30:31], 0
	s_waitcnt vmcnt(0)
	v_lshlrev_b32_e32 v7, 23, v2
	v_cmp_ne_u32_e32 vcc, s2, v2
	v_cndmask_b32_e32 v3, v3, v7, vcc
	v_cmp_ne_u32_e32 vcc, 0, v2
	v_cndmask_b32_e32 v3, v6, v3, vcc
	s_branch .LBB14_535
.LBB14_534:
	s_mov_b64 s[30:31], -1
                                        ; implicit-def: $vgpr3
.LBB14_535:
	s_mov_b64 s[2:3], 0
.LBB14_536:
	s_and_b64 vcc, exec, s[2:3]
	s_cbranch_vccz .LBB14_540
; %bb.537:
	v_cmp_eq_u16_e32 vcc, 29, v5
	s_cbranch_vccz .LBB14_539
; %bb.538:
	global_load_dwordx2 v[2:3], v[0:1], off
	s_mov_b64 s[0:1], -1
	s_mov_b64 s[30:31], 0
	s_mov_b64 s[2:3], 0
	s_waitcnt vmcnt(0)
	v_ffbh_u32_e32 v6, v3
	v_min_u32_e32 v6, 32, v6
	v_lshlrev_b64 v[2:3], v6, v[2:3]
	v_min_u32_e32 v2, 1, v2
	v_or_b32_e32 v2, v3, v2
	v_cvt_f32_u32_e32 v2, v2
	v_sub_u32_e32 v3, 32, v6
	v_ldexp_f32 v3, v2, v3
	s_branch .LBB14_541
.LBB14_539:
	s_mov_b64 s[30:31], -1
                                        ; implicit-def: $vgpr3
.LBB14_540:
	s_mov_b64 s[2:3], 0
.LBB14_541:
	s_and_b64 vcc, exec, s[2:3]
	s_cbranch_vccz .LBB14_559
; %bb.542:
	v_cmp_gt_i16_e32 vcc, 27, v5
	s_cbranch_vccnz .LBB14_545
; %bb.543:
	v_cmp_lt_i16_e32 vcc, 27, v5
	s_cbranch_vccz .LBB14_546
; %bb.544:
	global_load_dword v2, v[0:1], off
	s_mov_b64 s[0:1], 0
	s_waitcnt vmcnt(0)
	v_cvt_f32_u32_e32 v3, v2
	s_branch .LBB14_547
.LBB14_545:
	s_mov_b64 s[0:1], -1
                                        ; implicit-def: $vgpr3
	s_branch .LBB14_550
.LBB14_546:
	s_mov_b64 s[0:1], -1
                                        ; implicit-def: $vgpr3
.LBB14_547:
	s_andn2_b64 vcc, exec, s[0:1]
	s_cbranch_vccnz .LBB14_549
; %bb.548:
	global_load_ushort v2, v[0:1], off
	s_waitcnt vmcnt(0)
	v_cvt_f32_u32_e32 v3, v2
.LBB14_549:
	s_mov_b64 s[0:1], 0
.LBB14_550:
	s_andn2_b64 vcc, exec, s[0:1]
	s_cbranch_vccnz .LBB14_558
; %bb.551:
	global_load_ubyte v2, v[0:1], off
	s_movk_i32 s0, 0x7f
                                        ; implicit-def: $sgpr15
	s_waitcnt vmcnt(0)
	v_cmp_lt_i16_e32 vcc, s0, v2
	s_mov_b64 s[0:1], 0
	s_and_saveexec_b64 s[2:3], vcc
	s_xor_b64 s[2:3], exec, s[2:3]
	s_cbranch_execz .LBB14_572
; %bb.552:
	s_movk_i32 s0, 0x80
	v_cmp_eq_u16_e32 vcc, s0, v2
	s_mov_b64 s[0:1], -1
                                        ; implicit-def: $sgpr15
	s_and_saveexec_b64 s[34:35], vcc
; %bb.553:
	s_mov_b32 s15, 0x7f800001
	s_xor_b64 s[0:1], exec, -1
; %bb.554:
	s_or_b64 exec, exec, s[34:35]
	s_and_b64 s[0:1], s[0:1], exec
	s_or_saveexec_b64 s[2:3], s[2:3]
	v_mov_b32_e32 v3, s15
	s_xor_b64 exec, exec, s[2:3]
	s_cbranch_execnz .LBB14_573
.LBB14_555:
	s_or_b64 exec, exec, s[2:3]
	s_and_saveexec_b64 s[2:3], s[0:1]
	s_cbranch_execz .LBB14_557
.LBB14_556:
	v_lshlrev_b32_e32 v3, 24, v2
	v_and_b32_e32 v2, 0xffff, v2
	v_and_b32_e32 v6, 7, v2
	v_ffbh_u32_e32 v8, v6
	v_min_u32_e32 v8, 32, v8
	v_subrev_u32_e32 v9, 28, v8
	v_bfe_u32 v7, v2, 3, 4
	v_lshlrev_b32_e32 v2, v9, v2
	v_sub_u32_e32 v8, 29, v8
	v_and_b32_e32 v2, 7, v2
	v_cmp_eq_u32_e32 vcc, 0, v7
	v_cndmask_b32_e32 v7, v7, v8, vcc
	v_cndmask_b32_e32 v2, v6, v2, vcc
	v_mov_b32_e32 v6, 0x3b800000
	v_lshlrev_b32_e32 v2, 20, v2
	v_and_b32_e32 v3, 0x80000000, v3
	v_lshl_add_u32 v6, v7, 23, v6
	v_or3_b32 v3, v3, v6, v2
.LBB14_557:
	s_or_b64 exec, exec, s[2:3]
.LBB14_558:
	s_mov_b64 s[0:1], -1
.LBB14_559:
	s_mov_b64 s[2:3], 0
.LBB14_560:
	s_and_b64 vcc, exec, s[2:3]
	s_cbranch_vccz .LBB14_595
; %bb.561:
	v_cmp_lt_i16_e32 vcc, 22, v5
	s_cbranch_vccz .LBB14_571
; %bb.562:
	v_cmp_gt_i16_e32 vcc, 24, v5
	s_cbranch_vccnz .LBB14_574
; %bb.563:
	v_cmp_lt_i16_e32 vcc, 24, v5
	s_cbranch_vccz .LBB14_575
; %bb.564:
	global_load_ubyte v2, v[0:1], off
	s_movk_i32 s0, 0x7f
                                        ; implicit-def: $sgpr15
	s_waitcnt vmcnt(0)
	v_cmp_lt_i16_e32 vcc, s0, v2
	s_mov_b64 s[0:1], 0
	s_and_saveexec_b64 s[2:3], vcc
	s_xor_b64 s[2:3], exec, s[2:3]
	s_cbranch_execz .LBB14_587
; %bb.565:
	s_movk_i32 s0, 0x80
	v_cmp_eq_u16_e32 vcc, s0, v2
	s_mov_b64 s[0:1], -1
                                        ; implicit-def: $sgpr15
	s_and_saveexec_b64 s[34:35], vcc
; %bb.566:
	s_mov_b32 s15, 0x7f800001
	s_xor_b64 s[0:1], exec, -1
; %bb.567:
	s_or_b64 exec, exec, s[34:35]
	s_and_b64 s[0:1], s[0:1], exec
	s_or_saveexec_b64 s[2:3], s[2:3]
	v_mov_b32_e32 v3, s15
	s_xor_b64 exec, exec, s[2:3]
	s_cbranch_execnz .LBB14_588
.LBB14_568:
	s_or_b64 exec, exec, s[2:3]
	s_and_saveexec_b64 s[2:3], s[0:1]
	s_cbranch_execz .LBB14_570
.LBB14_569:
	v_lshlrev_b32_e32 v3, 24, v2
	v_and_b32_e32 v2, 0xffff, v2
	v_and_b32_e32 v6, 3, v2
	v_ffbh_u32_e32 v8, v6
	v_min_u32_e32 v8, 32, v8
	v_subrev_u32_e32 v9, 29, v8
	v_bfe_u32 v7, v2, 2, 5
	v_lshlrev_b32_e32 v2, v9, v2
	v_sub_u32_e32 v8, 30, v8
	v_and_b32_e32 v2, 3, v2
	v_cmp_eq_u32_e32 vcc, 0, v7
	v_cndmask_b32_e32 v7, v7, v8, vcc
	v_cndmask_b32_e32 v2, v6, v2, vcc
	v_mov_b32_e32 v6, 0x37800000
	v_lshlrev_b32_e32 v2, 21, v2
	v_and_b32_e32 v3, 0x80000000, v3
	v_lshl_add_u32 v6, v7, 23, v6
	v_or3_b32 v3, v3, v6, v2
.LBB14_570:
	s_or_b64 exec, exec, s[2:3]
	s_mov_b64 s[0:1], 0
	s_branch .LBB14_576
.LBB14_571:
	s_mov_b64 s[2:3], -1
                                        ; implicit-def: $vgpr3
	s_branch .LBB14_582
.LBB14_572:
	s_or_saveexec_b64 s[2:3], s[2:3]
	v_mov_b32_e32 v3, s15
	s_xor_b64 exec, exec, s[2:3]
	s_cbranch_execz .LBB14_555
.LBB14_573:
	v_cmp_ne_u16_e32 vcc, 0, v2
	s_andn2_b64 s[0:1], s[0:1], exec
	s_and_b64 s[34:35], vcc, exec
	v_mov_b32_e32 v3, 0
	s_or_b64 s[0:1], s[0:1], s[34:35]
	s_or_b64 exec, exec, s[2:3]
	s_and_saveexec_b64 s[2:3], s[0:1]
	s_cbranch_execnz .LBB14_556
	s_branch .LBB14_557
.LBB14_574:
	s_mov_b64 s[0:1], -1
                                        ; implicit-def: $vgpr3
	s_branch .LBB14_579
.LBB14_575:
	s_mov_b64 s[0:1], -1
                                        ; implicit-def: $vgpr3
.LBB14_576:
	s_and_b64 vcc, exec, s[0:1]
	s_cbranch_vccz .LBB14_578
; %bb.577:
	global_load_ubyte v2, v[0:1], off
	s_mov_b32 s0, 0x7f800000
	s_waitcnt vmcnt(0)
	v_lshlrev_b32_e32 v2, 24, v2
	v_and_b32_e32 v3, 0x7f000000, v2
	v_ffbh_u32_e32 v6, v3
	v_min_u32_e32 v6, 32, v6
	v_sub_u32_e64 v6, v6, 4 clamp
	v_lshlrev_b32_e32 v8, v6, v3
	v_lshlrev_b32_e32 v6, 23, v6
	v_lshrrev_b32_e32 v8, 4, v8
	v_add_u32_e32 v7, 0x1000000, v3
	v_sub_u32_e32 v6, v8, v6
	v_ashrrev_i32_e32 v7, 8, v7
	v_add_u32_e32 v6, 0x3c000000, v6
	v_and_or_b32 v6, v7, s0, v6
	v_cmp_ne_u32_e32 vcc, 0, v3
	v_cndmask_b32_e32 v3, 0, v6, vcc
	s_brev_b32 s0, 1
	v_and_or_b32 v3, v2, s0, v3
.LBB14_578:
	s_mov_b64 s[0:1], 0
.LBB14_579:
	s_andn2_b64 vcc, exec, s[0:1]
	s_cbranch_vccnz .LBB14_581
; %bb.580:
	global_load_ubyte v2, v[0:1], off
	s_movk_i32 s0, 0x7f00
	s_brev_b32 s1, 16
	s_waitcnt vmcnt(0)
	v_lshlrev_b16_e32 v3, 8, v2
	v_lshlrev_b32_e32 v2, 25, v2
	v_lshrrev_b32_e32 v6, 4, v2
	v_and_or_b32 v7, v3, s0, 0.5
	v_or_b32_e32 v6, 0x70000000, v6
	v_add_f32_e32 v7, -0.5, v7
	v_mul_f32_e32 v6, 0x7800000, v6
	v_cmp_gt_u32_e32 vcc, s1, v2
	v_bfe_i32 v3, v3, 0, 16
	v_cndmask_b32_e32 v2, v6, v7, vcc
	s_brev_b32 s0, 1
	v_and_or_b32 v3, v3, s0, v2
.LBB14_581:
	s_mov_b64 s[2:3], 0
	s_mov_b64 s[0:1], -1
.LBB14_582:
	s_andn2_b64 vcc, exec, s[2:3]
	s_cbranch_vccnz .LBB14_595
; %bb.583:
	v_cmp_lt_i16_e32 vcc, 14, v5
	s_cbranch_vccz .LBB14_586
; %bb.584:
	v_cmp_eq_u16_e32 vcc, 15, v5
	s_cbranch_vccz .LBB14_589
; %bb.585:
	global_load_ushort v2, v[0:1], off
	s_mov_b64 s[0:1], -1
	s_mov_b64 s[30:31], 0
	s_waitcnt vmcnt(0)
	v_lshlrev_b32_e32 v3, 16, v2
	s_branch .LBB14_590
.LBB14_586:
	s_mov_b64 s[2:3], -1
                                        ; implicit-def: $vgpr3
	s_branch .LBB14_591
.LBB14_587:
	s_or_saveexec_b64 s[2:3], s[2:3]
	v_mov_b32_e32 v3, s15
	s_xor_b64 exec, exec, s[2:3]
	s_cbranch_execz .LBB14_568
.LBB14_588:
	v_cmp_ne_u16_e32 vcc, 0, v2
	s_andn2_b64 s[0:1], s[0:1], exec
	s_and_b64 s[34:35], vcc, exec
	v_mov_b32_e32 v3, 0
	s_or_b64 s[0:1], s[0:1], s[34:35]
	s_or_b64 exec, exec, s[2:3]
	s_and_saveexec_b64 s[2:3], s[0:1]
	s_cbranch_execnz .LBB14_569
	s_branch .LBB14_570
.LBB14_589:
	s_mov_b64 s[30:31], -1
                                        ; implicit-def: $vgpr3
.LBB14_590:
	s_mov_b64 s[2:3], 0
.LBB14_591:
	s_and_b64 vcc, exec, s[2:3]
	s_cbranch_vccz .LBB14_595
; %bb.592:
	v_cmp_eq_u16_e32 vcc, 11, v5
	s_cbranch_vccz .LBB14_594
; %bb.593:
	global_load_ubyte v2, v[0:1], off
	s_mov_b64 s[0:1], -1
	s_mov_b64 s[30:31], 0
	s_waitcnt vmcnt(0)
	v_cmp_ne_u16_e32 vcc, 0, v2
	v_cndmask_b32_e64 v3, 0, 1.0, vcc
	s_branch .LBB14_595
.LBB14_594:
	s_mov_b64 s[30:31], -1
                                        ; implicit-def: $vgpr3
.LBB14_595:
	s_mov_b64 s[2:3], 0
.LBB14_596:
	s_and_b64 vcc, exec, s[2:3]
	s_cbranch_vccz .LBB14_645
; %bb.597:
	v_cmp_gt_i16_e32 vcc, 5, v5
	s_cbranch_vccnz .LBB14_602
; %bb.598:
	v_cmp_gt_i16_e32 vcc, 8, v5
	s_cbranch_vccnz .LBB14_603
	;; [unrolled: 3-line block ×3, first 2 shown]
; %bb.600:
	v_cmp_lt_i16_e32 vcc, 9, v5
	s_cbranch_vccz .LBB14_605
; %bb.601:
	global_load_dwordx2 v[2:3], v[0:1], off
	s_mov_b64 s[0:1], 0
	s_waitcnt vmcnt(0)
	v_cvt_f32_f64_e32 v3, v[2:3]
	s_branch .LBB14_606
.LBB14_602:
	s_mov_b64 s[0:1], -1
                                        ; implicit-def: $vgpr3
	s_branch .LBB14_624
.LBB14_603:
	s_mov_b64 s[0:1], -1
                                        ; implicit-def: $vgpr3
	s_branch .LBB14_612
.LBB14_604:
	s_mov_b64 s[0:1], -1
                                        ; implicit-def: $vgpr3
	s_branch .LBB14_609
.LBB14_605:
	s_mov_b64 s[0:1], -1
                                        ; implicit-def: $vgpr3
.LBB14_606:
	s_andn2_b64 vcc, exec, s[0:1]
	s_cbranch_vccnz .LBB14_608
; %bb.607:
	global_load_dword v3, v[0:1], off
.LBB14_608:
	s_mov_b64 s[0:1], 0
.LBB14_609:
	s_andn2_b64 vcc, exec, s[0:1]
	s_cbranch_vccnz .LBB14_611
; %bb.610:
	global_load_dword v2, v[0:1], off
	s_waitcnt vmcnt(0)
	v_cvt_f32_f16_e32 v3, v2
.LBB14_611:
	s_mov_b64 s[0:1], 0
.LBB14_612:
	s_andn2_b64 vcc, exec, s[0:1]
	s_cbranch_vccnz .LBB14_623
; %bb.613:
	v_cmp_gt_i16_e32 vcc, 6, v5
	s_cbranch_vccnz .LBB14_616
; %bb.614:
	v_cmp_lt_i16_e32 vcc, 6, v5
	s_cbranch_vccz .LBB14_617
; %bb.615:
	global_load_dwordx2 v[2:3], v[0:1], off
	s_mov_b64 s[0:1], 0
	s_waitcnt vmcnt(0)
	v_cvt_f32_f64_e32 v3, v[2:3]
	s_branch .LBB14_618
.LBB14_616:
	s_mov_b64 s[0:1], -1
                                        ; implicit-def: $vgpr3
	s_branch .LBB14_621
.LBB14_617:
	s_mov_b64 s[0:1], -1
                                        ; implicit-def: $vgpr3
.LBB14_618:
	s_andn2_b64 vcc, exec, s[0:1]
	s_cbranch_vccnz .LBB14_620
; %bb.619:
	global_load_dword v3, v[0:1], off
.LBB14_620:
	s_mov_b64 s[0:1], 0
.LBB14_621:
	s_andn2_b64 vcc, exec, s[0:1]
	s_cbranch_vccnz .LBB14_623
; %bb.622:
	global_load_ushort v2, v[0:1], off
	s_waitcnt vmcnt(0)
	v_cvt_f32_f16_e32 v3, v2
.LBB14_623:
	s_mov_b64 s[0:1], 0
.LBB14_624:
	s_andn2_b64 vcc, exec, s[0:1]
	s_cbranch_vccnz .LBB14_644
; %bb.625:
	v_cmp_gt_i16_e32 vcc, 2, v5
	s_cbranch_vccnz .LBB14_629
; %bb.626:
	v_cmp_gt_i16_e32 vcc, 3, v5
	s_cbranch_vccnz .LBB14_630
; %bb.627:
	v_cmp_lt_i16_e32 vcc, 3, v5
	s_cbranch_vccz .LBB14_631
; %bb.628:
	global_load_dwordx2 v[2:3], v[0:1], off
	s_mov_b64 s[0:1], 0
	s_waitcnt vmcnt(0)
	v_xor_b32_e32 v7, v2, v3
	v_ffbh_i32_e32 v6, v3
	v_ashrrev_i32_e32 v7, 31, v7
	v_add_u32_e32 v6, -1, v6
	v_add_u32_e32 v7, 32, v7
	v_min_u32_e32 v6, v6, v7
	v_lshlrev_b64 v[2:3], v6, v[2:3]
	v_min_u32_e32 v2, 1, v2
	v_or_b32_e32 v2, v3, v2
	v_cvt_f32_i32_e32 v2, v2
	v_sub_u32_e32 v3, 32, v6
	v_ldexp_f32 v3, v2, v3
	s_branch .LBB14_632
.LBB14_629:
	s_mov_b64 s[0:1], -1
                                        ; implicit-def: $vgpr3
	s_branch .LBB14_638
.LBB14_630:
	s_mov_b64 s[0:1], -1
                                        ; implicit-def: $vgpr3
	s_branch .LBB14_635
.LBB14_631:
	s_mov_b64 s[0:1], -1
                                        ; implicit-def: $vgpr3
.LBB14_632:
	s_andn2_b64 vcc, exec, s[0:1]
	s_cbranch_vccnz .LBB14_634
; %bb.633:
	global_load_dword v2, v[0:1], off
	s_waitcnt vmcnt(0)
	v_cvt_f32_i32_e32 v3, v2
.LBB14_634:
	s_mov_b64 s[0:1], 0
.LBB14_635:
	s_andn2_b64 vcc, exec, s[0:1]
	s_cbranch_vccnz .LBB14_637
; %bb.636:
	global_load_sshort v2, v[0:1], off
	s_waitcnt vmcnt(0)
	v_cvt_f32_i32_e32 v3, v2
.LBB14_637:
	s_mov_b64 s[0:1], 0
.LBB14_638:
	s_andn2_b64 vcc, exec, s[0:1]
	s_cbranch_vccnz .LBB14_644
; %bb.639:
	v_cmp_lt_i16_e32 vcc, 0, v5
	s_cbranch_vccz .LBB14_641
; %bb.640:
	global_load_sbyte v2, v[0:1], off
	s_mov_b64 s[0:1], 0
	s_waitcnt vmcnt(0)
	v_cvt_f32_i32_e32 v3, v2
	s_branch .LBB14_642
.LBB14_641:
	s_mov_b64 s[0:1], -1
                                        ; implicit-def: $vgpr3
.LBB14_642:
	s_andn2_b64 vcc, exec, s[0:1]
	s_cbranch_vccnz .LBB14_644
; %bb.643:
	global_load_ubyte v0, v[0:1], off
	s_waitcnt vmcnt(0)
	v_cvt_f32_ubyte0_e32 v3, v0
.LBB14_644:
	s_mov_b64 s[0:1], -1
.LBB14_645:
	s_andn2_b64 vcc, exec, s[0:1]
	s_cbranch_vccnz .LBB14_653
; %bb.646:
	s_waitcnt vmcnt(0)
	v_cmp_nge_f32_e64 s[0:1], v3, -s14
	v_cmp_nge_f32_e32 vcc, s14, v3
	v_mul_lo_u32 v0, v4, s12
	s_or_b64 s[0:1], s[0:1], vcc
	v_ashrrev_i32_e32 v1, 31, v0
	v_mov_b32_e32 v6, s9
	v_add_co_u32_e32 v0, vcc, s8, v0
	v_addc_co_u32_e32 v1, vcc, v6, v1, vcc
	v_mov_b32_e32 v6, 11
	v_cmp_lt_i16_sdwa s[2:3], s33, v6 src0_sel:BYTE_0 src1_sel:DWORD
	v_cndmask_b32_e64 v2, 0, v3, s[0:1]
	s_and_b64 vcc, exec, s[2:3]
	s_cbranch_vccnz .LBB14_654
; %bb.647:
	v_mov_b32_e32 v6, 25
	v_cmp_gt_i16_sdwa s[2:3], s33, v6 src0_sel:BYTE_0 src1_sel:DWORD
	s_and_b64 vcc, exec, s[2:3]
	s_cbranch_vccz .LBB14_655
; %bb.648:
	v_mov_b32_e32 v6, 28
	v_cmp_gt_i16_sdwa s[2:3], s33, v6 src0_sel:BYTE_0 src1_sel:DWORD
	s_and_b64 vcc, exec, s[2:3]
	s_cbranch_vccz .LBB14_656
	;; [unrolled: 5-line block ×4, first 2 shown]
; %bb.651:
	v_mov_b32_e32 v6, 46
	v_cmp_eq_u16_sdwa s[34:35], s33, v6 src0_sel:BYTE_0 src1_sel:DWORD
	s_mov_b64 s[36:37], 0
	s_mov_b64 s[2:3], -1
	s_and_b64 vcc, exec, s[34:35]
	s_mov_b64 s[34:35], 0
	s_cbranch_vccz .LBB14_659
; %bb.652:
	v_bfe_u32 v6, v2, 16, 1
	s_movk_i32 s2, 0x7fff
	v_add3_u32 v6, v2, v6, s2
	v_lshrrev_b32_e32 v6, 16, v6
	v_mov_b32_e32 v7, 0x7fc0
	v_cmp_o_f32_e32 vcc, v2, v2
	v_cndmask_b32_e32 v6, v7, v6, vcc
	global_store_dword v[0:1], v6, off
	s_mov_b64 s[34:35], -1
	s_mov_b64 s[2:3], 0
	s_branch .LBB14_659
.LBB14_653:
	s_mov_b64 s[34:35], 0
                                        ; implicit-def: $vgpr4
	s_mov_b64 s[2:3], s[24:25]
	s_branch .LBB14_770
.LBB14_654:
	s_mov_b64 s[0:1], -1
	s_mov_b64 s[34:35], 0
	s_mov_b64 s[2:3], s[24:25]
	s_branch .LBB14_728
.LBB14_655:
	s_mov_b64 s[34:35], 0
	s_mov_b64 s[2:3], s[24:25]
	s_branch .LBB14_686
.LBB14_656:
	s_mov_b64 s[34:35], 0
	s_mov_b64 s[2:3], s[24:25]
	s_branch .LBB14_669
.LBB14_657:
	s_mov_b64 s[34:35], 0
	s_mov_b64 s[2:3], s[24:25]
	s_branch .LBB14_665
.LBB14_658:
	s_mov_b64 s[34:35], 0
	s_mov_b64 s[2:3], s[24:25]
.LBB14_659:
	s_and_b64 vcc, exec, s[36:37]
	s_cbranch_vccz .LBB14_664
; %bb.660:
	v_mov_b32_e32 v6, 44
	v_cmp_eq_u16_sdwa s[36:37], s33, v6 src0_sel:BYTE_0 src1_sel:DWORD
	s_mov_b64 s[2:3], -1
	s_and_b64 vcc, exec, s[36:37]
	s_cbranch_vccz .LBB14_664
; %bb.661:
	v_bfe_u32 v6, v2, 23, 8
	s_movk_i32 s2, 0xff
	v_cmp_ne_u32_e32 vcc, s2, v6
	v_mov_b32_e32 v7, 0xff
	s_and_saveexec_b64 s[34:35], vcc
; %bb.662:
	s_mov_b32 s2, 0x3fffff
	v_and_b32_e32 v8, 0x400000, v2
	v_and_or_b32 v6, v2, s2, v6
	v_cmp_ne_u32_e32 vcc, 0, v8
	v_cmp_ne_u32_e64 s[2:3], 0, v6
	s_and_b64 s[2:3], vcc, s[2:3]
	v_lshrrev_b32_e32 v7, 23, v2
	v_cndmask_b32_e64 v6, 0, 1, s[2:3]
	v_add_u32_e32 v7, v7, v6
; %bb.663:
	s_or_b64 exec, exec, s[34:35]
	s_mov_b64 s[34:35], -1
	s_mov_b64 s[2:3], 0
	global_store_byte v[0:1], v7, off
.LBB14_664:
	s_mov_b64 s[36:37], 0
.LBB14_665:
	s_and_b64 vcc, exec, s[36:37]
	s_cbranch_vccz .LBB14_668
; %bb.666:
	v_mov_b32_e32 v6, 29
	v_cmp_eq_u16_sdwa s[36:37], s33, v6 src0_sel:BYTE_0 src1_sel:DWORD
	s_mov_b64 s[2:3], -1
	s_and_b64 vcc, exec, s[36:37]
	s_cbranch_vccz .LBB14_668
; %bb.667:
	v_trunc_f32_e32 v6, v2
	v_mul_f32_e32 v7, 0x2f800000, v6
	v_floor_f32_e32 v8, v7
	v_fmac_f32_e32 v6, 0xcf800000, v8
	v_cvt_u32_f32_e32 v7, v8
	v_cvt_u32_f32_e32 v6, v6
	s_mov_b64 s[34:35], -1
	s_mov_b64 s[2:3], 0
	s_mov_b64 s[36:37], 0
	global_store_dwordx2 v[0:1], v[6:7], off
	s_branch .LBB14_669
.LBB14_668:
	s_mov_b64 s[36:37], 0
.LBB14_669:
	s_and_b64 vcc, exec, s[36:37]
	s_cbranch_vccz .LBB14_685
; %bb.670:
	v_mov_b32_e32 v6, 27
	v_cmp_lt_i16_sdwa s[36:37], s33, v6 src0_sel:BYTE_0 src1_sel:DWORD
	s_mov_b64 s[34:35], -1
	s_and_b64 vcc, exec, s[36:37]
	s_cbranch_vccnz .LBB14_676
; %bb.671:
	v_cmp_gt_i16_sdwa s[36:37], s33, v6 src0_sel:BYTE_0 src1_sel:DWORD
	v_cvt_u32_f32_e32 v6, v2
	s_and_b64 vcc, exec, s[36:37]
	s_cbranch_vccz .LBB14_673
; %bb.672:
	s_mov_b64 s[34:35], 0
	global_store_dword v[0:1], v6, off
.LBB14_673:
	s_andn2_b64 vcc, exec, s[34:35]
	s_cbranch_vccnz .LBB14_675
; %bb.674:
	global_store_short v[0:1], v6, off
.LBB14_675:
	s_mov_b64 s[34:35], 0
.LBB14_676:
	s_andn2_b64 vcc, exec, s[34:35]
	s_cbranch_vccnz .LBB14_684
; %bb.677:
	v_cndmask_b32_e64 v7, 0, |v3|, s[0:1]
	s_mov_b32 s15, 0x43800000
	v_cmp_gt_u32_e32 vcc, s15, v7
	v_mov_b32_e32 v8, 0x80
	s_and_saveexec_b64 s[34:35], vcc
	s_cbranch_execz .LBB14_683
; %bb.678:
	s_mov_b32 s15, 0x3bffffff
	v_cmp_lt_u32_e32 vcc, s15, v7
	s_mov_b64 s[36:37], 0
                                        ; implicit-def: $vgpr6
	s_and_saveexec_b64 s[38:39], vcc
	s_xor_b64 s[38:39], exec, s[38:39]
	s_cbranch_execz .LBB14_784
; %bb.679:
	v_bfe_u32 v6, v2, 20, 1
	s_mov_b32 s15, 0x487ffff
	v_add3_u32 v6, v2, v6, s15
	s_mov_b64 s[36:37], exec
	v_lshrrev_b32_e32 v6, 20, v6
                                        ; implicit-def: $vgpr7
	s_or_saveexec_b64 s[38:39], s[38:39]
                                        ; implicit-def: $sgpr15
	s_xor_b64 exec, exec, s[38:39]
	s_cbranch_execnz .LBB14_785
.LBB14_680:
	s_or_b64 exec, exec, s[38:39]
	v_mov_b32_e32 v8, s15
	s_and_saveexec_b64 s[38:39], s[36:37]
.LBB14_681:
	v_lshrrev_b32_e32 v7, 24, v2
	s_movk_i32 s15, 0x80
	v_and_or_b32 v8, v7, s15, v6
.LBB14_682:
	s_or_b64 exec, exec, s[38:39]
.LBB14_683:
	s_or_b64 exec, exec, s[34:35]
	global_store_byte v[0:1], v8, off
.LBB14_684:
	s_mov_b64 s[34:35], -1
.LBB14_685:
	s_mov_b64 s[36:37], 0
.LBB14_686:
	s_and_b64 vcc, exec, s[36:37]
	s_cbranch_vccz .LBB14_727
; %bb.687:
	v_mov_b32_e32 v6, 22
	v_cmp_gt_i16_sdwa s[38:39], s33, v6 src0_sel:BYTE_0 src1_sel:DWORD
	s_mov_b64 s[36:37], -1
	s_and_b64 vcc, exec, s[38:39]
	s_cbranch_vccz .LBB14_719
; %bb.688:
	v_mov_b32_e32 v6, 24
	v_cmp_lt_i16_sdwa s[36:37], s33, v6 src0_sel:BYTE_0 src1_sel:DWORD
	s_mov_b64 s[34:35], -1
	s_and_b64 vcc, exec, s[36:37]
	s_cbranch_vccnz .LBB14_708
; %bb.689:
	v_cmp_gt_i16_sdwa s[36:37], s33, v6 src0_sel:BYTE_0 src1_sel:DWORD
	s_and_b64 vcc, exec, s[36:37]
	s_cbranch_vccz .LBB14_697
; %bb.690:
	v_cndmask_b32_e64 v7, 0, |v3|, s[0:1]
	s_mov_b32 s15, 0x47800000
	v_cmp_gt_u32_e32 vcc, s15, v7
	v_mov_b32_e32 v8, 0x80
	s_and_saveexec_b64 s[34:35], vcc
	s_cbranch_execz .LBB14_696
; %bb.691:
	s_mov_b32 s15, 0x37ffffff
	v_cmp_lt_u32_e32 vcc, s15, v7
	s_mov_b64 s[36:37], 0
                                        ; implicit-def: $vgpr6
	s_and_saveexec_b64 s[38:39], vcc
	s_xor_b64 s[38:39], exec, s[38:39]
	s_cbranch_execz .LBB14_787
; %bb.692:
	v_bfe_u32 v6, v2, 21, 1
	s_mov_b32 s15, 0x88fffff
	v_add3_u32 v6, v2, v6, s15
	s_mov_b64 s[36:37], exec
	v_lshrrev_b32_e32 v6, 21, v6
                                        ; implicit-def: $vgpr7
	s_or_saveexec_b64 s[38:39], s[38:39]
                                        ; implicit-def: $sgpr15
	s_xor_b64 exec, exec, s[38:39]
	s_cbranch_execnz .LBB14_788
.LBB14_693:
	s_or_b64 exec, exec, s[38:39]
	v_mov_b32_e32 v8, s15
	s_and_saveexec_b64 s[38:39], s[36:37]
.LBB14_694:
	v_lshrrev_b32_e32 v7, 24, v2
	s_movk_i32 s15, 0x80
	v_and_or_b32 v8, v7, s15, v6
.LBB14_695:
	s_or_b64 exec, exec, s[38:39]
.LBB14_696:
	s_or_b64 exec, exec, s[34:35]
	s_mov_b64 s[34:35], 0
	global_store_byte v[0:1], v8, off
.LBB14_697:
	s_and_b64 vcc, exec, s[34:35]
	s_cbranch_vccz .LBB14_707
; %bb.698:
	v_cndmask_b32_e64 v7, 0, |v3|, s[0:1]
	s_mov_b32 s15, 0x43f00000
	v_cmp_gt_u32_e32 vcc, s15, v7
                                        ; implicit-def: $vgpr6
	s_and_saveexec_b64 s[34:35], vcc
	s_xor_b64 s[34:35], exec, s[34:35]
	s_cbranch_execz .LBB14_704
; %bb.699:
	s_mov_b32 s15, 0x3c7fffff
	v_cmp_lt_u32_e32 vcc, s15, v7
                                        ; implicit-def: $vgpr6
	s_and_saveexec_b64 s[36:37], vcc
	s_xor_b64 s[36:37], exec, s[36:37]
; %bb.700:
	v_bfe_u32 v6, v2, 20, 1
	s_mov_b32 s15, 0x407ffff
	v_add3_u32 v6, v2, v6, s15
	v_lshrrev_b32_e32 v7, 20, v6
	v_and_b32_e32 v6, 0xff00000, v6
	s_mov_b32 s15, 0x7f00000
	v_mov_b32_e32 v8, 0x7e
	v_cmp_ne_u32_e32 vcc, s15, v6
	v_cndmask_b32_e32 v6, v8, v7, vcc
                                        ; implicit-def: $vgpr7
; %bb.701:
	s_andn2_saveexec_b64 s[36:37], s[36:37]
; %bb.702:
	v_add_f32_e32 v6, 0x46800000, v7
; %bb.703:
	s_or_b64 exec, exec, s[36:37]
                                        ; implicit-def: $vgpr7
.LBB14_704:
	s_andn2_saveexec_b64 s[34:35], s[34:35]
; %bb.705:
	s_mov_b32 s15, 0x7f800000
	v_mov_b32_e32 v6, 0x7e
	v_mov_b32_e32 v8, 0x7f
	v_cmp_lt_u32_e32 vcc, s15, v7
	v_cndmask_b32_e32 v6, v6, v8, vcc
; %bb.706:
	s_or_b64 exec, exec, s[34:35]
	v_lshrrev_b32_e32 v7, 24, v2
	s_movk_i32 s15, 0x80
	v_and_or_b32 v6, v7, s15, v6
	global_store_byte v[0:1], v6, off
.LBB14_707:
	s_mov_b64 s[34:35], 0
.LBB14_708:
	s_andn2_b64 vcc, exec, s[34:35]
	s_cbranch_vccnz .LBB14_718
; %bb.709:
	v_cndmask_b32_e64 v6, 0, |v3|, s[0:1]
	s_mov_b32 s0, 0x47800000
	v_cmp_gt_u32_e32 vcc, s0, v6
                                        ; implicit-def: $vgpr3
	s_and_saveexec_b64 s[0:1], vcc
	s_xor_b64 s[0:1], exec, s[0:1]
	s_cbranch_execz .LBB14_715
; %bb.710:
	s_mov_b32 s15, 0x387fffff
	v_cmp_lt_u32_e32 vcc, s15, v6
                                        ; implicit-def: $vgpr3
	s_and_saveexec_b64 s[34:35], vcc
	s_xor_b64 s[34:35], exec, s[34:35]
; %bb.711:
	v_bfe_u32 v3, v2, 21, 1
	s_mov_b32 s15, 0x80fffff
	v_add3_u32 v3, v2, v3, s15
	v_lshrrev_b32_e32 v3, 21, v3
                                        ; implicit-def: $vgpr6
; %bb.712:
	s_andn2_saveexec_b64 s[34:35], s[34:35]
; %bb.713:
	v_add_f32_e32 v3, 0x43000000, v6
; %bb.714:
	s_or_b64 exec, exec, s[34:35]
                                        ; implicit-def: $vgpr6
.LBB14_715:
	s_andn2_saveexec_b64 s[0:1], s[0:1]
; %bb.716:
	s_mov_b32 s15, 0x7f800000
	v_mov_b32_e32 v3, 0x7c
	v_mov_b32_e32 v7, 0x7f
	v_cmp_lt_u32_e32 vcc, s15, v6
	v_cndmask_b32_e32 v3, v3, v7, vcc
; %bb.717:
	s_or_b64 exec, exec, s[0:1]
	v_lshrrev_b32_e32 v6, 24, v2
	s_movk_i32 s0, 0x80
	v_and_or_b32 v3, v6, s0, v3
	global_store_byte v[0:1], v3, off
.LBB14_718:
	s_mov_b64 s[36:37], 0
	s_mov_b64 s[34:35], -1
.LBB14_719:
	s_andn2_b64 vcc, exec, s[36:37]
	s_cbranch_vccnz .LBB14_727
; %bb.720:
	v_mov_b32_e32 v3, 14
	v_cmp_gt_i16_sdwa s[36:37], s33, v3 src0_sel:BYTE_0 src1_sel:DWORD
	s_mov_b64 s[0:1], -1
	s_and_b64 vcc, exec, s[36:37]
	s_cbranch_vccz .LBB14_724
; %bb.721:
	v_mov_b32_e32 v3, 15
	v_cmp_eq_u16_sdwa s[0:1], s33, v3 src0_sel:BYTE_0 src1_sel:DWORD
	s_mov_b64 s[2:3], -1
	s_and_b64 vcc, exec, s[0:1]
	s_cbranch_vccz .LBB14_723
; %bb.722:
	v_bfe_u32 v3, v2, 16, 1
	s_movk_i32 s0, 0x7fff
	v_add3_u32 v3, v2, v3, s0
	v_lshrrev_b32_e32 v3, 16, v3
	v_mov_b32_e32 v6, 0x7fc0
	v_cmp_o_f32_e32 vcc, v2, v2
	v_cndmask_b32_e32 v3, v6, v3, vcc
	global_store_short v[0:1], v3, off
	s_mov_b64 s[34:35], -1
	s_mov_b64 s[2:3], 0
.LBB14_723:
	s_mov_b64 s[0:1], 0
.LBB14_724:
	s_and_b64 vcc, exec, s[0:1]
	s_cbranch_vccz .LBB14_727
; %bb.725:
	v_mov_b32_e32 v3, 11
	v_cmp_eq_u16_sdwa s[0:1], s33, v3 src0_sel:BYTE_0 src1_sel:DWORD
	s_mov_b64 s[2:3], -1
	s_and_b64 vcc, exec, s[0:1]
	s_cbranch_vccz .LBB14_727
; %bb.726:
	v_cmp_neq_f32_e32 vcc, 0, v2
	v_cndmask_b32_e64 v3, 0, 1, vcc
	s_mov_b64 s[34:35], -1
	s_mov_b64 s[2:3], 0
	global_store_byte v[0:1], v3, off
.LBB14_727:
	s_mov_b64 s[0:1], 0
.LBB14_728:
	s_and_b64 vcc, exec, s[0:1]
	s_cbranch_vccz .LBB14_767
; %bb.729:
	v_mov_b32_e32 v3, 5
	v_cmp_lt_i16_sdwa s[34:35], s33, v3 src0_sel:BYTE_0 src1_sel:DWORD
	s_mov_b64 s[0:1], -1
	s_and_b64 vcc, exec, s[34:35]
	s_cbranch_vccnz .LBB14_750
; %bb.730:
	v_mov_b32_e32 v3, 8
	v_cmp_lt_i16_sdwa s[34:35], s33, v3 src0_sel:BYTE_0 src1_sel:DWORD
	s_and_b64 vcc, exec, s[34:35]
	s_cbranch_vccnz .LBB14_740
; %bb.731:
	v_mov_b32_e32 v3, 9
	v_cmp_lt_i16_sdwa s[34:35], s33, v3 src0_sel:BYTE_0 src1_sel:DWORD
	s_and_b64 vcc, exec, s[34:35]
	s_cbranch_vccnz .LBB14_737
; %bb.732:
	v_cmp_gt_i16_sdwa s[34:35], s33, v3 src0_sel:BYTE_0 src1_sel:DWORD
	s_and_b64 vcc, exec, s[34:35]
	s_cbranch_vccz .LBB14_734
; %bb.733:
	v_mov_b32_e32 v8, 0
	v_cvt_f64_f32_e32 v[6:7], v2
	v_mov_b32_e32 v9, v8
	s_mov_b64 s[0:1], 0
	global_store_dwordx4 v[0:1], v[6:9], off
.LBB14_734:
	s_andn2_b64 vcc, exec, s[0:1]
	s_cbranch_vccnz .LBB14_736
; %bb.735:
	v_mov_b32_e32 v3, 0
	global_store_dwordx2 v[0:1], v[2:3], off
.LBB14_736:
	s_mov_b64 s[0:1], 0
.LBB14_737:
	s_andn2_b64 vcc, exec, s[0:1]
	s_cbranch_vccnz .LBB14_739
; %bb.738:
	v_cvt_f16_f32_e32 v3, v2
	global_store_dword v[0:1], v3, off
.LBB14_739:
	s_mov_b64 s[0:1], 0
.LBB14_740:
	s_andn2_b64 vcc, exec, s[0:1]
	s_cbranch_vccnz .LBB14_749
; %bb.741:
	v_mov_b32_e32 v3, 6
	v_cmp_lt_i16_sdwa s[34:35], s33, v3 src0_sel:BYTE_0 src1_sel:DWORD
	s_mov_b64 s[0:1], -1
	s_and_b64 vcc, exec, s[34:35]
	s_cbranch_vccnz .LBB14_747
; %bb.742:
	v_cmp_gt_i16_sdwa s[34:35], s33, v3 src0_sel:BYTE_0 src1_sel:DWORD
	s_and_b64 vcc, exec, s[34:35]
	s_cbranch_vccz .LBB14_744
; %bb.743:
	v_cvt_f64_f32_e32 v[6:7], v2
	s_mov_b64 s[0:1], 0
	global_store_dwordx2 v[0:1], v[6:7], off
.LBB14_744:
	s_andn2_b64 vcc, exec, s[0:1]
	s_cbranch_vccnz .LBB14_746
; %bb.745:
	global_store_dword v[0:1], v2, off
.LBB14_746:
	s_mov_b64 s[0:1], 0
.LBB14_747:
	s_andn2_b64 vcc, exec, s[0:1]
	s_cbranch_vccnz .LBB14_749
; %bb.748:
	v_cvt_f16_f32_e32 v3, v2
	global_store_short v[0:1], v3, off
.LBB14_749:
	s_mov_b64 s[0:1], 0
.LBB14_750:
	s_andn2_b64 vcc, exec, s[0:1]
	s_cbranch_vccnz .LBB14_766
; %bb.751:
	v_mov_b32_e32 v3, 2
	v_cmp_lt_i16_sdwa s[34:35], s33, v3 src0_sel:BYTE_0 src1_sel:DWORD
	s_mov_b64 s[0:1], -1
	s_and_b64 vcc, exec, s[34:35]
	s_cbranch_vccnz .LBB14_761
; %bb.752:
	v_mov_b32_e32 v3, 3
	v_cmp_lt_i16_sdwa s[34:35], s33, v3 src0_sel:BYTE_0 src1_sel:DWORD
	s_and_b64 vcc, exec, s[34:35]
	s_cbranch_vccnz .LBB14_758
; %bb.753:
	v_cmp_gt_i16_sdwa s[34:35], s33, v3 src0_sel:BYTE_0 src1_sel:DWORD
	s_and_b64 vcc, exec, s[34:35]
	s_cbranch_vccz .LBB14_755
; %bb.754:
	v_trunc_f32_e32 v3, v2
	s_mov_b32 s0, 0x2f800000
	v_mul_f32_e64 v6, |v3|, s0
	v_floor_f32_e32 v6, v6
	s_mov_b32 s0, 0xcf800000
	v_cvt_u32_f32_e32 v7, v6
	v_fma_f32 v6, v6, s0, |v3|
	v_cvt_u32_f32_e32 v6, v6
	v_ashrrev_i32_e32 v3, 31, v3
	v_xor_b32_e32 v7, v7, v3
	s_mov_b64 s[0:1], 0
	v_xor_b32_e32 v6, v6, v3
	v_sub_co_u32_e32 v6, vcc, v6, v3
	v_subb_co_u32_e32 v7, vcc, v7, v3, vcc
	global_store_dwordx2 v[0:1], v[6:7], off
.LBB14_755:
	s_andn2_b64 vcc, exec, s[0:1]
	s_cbranch_vccnz .LBB14_757
; %bb.756:
	v_cvt_i32_f32_e32 v3, v2
	global_store_dword v[0:1], v3, off
.LBB14_757:
	s_mov_b64 s[0:1], 0
.LBB14_758:
	s_andn2_b64 vcc, exec, s[0:1]
	s_cbranch_vccnz .LBB14_760
; %bb.759:
	v_cvt_i32_f32_e32 v3, v2
	global_store_short v[0:1], v3, off
.LBB14_760:
	s_mov_b64 s[0:1], 0
.LBB14_761:
	s_andn2_b64 vcc, exec, s[0:1]
	s_cbranch_vccnz .LBB14_766
; %bb.762:
	v_mov_b32_e32 v3, 0
	v_cmp_gt_i16_sdwa s[34:35], s33, v3 src0_sel:BYTE_0 src1_sel:DWORD
	s_mov_b64 s[0:1], -1
	s_and_b64 vcc, exec, s[34:35]
	s_cbranch_vccz .LBB14_764
; %bb.763:
	v_cvt_i32_f32_e32 v3, v2
	s_mov_b64 s[0:1], 0
	global_store_byte v[0:1], v3, off
.LBB14_764:
	s_andn2_b64 vcc, exec, s[0:1]
	s_cbranch_vccnz .LBB14_766
; %bb.765:
	v_trunc_f32_e32 v2, v2
	s_mov_b32 s0, 0x2f800000
	v_mul_f32_e64 v3, |v2|, s0
	v_floor_f32_e32 v3, v3
	s_mov_b32 s0, 0xcf800000
	v_fma_f32 v3, v3, s0, |v2|
	v_cvt_u32_f32_e32 v3, v3
	v_ashrrev_i32_e32 v2, 31, v2
	v_xor_b32_e32 v3, v3, v2
	v_sub_u32_e32 v2, v3, v2
	global_store_byte v[0:1], v2, off
.LBB14_766:
	s_mov_b64 s[34:35], -1
.LBB14_767:
	s_andn2_b64 vcc, exec, s[34:35]
	s_cbranch_vccnz .LBB14_769
; %bb.768:
	v_add_u32_e32 v4, 0x80, v4
	s_mov_b64 s[34:35], -1
	s_branch .LBB14_770
.LBB14_769:
	s_mov_b64 s[34:35], 0
                                        ; implicit-def: $vgpr4
.LBB14_770:
	s_andn2_b64 s[0:1], s[24:25], exec
	s_and_b64 s[2:3], s[2:3], exec
	s_or_b64 s[2:3], s[0:1], s[2:3]
	s_andn2_b64 s[0:1], s[22:23], exec
	s_and_b64 s[30:31], s[30:31], exec
	s_or_b64 s[0:1], s[0:1], s[30:31]
	s_orn2_b64 s[36:37], s[34:35], exec
.LBB14_771:
	s_or_b64 exec, exec, s[28:29]
	s_mov_b64 s[34:35], 0
	s_mov_b64 s[38:39], 0
	;; [unrolled: 1-line block ×3, first 2 shown]
                                        ; implicit-def: $vgpr0_vgpr1
                                        ; implicit-def: $vgpr3
	s_and_saveexec_b64 s[28:29], s[36:37]
	s_cbranch_execz .LBB14_856
; %bb.772:
	v_cmp_gt_i32_e32 vcc, s40, v4
	s_mov_b64 s[36:37], 0
	s_mov_b64 s[40:41], s[0:1]
	s_mov_b64 s[42:43], 0
                                        ; implicit-def: $vgpr0_vgpr1
                                        ; implicit-def: $vgpr3
	s_and_saveexec_b64 s[30:31], vcc
	s_cbranch_execz .LBB14_855
; %bb.773:
	v_mul_lo_u32 v0, v4, s13
	v_ashrrev_i32_e32 v1, 31, v0
	v_mov_b32_e32 v2, s11
	v_add_co_u32_e32 v0, vcc, s10, v0
	v_addc_co_u32_e32 v1, vcc, v2, v1, vcc
	v_cmp_gt_i16_e32 vcc, 11, v5
	s_cbranch_vccnz .LBB14_780
; %bb.774:
	v_cmp_lt_i16_e32 vcc, 25, v5
	s_cbranch_vccz .LBB14_781
; %bb.775:
	v_cmp_lt_i16_e32 vcc, 28, v5
	s_cbranch_vccz .LBB14_782
; %bb.776:
	v_cmp_lt_i16_e32 vcc, 43, v5
	s_cbranch_vccz .LBB14_783
; %bb.777:
	v_cmp_lt_i16_e32 vcc, 45, v5
	s_cbranch_vccz .LBB14_786
; %bb.778:
	v_cmp_eq_u16_e32 vcc, 46, v5
	s_mov_b64 s[40:41], 0
	s_cbranch_vccz .LBB14_789
; %bb.779:
	global_load_dword v2, v[0:1], off
	s_mov_b64 s[38:39], -1
	s_waitcnt vmcnt(0)
	v_lshlrev_b32_e32 v3, 16, v2
	s_branch .LBB14_791
.LBB14_780:
	s_mov_b64 s[40:41], -1
                                        ; implicit-def: $vgpr3
	s_mov_b64 s[34:35], s[0:1]
	s_branch .LBB14_854
.LBB14_781:
	s_mov_b64 s[40:41], -1
	s_mov_b64 s[34:35], s[0:1]
                                        ; implicit-def: $vgpr3
	s_branch .LBB14_820
.LBB14_782:
	s_mov_b64 s[40:41], -1
	s_mov_b64 s[34:35], s[0:1]
                                        ; implicit-def: $vgpr3
	s_branch .LBB14_801
.LBB14_783:
	s_mov_b64 s[40:41], -1
	s_mov_b64 s[34:35], s[0:1]
                                        ; implicit-def: $vgpr3
	s_branch .LBB14_796
.LBB14_784:
	s_or_saveexec_b64 s[38:39], s[38:39]
                                        ; implicit-def: $sgpr15
	s_xor_b64 exec, exec, s[38:39]
	s_cbranch_execz .LBB14_680
.LBB14_785:
	v_add_f32_e32 v6, 0x46000000, v7
	v_and_b32_e32 v6, 0xff, v6
	v_cmp_ne_u32_e32 vcc, 0, v6
	s_andn2_b64 s[36:37], s[36:37], exec
	s_and_b64 s[42:43], vcc, exec
	s_mov_b32 s15, 0
	s_or_b64 s[36:37], s[36:37], s[42:43]
	s_or_b64 exec, exec, s[38:39]
	v_mov_b32_e32 v8, s15
	s_and_saveexec_b64 s[38:39], s[36:37]
	s_cbranch_execnz .LBB14_681
	s_branch .LBB14_682
.LBB14_786:
	s_mov_b64 s[40:41], -1
	s_mov_b64 s[34:35], s[0:1]
	s_branch .LBB14_790
.LBB14_787:
	s_or_saveexec_b64 s[38:39], s[38:39]
                                        ; implicit-def: $sgpr15
	s_xor_b64 exec, exec, s[38:39]
	s_cbranch_execz .LBB14_693
.LBB14_788:
	v_add_f32_e32 v6, 0x42800000, v7
	v_and_b32_e32 v6, 0xff, v6
	v_cmp_ne_u32_e32 vcc, 0, v6
	s_andn2_b64 s[36:37], s[36:37], exec
	s_and_b64 s[42:43], vcc, exec
	s_mov_b32 s15, 0
	s_or_b64 s[36:37], s[36:37], s[42:43]
	s_or_b64 exec, exec, s[38:39]
	v_mov_b32_e32 v8, s15
	s_and_saveexec_b64 s[38:39], s[36:37]
	s_cbranch_execnz .LBB14_694
	s_branch .LBB14_695
.LBB14_789:
	s_mov_b64 s[34:35], -1
.LBB14_790:
                                        ; implicit-def: $vgpr3
.LBB14_791:
	s_and_b64 vcc, exec, s[40:41]
	s_cbranch_vccz .LBB14_795
; %bb.792:
	v_cmp_eq_u16_e32 vcc, 44, v5
	s_cbranch_vccz .LBB14_794
; %bb.793:
	global_load_ubyte v2, v[0:1], off
	s_movk_i32 s15, 0xff
	s_waitcnt vmcnt(1)
	v_mov_b32_e32 v3, 0x7f800001
	v_mov_b32_e32 v6, 0x400000
	s_mov_b64 s[34:35], 0
	s_mov_b64 s[38:39], -1
	s_waitcnt vmcnt(0)
	v_lshlrev_b32_e32 v7, 23, v2
	v_cmp_ne_u32_e32 vcc, s15, v2
	v_cndmask_b32_e32 v3, v3, v7, vcc
	v_cmp_ne_u32_e32 vcc, 0, v2
	v_cndmask_b32_e32 v3, v6, v3, vcc
	s_branch .LBB14_795
.LBB14_794:
	s_mov_b64 s[34:35], -1
                                        ; implicit-def: $vgpr3
.LBB14_795:
	s_mov_b64 s[40:41], 0
.LBB14_796:
	s_and_b64 vcc, exec, s[40:41]
	s_cbranch_vccz .LBB14_800
; %bb.797:
	v_cmp_eq_u16_e32 vcc, 29, v5
	s_cbranch_vccz .LBB14_799
; %bb.798:
	global_load_dwordx2 v[2:3], v[0:1], off
	s_mov_b64 s[34:35], 0
	s_mov_b64 s[38:39], -1
	s_mov_b64 s[40:41], 0
	s_waitcnt vmcnt(0)
	v_ffbh_u32_e32 v6, v3
	v_min_u32_e32 v6, 32, v6
	v_lshlrev_b64 v[2:3], v6, v[2:3]
	v_min_u32_e32 v2, 1, v2
	v_or_b32_e32 v2, v3, v2
	v_cvt_f32_u32_e32 v2, v2
	v_sub_u32_e32 v3, 32, v6
	v_ldexp_f32 v3, v2, v3
	s_branch .LBB14_801
.LBB14_799:
	s_mov_b64 s[34:35], -1
                                        ; implicit-def: $vgpr3
.LBB14_800:
	s_mov_b64 s[40:41], 0
.LBB14_801:
	s_and_b64 vcc, exec, s[40:41]
	s_cbranch_vccz .LBB14_819
; %bb.802:
	v_cmp_gt_i16_e32 vcc, 27, v5
	s_cbranch_vccnz .LBB14_805
; %bb.803:
	v_cmp_lt_i16_e32 vcc, 27, v5
	s_cbranch_vccz .LBB14_806
; %bb.804:
	global_load_dword v2, v[0:1], off
	s_mov_b64 s[38:39], 0
	s_waitcnt vmcnt(0)
	v_cvt_f32_u32_e32 v3, v2
	s_branch .LBB14_807
.LBB14_805:
	s_mov_b64 s[38:39], -1
                                        ; implicit-def: $vgpr3
	s_branch .LBB14_810
.LBB14_806:
	s_mov_b64 s[38:39], -1
                                        ; implicit-def: $vgpr3
.LBB14_807:
	s_andn2_b64 vcc, exec, s[38:39]
	s_cbranch_vccnz .LBB14_809
; %bb.808:
	global_load_ushort v2, v[0:1], off
	s_waitcnt vmcnt(0)
	v_cvt_f32_u32_e32 v3, v2
.LBB14_809:
	s_mov_b64 s[38:39], 0
.LBB14_810:
	s_andn2_b64 vcc, exec, s[38:39]
	s_cbranch_vccnz .LBB14_818
; %bb.811:
	global_load_ubyte v2, v[0:1], off
	s_movk_i32 s15, 0x7f
	s_mov_b64 s[38:39], 0
	s_waitcnt vmcnt(0)
	v_cmp_lt_i16_e32 vcc, s15, v2
                                        ; implicit-def: $sgpr15
	s_and_saveexec_b64 s[40:41], vcc
	s_xor_b64 s[40:41], exec, s[40:41]
	s_cbranch_execz .LBB14_832
; %bb.812:
	s_movk_i32 s15, 0x80
	v_cmp_eq_u16_e32 vcc, s15, v2
	s_mov_b64 s[38:39], -1
                                        ; implicit-def: $sgpr15
	s_and_saveexec_b64 s[42:43], vcc
; %bb.813:
	s_mov_b32 s15, 0x7f800001
	s_xor_b64 s[38:39], exec, -1
; %bb.814:
	s_or_b64 exec, exec, s[42:43]
	s_and_b64 s[38:39], s[38:39], exec
	s_or_saveexec_b64 s[40:41], s[40:41]
	v_mov_b32_e32 v3, s15
	s_xor_b64 exec, exec, s[40:41]
	s_cbranch_execnz .LBB14_833
.LBB14_815:
	s_or_b64 exec, exec, s[40:41]
	s_and_saveexec_b64 s[40:41], s[38:39]
	s_cbranch_execz .LBB14_817
.LBB14_816:
	v_lshlrev_b32_e32 v3, 24, v2
	v_and_b32_e32 v2, 0xffff, v2
	v_and_b32_e32 v6, 7, v2
	v_ffbh_u32_e32 v8, v6
	v_min_u32_e32 v8, 32, v8
	v_subrev_u32_e32 v9, 28, v8
	v_bfe_u32 v7, v2, 3, 4
	v_lshlrev_b32_e32 v2, v9, v2
	v_sub_u32_e32 v8, 29, v8
	v_and_b32_e32 v2, 7, v2
	v_cmp_eq_u32_e32 vcc, 0, v7
	v_cndmask_b32_e32 v7, v7, v8, vcc
	v_cndmask_b32_e32 v2, v6, v2, vcc
	v_mov_b32_e32 v6, 0x3b800000
	v_lshlrev_b32_e32 v2, 20, v2
	v_and_b32_e32 v3, 0x80000000, v3
	v_lshl_add_u32 v6, v7, 23, v6
	v_or3_b32 v3, v3, v6, v2
.LBB14_817:
	s_or_b64 exec, exec, s[40:41]
.LBB14_818:
	s_mov_b64 s[38:39], -1
.LBB14_819:
	s_mov_b64 s[40:41], 0
.LBB14_820:
	s_and_b64 vcc, exec, s[40:41]
	s_cbranch_vccz .LBB14_853
; %bb.821:
	v_cmp_lt_i16_e32 vcc, 22, v5
	s_cbranch_vccz .LBB14_831
; %bb.822:
	v_cmp_gt_i16_e32 vcc, 24, v5
	s_cbranch_vccnz .LBB14_834
; %bb.823:
	v_cmp_lt_i16_e32 vcc, 24, v5
	s_cbranch_vccz .LBB14_835
; %bb.824:
	global_load_ubyte v2, v[0:1], off
	s_movk_i32 s15, 0x7f
	s_waitcnt vmcnt(0)
	v_cmp_lt_i16_e32 vcc, s15, v2
                                        ; implicit-def: $sgpr15
	s_and_saveexec_b64 s[38:39], vcc
	s_xor_b64 s[38:39], exec, s[38:39]
	s_cbranch_execz .LBB14_847
; %bb.825:
	s_movk_i32 s15, 0x80
	v_cmp_eq_u16_e32 vcc, s15, v2
	s_mov_b64 s[36:37], -1
                                        ; implicit-def: $sgpr15
	s_and_saveexec_b64 s[40:41], vcc
; %bb.826:
	s_mov_b32 s15, 0x7f800001
	s_xor_b64 s[36:37], exec, -1
; %bb.827:
	s_or_b64 exec, exec, s[40:41]
	s_and_b64 s[36:37], s[36:37], exec
	s_or_saveexec_b64 s[38:39], s[38:39]
	v_mov_b32_e32 v3, s15
	s_xor_b64 exec, exec, s[38:39]
	s_cbranch_execnz .LBB14_848
.LBB14_828:
	s_or_b64 exec, exec, s[38:39]
	s_and_saveexec_b64 s[38:39], s[36:37]
	s_cbranch_execz .LBB14_830
.LBB14_829:
	v_lshlrev_b32_e32 v3, 24, v2
	v_and_b32_e32 v2, 0xffff, v2
	v_and_b32_e32 v6, 3, v2
	v_ffbh_u32_e32 v8, v6
	v_min_u32_e32 v8, 32, v8
	v_subrev_u32_e32 v9, 29, v8
	v_bfe_u32 v7, v2, 2, 5
	v_lshlrev_b32_e32 v2, v9, v2
	v_sub_u32_e32 v8, 30, v8
	v_and_b32_e32 v2, 3, v2
	v_cmp_eq_u32_e32 vcc, 0, v7
	v_cndmask_b32_e32 v7, v7, v8, vcc
	v_cndmask_b32_e32 v2, v6, v2, vcc
	v_mov_b32_e32 v6, 0x37800000
	v_lshlrev_b32_e32 v2, 21, v2
	v_and_b32_e32 v3, 0x80000000, v3
	v_lshl_add_u32 v6, v7, 23, v6
	v_or3_b32 v3, v3, v6, v2
.LBB14_830:
	s_or_b64 exec, exec, s[38:39]
	s_mov_b64 s[36:37], 0
	s_branch .LBB14_836
.LBB14_831:
	s_mov_b64 s[36:37], -1
                                        ; implicit-def: $vgpr3
	s_branch .LBB14_842
.LBB14_832:
	s_or_saveexec_b64 s[40:41], s[40:41]
	v_mov_b32_e32 v3, s15
	s_xor_b64 exec, exec, s[40:41]
	s_cbranch_execz .LBB14_815
.LBB14_833:
	v_cmp_ne_u16_e32 vcc, 0, v2
	s_andn2_b64 s[38:39], s[38:39], exec
	s_and_b64 s[42:43], vcc, exec
	v_mov_b32_e32 v3, 0
	s_or_b64 s[38:39], s[38:39], s[42:43]
	s_or_b64 exec, exec, s[40:41]
	s_and_saveexec_b64 s[40:41], s[38:39]
	s_cbranch_execnz .LBB14_816
	s_branch .LBB14_817
.LBB14_834:
	s_mov_b64 s[36:37], -1
                                        ; implicit-def: $vgpr3
	s_branch .LBB14_839
.LBB14_835:
	s_mov_b64 s[36:37], -1
                                        ; implicit-def: $vgpr3
.LBB14_836:
	s_and_b64 vcc, exec, s[36:37]
	s_cbranch_vccz .LBB14_838
; %bb.837:
	global_load_ubyte v2, v[0:1], off
	s_mov_b32 s15, 0x7f800000
	s_waitcnt vmcnt(0)
	v_lshlrev_b32_e32 v2, 24, v2
	v_and_b32_e32 v3, 0x7f000000, v2
	v_ffbh_u32_e32 v6, v3
	v_min_u32_e32 v6, 32, v6
	v_sub_u32_e64 v6, v6, 4 clamp
	v_lshlrev_b32_e32 v8, v6, v3
	v_lshlrev_b32_e32 v6, 23, v6
	v_lshrrev_b32_e32 v8, 4, v8
	v_add_u32_e32 v7, 0x1000000, v3
	v_sub_u32_e32 v6, v8, v6
	v_ashrrev_i32_e32 v7, 8, v7
	v_add_u32_e32 v6, 0x3c000000, v6
	v_and_or_b32 v6, v7, s15, v6
	v_cmp_ne_u32_e32 vcc, 0, v3
	v_cndmask_b32_e32 v3, 0, v6, vcc
	s_brev_b32 s15, 1
	v_and_or_b32 v3, v2, s15, v3
.LBB14_838:
	s_mov_b64 s[36:37], 0
.LBB14_839:
	s_andn2_b64 vcc, exec, s[36:37]
	s_cbranch_vccnz .LBB14_841
; %bb.840:
	global_load_ubyte v2, v[0:1], off
	s_movk_i32 s15, 0x7f00
	s_brev_b32 s36, 16
	s_waitcnt vmcnt(0)
	v_lshlrev_b16_e32 v3, 8, v2
	v_lshlrev_b32_e32 v2, 25, v2
	v_lshrrev_b32_e32 v6, 4, v2
	v_and_or_b32 v7, v3, s15, 0.5
	v_or_b32_e32 v6, 0x70000000, v6
	v_add_f32_e32 v7, -0.5, v7
	v_mul_f32_e32 v6, 0x7800000, v6
	v_cmp_gt_u32_e32 vcc, s36, v2
	v_bfe_i32 v3, v3, 0, 16
	v_cndmask_b32_e32 v2, v6, v7, vcc
	s_brev_b32 s15, 1
	v_and_or_b32 v3, v3, s15, v2
.LBB14_841:
	s_mov_b64 s[36:37], 0
	s_mov_b64 s[38:39], -1
.LBB14_842:
	s_andn2_b64 vcc, exec, s[36:37]
	s_mov_b64 s[36:37], 0
	s_cbranch_vccnz .LBB14_853
; %bb.843:
	v_cmp_lt_i16_e32 vcc, 14, v5
	s_cbranch_vccz .LBB14_846
; %bb.844:
	v_cmp_eq_u16_e32 vcc, 15, v5
	s_cbranch_vccz .LBB14_849
; %bb.845:
	global_load_ushort v2, v[0:1], off
	s_mov_b64 s[34:35], 0
	s_mov_b64 s[38:39], -1
	s_waitcnt vmcnt(0)
	v_lshlrev_b32_e32 v3, 16, v2
	s_branch .LBB14_850
.LBB14_846:
	s_mov_b64 s[40:41], -1
                                        ; implicit-def: $vgpr3
	s_branch .LBB14_851
.LBB14_847:
	s_or_saveexec_b64 s[38:39], s[38:39]
	v_mov_b32_e32 v3, s15
	s_xor_b64 exec, exec, s[38:39]
	s_cbranch_execz .LBB14_828
.LBB14_848:
	v_cmp_ne_u16_e32 vcc, 0, v2
	s_andn2_b64 s[36:37], s[36:37], exec
	s_and_b64 s[40:41], vcc, exec
	v_mov_b32_e32 v3, 0
	s_or_b64 s[36:37], s[36:37], s[40:41]
	s_or_b64 exec, exec, s[38:39]
	s_and_saveexec_b64 s[38:39], s[36:37]
	s_cbranch_execnz .LBB14_829
	s_branch .LBB14_830
.LBB14_849:
	s_mov_b64 s[34:35], -1
                                        ; implicit-def: $vgpr3
.LBB14_850:
	s_mov_b64 s[40:41], 0
.LBB14_851:
	s_and_b64 vcc, exec, s[40:41]
	s_cbranch_vccz .LBB14_853
; %bb.852:
	v_cmp_ne_u16_e32 vcc, 11, v5
	s_andn2_b64 s[34:35], s[34:35], exec
	s_and_b64 s[40:41], vcc, exec
	s_mov_b64 s[36:37], -1
	s_or_b64 s[34:35], s[34:35], s[40:41]
                                        ; implicit-def: $vgpr3
.LBB14_853:
	s_mov_b64 s[40:41], 0
.LBB14_854:
	s_and_b64 s[42:43], s[38:39], exec
	s_and_b64 s[38:39], s[40:41], exec
	s_andn2_b64 s[40:41], s[0:1], exec
	s_and_b64 s[34:35], s[34:35], exec
	s_and_b64 s[36:37], s[36:37], exec
	s_or_b64 s[40:41], s[40:41], s[34:35]
.LBB14_855:
	s_or_b64 exec, exec, s[30:31]
	s_and_b64 s[34:35], s[36:37], exec
	s_andn2_b64 s[0:1], s[0:1], exec
	s_and_b64 s[36:37], s[40:41], exec
	s_and_b64 s[30:31], s[42:43], exec
	;; [unrolled: 1-line block ×3, first 2 shown]
	s_or_b64 s[0:1], s[0:1], s[36:37]
.LBB14_856:
	s_or_b64 exec, exec, s[28:29]
	s_andn2_b64 s[24:25], s[24:25], exec
	s_and_b64 s[2:3], s[2:3], exec
	s_andn2_b64 s[22:23], s[22:23], exec
	s_and_b64 s[0:1], s[0:1], exec
	s_or_b64 s[24:25], s[24:25], s[2:3]
	s_and_b64 s[30:31], s[30:31], exec
	s_and_b64 s[28:29], s[38:39], exec
	s_and_b64 s[2:3], s[34:35], exec
	s_or_b64 s[22:23], s[22:23], s[0:1]
.LBB14_857:
	s_or_b64 exec, exec, s[26:27]
	s_andn2_b64 s[0:1], s[16:17], exec
	s_and_b64 s[16:17], s[24:25], exec
	s_and_b64 s[24:25], s[2:3], exec
	s_andn2_b64 s[2:3], s[18:19], exec
	s_and_b64 s[18:19], s[22:23], exec
	s_or_b64 s[16:17], s[0:1], s[16:17]
	s_and_b64 s[0:1], s[30:31], exec
	s_and_b64 s[26:27], s[28:29], exec
	s_or_b64 s[18:19], s[2:3], s[18:19]
	s_or_b64 exec, exec, s[20:21]
	s_mov_b64 s[20:21], 0
	s_and_saveexec_b64 s[2:3], s[18:19]
	s_cbranch_execz .LBB14_261
.LBB14_858:
	s_mov_b64 s[20:21], exec
	s_andn2_b64 s[24:25], s[24:25], exec
	s_trap 2
                                        ; implicit-def: $vgpr3
	s_or_b64 exec, exec, s[2:3]
	s_and_saveexec_b64 s[2:3], s[24:25]
	s_xor_b64 s[2:3], exec, s[2:3]
	s_cbranch_execnz .LBB14_262
.LBB14_859:
	s_or_b64 exec, exec, s[2:3]
	s_and_saveexec_b64 s[2:3], s[26:27]
	s_cbranch_execz .LBB14_905
.LBB14_860:
	v_cmp_gt_i16_e32 vcc, 5, v5
	s_cbranch_vccnz .LBB14_865
; %bb.861:
	v_cmp_gt_i16_e32 vcc, 8, v5
	s_cbranch_vccnz .LBB14_866
; %bb.862:
	v_cmp_gt_i16_e32 vcc, 9, v5
	s_cbranch_vccnz .LBB14_867
; %bb.863:
	v_cmp_lt_i16_e32 vcc, 9, v5
	s_cbranch_vccz .LBB14_868
; %bb.864:
	global_load_dwordx2 v[2:3], v[0:1], off
	s_mov_b64 s[18:19], 0
	s_waitcnt vmcnt(0)
	v_cvt_f32_f64_e32 v3, v[2:3]
	s_branch .LBB14_869
.LBB14_865:
                                        ; implicit-def: $vgpr3
	s_branch .LBB14_886
.LBB14_866:
                                        ; implicit-def: $vgpr3
	s_branch .LBB14_875
.LBB14_867:
	s_mov_b64 s[18:19], -1
                                        ; implicit-def: $vgpr3
	s_branch .LBB14_872
.LBB14_868:
	s_mov_b64 s[18:19], -1
                                        ; implicit-def: $vgpr3
.LBB14_869:
	s_andn2_b64 vcc, exec, s[18:19]
	s_cbranch_vccnz .LBB14_871
; %bb.870:
	global_load_dword v3, v[0:1], off
.LBB14_871:
	s_mov_b64 s[18:19], 0
.LBB14_872:
	s_andn2_b64 vcc, exec, s[18:19]
	s_cbranch_vccnz .LBB14_874
; %bb.873:
	global_load_dword v2, v[0:1], off
	s_waitcnt vmcnt(0)
	v_cvt_f32_f16_e32 v3, v2
.LBB14_874:
	s_cbranch_execnz .LBB14_885
.LBB14_875:
	v_cmp_gt_i16_e32 vcc, 6, v5
	s_cbranch_vccnz .LBB14_878
; %bb.876:
	v_cmp_lt_i16_e32 vcc, 6, v5
	s_cbranch_vccz .LBB14_879
; %bb.877:
	global_load_dwordx2 v[2:3], v[0:1], off
	s_mov_b64 s[18:19], 0
	s_waitcnt vmcnt(0)
	v_cvt_f32_f64_e32 v3, v[2:3]
	s_branch .LBB14_880
.LBB14_878:
	s_mov_b64 s[18:19], -1
                                        ; implicit-def: $vgpr3
	s_branch .LBB14_883
.LBB14_879:
	s_mov_b64 s[18:19], -1
                                        ; implicit-def: $vgpr3
.LBB14_880:
	s_andn2_b64 vcc, exec, s[18:19]
	s_cbranch_vccnz .LBB14_882
; %bb.881:
	global_load_dword v3, v[0:1], off
.LBB14_882:
	s_mov_b64 s[18:19], 0
.LBB14_883:
	s_andn2_b64 vcc, exec, s[18:19]
	s_cbranch_vccnz .LBB14_885
; %bb.884:
	global_load_ushort v2, v[0:1], off
	s_waitcnt vmcnt(0)
	v_cvt_f32_f16_e32 v3, v2
.LBB14_885:
	s_cbranch_execnz .LBB14_904
.LBB14_886:
	v_cmp_gt_i16_e32 vcc, 2, v5
	s_cbranch_vccnz .LBB14_890
; %bb.887:
	v_cmp_gt_i16_e32 vcc, 3, v5
	s_cbranch_vccnz .LBB14_891
; %bb.888:
	v_cmp_lt_i16_e32 vcc, 3, v5
	s_cbranch_vccz .LBB14_892
; %bb.889:
	global_load_dwordx2 v[2:3], v[0:1], off
	s_mov_b64 s[18:19], 0
	s_waitcnt vmcnt(0)
	v_xor_b32_e32 v7, v2, v3
	v_ffbh_i32_e32 v6, v3
	v_ashrrev_i32_e32 v7, 31, v7
	v_add_u32_e32 v6, -1, v6
	v_add_u32_e32 v7, 32, v7
	v_min_u32_e32 v6, v6, v7
	v_lshlrev_b64 v[2:3], v6, v[2:3]
	v_min_u32_e32 v2, 1, v2
	v_or_b32_e32 v2, v3, v2
	v_cvt_f32_i32_e32 v2, v2
	v_sub_u32_e32 v3, 32, v6
	v_ldexp_f32 v3, v2, v3
	s_branch .LBB14_893
.LBB14_890:
                                        ; implicit-def: $vgpr3
	s_branch .LBB14_899
.LBB14_891:
	s_mov_b64 s[18:19], -1
                                        ; implicit-def: $vgpr3
	s_branch .LBB14_896
.LBB14_892:
	s_mov_b64 s[18:19], -1
                                        ; implicit-def: $vgpr3
.LBB14_893:
	s_andn2_b64 vcc, exec, s[18:19]
	s_cbranch_vccnz .LBB14_895
; %bb.894:
	global_load_dword v2, v[0:1], off
	s_waitcnt vmcnt(0)
	v_cvt_f32_i32_e32 v3, v2
.LBB14_895:
	s_mov_b64 s[18:19], 0
.LBB14_896:
	s_andn2_b64 vcc, exec, s[18:19]
	s_cbranch_vccnz .LBB14_898
; %bb.897:
	global_load_sshort v2, v[0:1], off
	s_waitcnt vmcnt(0)
	v_cvt_f32_i32_e32 v3, v2
.LBB14_898:
	s_cbranch_execnz .LBB14_904
.LBB14_899:
	v_cmp_lt_i16_e32 vcc, 0, v5
	s_cbranch_vccz .LBB14_901
; %bb.900:
	global_load_sbyte v2, v[0:1], off
	s_mov_b64 s[18:19], 0
	s_waitcnt vmcnt(0)
	v_cvt_f32_i32_e32 v3, v2
	s_branch .LBB14_902
.LBB14_901:
	s_mov_b64 s[18:19], -1
                                        ; implicit-def: $vgpr3
.LBB14_902:
	s_andn2_b64 vcc, exec, s[18:19]
	s_cbranch_vccnz .LBB14_904
; %bb.903:
	global_load_ubyte v0, v[0:1], off
	s_waitcnt vmcnt(0)
	v_cvt_f32_ubyte0_e32 v3, v0
.LBB14_904:
	s_or_b64 s[0:1], s[0:1], exec
.LBB14_905:
	s_or_b64 exec, exec, s[2:3]
	s_mov_b64 s[24:25], 0
	s_mov_b64 s[22:23], 0
                                        ; implicit-def: $vgpr5
                                        ; implicit-def: $vgpr0_vgpr1
                                        ; implicit-def: $vgpr2
	s_and_saveexec_b64 s[18:19], s[0:1]
	s_cbranch_execz .LBB14_923
; %bb.906:
	s_waitcnt vmcnt(0)
	v_cmp_nge_f32_e64 s[0:1], v3, -s14
	v_cmp_nge_f32_e32 vcc, s14, v3
	v_mul_lo_u32 v0, v4, s12
	s_or_b64 s[0:1], s[0:1], vcc
	v_ashrrev_i32_e32 v1, 31, v0
	v_mov_b32_e32 v4, s9
	v_add_co_u32_e32 v0, vcc, s8, v0
	v_addc_co_u32_e32 v1, vcc, v4, v1, vcc
	v_mov_b32_e32 v4, 0xff
	v_and_b32_e32 v5, s33, v4
	v_cmp_gt_i16_e32 vcc, 11, v5
	v_cndmask_b32_e64 v2, 0, v3, s[0:1]
	s_cbranch_vccnz .LBB14_926
; %bb.907:
	v_cmp_lt_i16_e32 vcc, 25, v5
	s_mov_b64 s[24:25], -1
	s_mov_b64 s[2:3], s[16:17]
	s_cbranch_vccz .LBB14_944
; %bb.908:
	v_cmp_lt_i16_e32 vcc, 28, v5
	s_mov_b64 s[22:23], -1
	s_mov_b64 s[2:3], s[16:17]
	s_cbranch_vccz .LBB14_928
; %bb.909:
	v_cmp_lt_i16_e32 vcc, 43, v5
	s_mov_b64 s[2:3], s[16:17]
	s_cbranch_vccz .LBB14_920
; %bb.910:
	v_cmp_lt_i16_e32 vcc, 45, v5
	s_mov_b64 s[2:3], s[16:17]
	s_cbranch_vccz .LBB14_914
; %bb.911:
	v_cmp_eq_u16_e32 vcc, 46, v5
	s_mov_b64 s[2:3], -1
	s_cbranch_vccz .LBB14_913
; %bb.912:
	v_bfe_u32 v4, v2, 16, 1
	s_movk_i32 s2, 0x7fff
	v_add3_u32 v4, v2, v4, s2
	v_lshrrev_b32_e32 v4, 16, v4
	v_mov_b32_e32 v6, 0x7fc0
	v_cmp_o_f32_e32 vcc, v2, v2
	v_cndmask_b32_e32 v4, v6, v4, vcc
	global_store_dword v[0:1], v4, off
	s_mov_b64 s[2:3], 0
.LBB14_913:
	s_mov_b64 s[22:23], 0
.LBB14_914:
	s_and_b64 vcc, exec, s[22:23]
	s_cbranch_vccz .LBB14_919
; %bb.915:
	v_cmp_eq_u16_e32 vcc, 44, v5
	s_mov_b64 s[2:3], -1
	s_cbranch_vccz .LBB14_919
; %bb.916:
	v_bfe_u32 v4, v2, 23, 8
	s_movk_i32 s2, 0xff
	v_cmp_ne_u32_e32 vcc, s2, v4
	v_mov_b32_e32 v6, 0xff
	s_and_saveexec_b64 s[22:23], vcc
; %bb.917:
	s_mov_b32 s2, 0x3fffff
	v_and_b32_e32 v7, 0x400000, v2
	v_and_or_b32 v4, v2, s2, v4
	v_cmp_ne_u32_e32 vcc, 0, v7
	v_cmp_ne_u32_e64 s[2:3], 0, v4
	s_and_b64 s[2:3], vcc, s[2:3]
	v_lshrrev_b32_e32 v6, 23, v2
	v_cndmask_b32_e64 v4, 0, 1, s[2:3]
	v_add_u32_e32 v6, v6, v4
; %bb.918:
	s_or_b64 exec, exec, s[22:23]
	s_mov_b64 s[2:3], 0
	global_store_byte v[0:1], v6, off
.LBB14_919:
	s_mov_b64 s[22:23], 0
.LBB14_920:
	s_and_b64 vcc, exec, s[22:23]
	s_cbranch_vccz .LBB14_927
; %bb.921:
	v_cmp_eq_u16_e32 vcc, 29, v5
	s_mov_b64 s[2:3], -1
	s_cbranch_vccz .LBB14_927
; %bb.922:
	v_trunc_f32_e32 v4, v2
	v_mul_f32_e32 v6, 0x2f800000, v4
	v_floor_f32_e32 v6, v6
	v_fmac_f32_e32 v4, 0xcf800000, v6
	v_cvt_u32_f32_e32 v7, v6
	v_cvt_u32_f32_e32 v6, v4
	s_mov_b64 s[2:3], 0
	s_mov_b64 s[22:23], 0
	global_store_dwordx2 v[0:1], v[6:7], off
	s_branch .LBB14_928
.LBB14_923:
	s_or_b64 exec, exec, s[18:19]
	s_and_saveexec_b64 s[0:1], s[16:17]
	s_cbranch_execnz .LBB14_986
.LBB14_924:
	s_or_b64 exec, exec, s[0:1]
	s_and_saveexec_b64 s[0:1], s[24:25]
	s_xor_b64 s[0:1], exec, s[0:1]
	s_cbranch_execz .LBB14_987
.LBB14_925:
	v_cmp_neq_f32_e32 vcc, 0, v2
	s_waitcnt vmcnt(0)
	v_cndmask_b32_e64 v3, 0, 1, vcc
	global_store_byte v[0:1], v3, off
	s_or_b64 exec, exec, s[0:1]
	s_and_saveexec_b64 s[0:1], s[22:23]
	s_xor_b64 s[0:1], exec, s[0:1]
	s_cbranch_execz .LBB14_1025
	s_branch .LBB14_988
.LBB14_926:
	s_mov_b64 s[0:1], 0
	s_mov_b64 s[22:23], -1
	s_mov_b64 s[2:3], s[16:17]
	s_branch .LBB14_985
.LBB14_927:
	s_mov_b64 s[22:23], 0
.LBB14_928:
	s_and_b64 vcc, exec, s[22:23]
	s_cbranch_vccz .LBB14_943
; %bb.929:
	v_cmp_gt_i16_e32 vcc, 27, v5
	s_mov_b64 s[22:23], -1
	s_cbranch_vccnz .LBB14_935
; %bb.930:
	v_cvt_u32_f32_e32 v4, v2
	v_cmp_lt_i16_e32 vcc, 27, v5
	s_cbranch_vccz .LBB14_932
; %bb.931:
	s_mov_b64 s[22:23], 0
	global_store_dword v[0:1], v4, off
.LBB14_932:
	s_andn2_b64 vcc, exec, s[22:23]
	s_cbranch_vccnz .LBB14_934
; %bb.933:
	global_store_short v[0:1], v4, off
.LBB14_934:
	s_mov_b64 s[22:23], 0
.LBB14_935:
	s_andn2_b64 vcc, exec, s[22:23]
	s_cbranch_vccnz .LBB14_943
; %bb.936:
	v_cndmask_b32_e64 v6, 0, |v3|, s[0:1]
	s_mov_b32 s15, 0x43800000
	v_cmp_gt_u32_e32 vcc, s15, v6
	v_mov_b32_e32 v7, 0x80
	s_and_saveexec_b64 s[22:23], vcc
	s_cbranch_execz .LBB14_942
; %bb.937:
	s_mov_b32 s15, 0x3bffffff
	v_cmp_lt_u32_e32 vcc, s15, v6
	s_mov_b64 s[24:25], 0
                                        ; implicit-def: $vgpr4
	s_and_saveexec_b64 s[26:27], vcc
	s_xor_b64 s[26:27], exec, s[26:27]
	s_cbranch_execz .LBB14_1040
; %bb.938:
	v_bfe_u32 v4, v2, 20, 1
	s_mov_b32 s15, 0x487ffff
	v_add3_u32 v4, v2, v4, s15
	s_mov_b64 s[24:25], exec
	v_lshrrev_b32_e32 v4, 20, v4
                                        ; implicit-def: $vgpr6
	s_or_saveexec_b64 s[26:27], s[26:27]
                                        ; implicit-def: $sgpr15
	s_xor_b64 exec, exec, s[26:27]
	s_cbranch_execnz .LBB14_1041
.LBB14_939:
	s_or_b64 exec, exec, s[26:27]
	v_mov_b32_e32 v7, s15
	s_and_saveexec_b64 s[26:27], s[24:25]
.LBB14_940:
	v_lshrrev_b32_e32 v6, 24, v2
	s_movk_i32 s15, 0x80
	v_and_or_b32 v7, v6, s15, v4
.LBB14_941:
	s_or_b64 exec, exec, s[26:27]
.LBB14_942:
	s_or_b64 exec, exec, s[22:23]
	global_store_byte v[0:1], v7, off
.LBB14_943:
	s_mov_b64 s[24:25], 0
.LBB14_944:
	s_mov_b64 s[22:23], 0
	s_and_b64 vcc, exec, s[24:25]
	s_cbranch_vccz .LBB14_984
; %bb.945:
	v_cmp_lt_i16_e32 vcc, 22, v5
	s_mov_b64 s[24:25], -1
	s_cbranch_vccz .LBB14_977
; %bb.946:
	v_cmp_gt_i16_e32 vcc, 24, v5
	s_cbranch_vccnz .LBB14_966
; %bb.947:
	v_cmp_lt_i16_e32 vcc, 24, v5
	s_cbranch_vccz .LBB14_955
; %bb.948:
	v_cndmask_b32_e64 v6, 0, |v3|, s[0:1]
	s_mov_b32 s15, 0x47800000
	v_cmp_gt_u32_e32 vcc, s15, v6
	v_mov_b32_e32 v7, 0x80
	s_and_saveexec_b64 s[24:25], vcc
	s_cbranch_execz .LBB14_954
; %bb.949:
	s_mov_b32 s15, 0x37ffffff
	v_cmp_lt_u32_e32 vcc, s15, v6
	s_mov_b64 s[26:27], 0
                                        ; implicit-def: $vgpr4
	s_and_saveexec_b64 s[28:29], vcc
	s_xor_b64 s[28:29], exec, s[28:29]
	s_cbranch_execz .LBB14_1165
; %bb.950:
	v_bfe_u32 v4, v2, 21, 1
	s_mov_b32 s15, 0x88fffff
	v_add3_u32 v4, v2, v4, s15
	s_mov_b64 s[26:27], exec
	v_lshrrev_b32_e32 v4, 21, v4
                                        ; implicit-def: $vgpr6
	s_or_saveexec_b64 s[28:29], s[28:29]
                                        ; implicit-def: $sgpr15
	s_xor_b64 exec, exec, s[28:29]
	s_cbranch_execnz .LBB14_1166
.LBB14_951:
	s_or_b64 exec, exec, s[28:29]
	v_mov_b32_e32 v7, s15
	s_and_saveexec_b64 s[28:29], s[26:27]
.LBB14_952:
	v_lshrrev_b32_e32 v6, 24, v2
	s_movk_i32 s15, 0x80
	v_and_or_b32 v7, v6, s15, v4
.LBB14_953:
	s_or_b64 exec, exec, s[28:29]
.LBB14_954:
	s_or_b64 exec, exec, s[24:25]
	s_mov_b64 s[24:25], 0
	global_store_byte v[0:1], v7, off
.LBB14_955:
	s_and_b64 vcc, exec, s[24:25]
	s_cbranch_vccz .LBB14_965
; %bb.956:
	v_cndmask_b32_e64 v6, 0, |v3|, s[0:1]
	s_mov_b32 s15, 0x43f00000
	v_cmp_gt_u32_e32 vcc, s15, v6
                                        ; implicit-def: $vgpr4
	s_and_saveexec_b64 s[24:25], vcc
	s_xor_b64 s[24:25], exec, s[24:25]
	s_cbranch_execz .LBB14_962
; %bb.957:
	s_mov_b32 s15, 0x3c7fffff
	v_cmp_lt_u32_e32 vcc, s15, v6
                                        ; implicit-def: $vgpr4
	s_and_saveexec_b64 s[26:27], vcc
	s_xor_b64 s[26:27], exec, s[26:27]
; %bb.958:
	v_bfe_u32 v4, v2, 20, 1
	s_mov_b32 s15, 0x407ffff
	v_add3_u32 v4, v2, v4, s15
	v_lshrrev_b32_e32 v6, 20, v4
	v_and_b32_e32 v4, 0xff00000, v4
	s_mov_b32 s15, 0x7f00000
	v_mov_b32_e32 v7, 0x7e
	v_cmp_ne_u32_e32 vcc, s15, v4
	v_cndmask_b32_e32 v4, v7, v6, vcc
                                        ; implicit-def: $vgpr6
; %bb.959:
	s_andn2_saveexec_b64 s[26:27], s[26:27]
; %bb.960:
	v_add_f32_e32 v4, 0x46800000, v6
; %bb.961:
	s_or_b64 exec, exec, s[26:27]
                                        ; implicit-def: $vgpr6
.LBB14_962:
	s_andn2_saveexec_b64 s[24:25], s[24:25]
; %bb.963:
	s_mov_b32 s15, 0x7f800000
	v_mov_b32_e32 v4, 0x7e
	v_mov_b32_e32 v7, 0x7f
	v_cmp_lt_u32_e32 vcc, s15, v6
	v_cndmask_b32_e32 v4, v4, v7, vcc
; %bb.964:
	s_or_b64 exec, exec, s[24:25]
	v_lshrrev_b32_e32 v6, 24, v2
	s_movk_i32 s15, 0x80
	v_and_or_b32 v4, v6, s15, v4
	global_store_byte v[0:1], v4, off
.LBB14_965:
	s_mov_b64 s[24:25], 0
.LBB14_966:
	s_andn2_b64 vcc, exec, s[24:25]
	s_cbranch_vccnz .LBB14_976
; %bb.967:
	v_cndmask_b32_e64 v4, 0, |v3|, s[0:1]
	s_mov_b32 s0, 0x47800000
	v_cmp_gt_u32_e32 vcc, s0, v4
                                        ; implicit-def: $vgpr3
	s_and_saveexec_b64 s[0:1], vcc
	s_xor_b64 s[0:1], exec, s[0:1]
	s_cbranch_execz .LBB14_973
; %bb.968:
	s_mov_b32 s15, 0x387fffff
	v_cmp_lt_u32_e32 vcc, s15, v4
                                        ; implicit-def: $vgpr3
	s_and_saveexec_b64 s[24:25], vcc
	s_xor_b64 s[24:25], exec, s[24:25]
; %bb.969:
	v_bfe_u32 v3, v2, 21, 1
	s_mov_b32 s15, 0x80fffff
	v_add3_u32 v3, v2, v3, s15
	v_lshrrev_b32_e32 v3, 21, v3
                                        ; implicit-def: $vgpr4
; %bb.970:
	s_andn2_saveexec_b64 s[24:25], s[24:25]
; %bb.971:
	v_add_f32_e32 v3, 0x43000000, v4
; %bb.972:
	s_or_b64 exec, exec, s[24:25]
                                        ; implicit-def: $vgpr4
.LBB14_973:
	s_andn2_saveexec_b64 s[0:1], s[0:1]
; %bb.974:
	s_mov_b32 s15, 0x7f800000
	v_mov_b32_e32 v3, 0x7c
	v_mov_b32_e32 v6, 0x7f
	v_cmp_lt_u32_e32 vcc, s15, v4
	v_cndmask_b32_e32 v3, v3, v6, vcc
; %bb.975:
	s_or_b64 exec, exec, s[0:1]
	v_lshrrev_b32_e32 v4, 24, v2
	s_movk_i32 s0, 0x80
	v_and_or_b32 v3, v4, s0, v3
	global_store_byte v[0:1], v3, off
.LBB14_976:
	s_mov_b64 s[24:25], 0
.LBB14_977:
	s_andn2_b64 vcc, exec, s[24:25]
	s_mov_b64 s[0:1], 0
	s_cbranch_vccnz .LBB14_985
; %bb.978:
	v_cmp_lt_i16_e32 vcc, 14, v5
	s_mov_b64 s[24:25], -1
	s_cbranch_vccz .LBB14_982
; %bb.979:
	v_cmp_eq_u16_e32 vcc, 15, v5
	s_mov_b64 s[2:3], -1
	s_cbranch_vccz .LBB14_981
; %bb.980:
	v_bfe_u32 v3, v2, 16, 1
	s_movk_i32 s0, 0x7fff
	v_add3_u32 v3, v2, v3, s0
	v_lshrrev_b32_e32 v3, 16, v3
	v_mov_b32_e32 v4, 0x7fc0
	v_cmp_o_f32_e32 vcc, v2, v2
	v_cndmask_b32_e32 v3, v4, v3, vcc
	global_store_short v[0:1], v3, off
	s_mov_b64 s[2:3], 0
.LBB14_981:
	s_mov_b64 s[24:25], 0
.LBB14_982:
	s_mov_b64 s[0:1], 0
	s_and_b64 vcc, exec, s[24:25]
	s_cbranch_vccz .LBB14_985
; %bb.983:
	v_cmp_ne_u16_e32 vcc, 11, v5
	s_andn2_b64 s[2:3], s[2:3], exec
	s_and_b64 s[24:25], vcc, exec
	s_mov_b64 s[0:1], -1
	s_or_b64 s[2:3], s[2:3], s[24:25]
	s_branch .LBB14_985
.LBB14_984:
	s_mov_b64 s[0:1], 0
.LBB14_985:
	s_and_b64 s[24:25], s[0:1], exec
	s_andn2_b64 s[0:1], s[16:17], exec
	s_and_b64 s[2:3], s[2:3], exec
	s_and_b64 s[22:23], s[22:23], exec
	s_or_b64 s[16:17], s[0:1], s[2:3]
	s_or_b64 exec, exec, s[18:19]
	s_and_saveexec_b64 s[0:1], s[16:17]
	s_cbranch_execz .LBB14_924
.LBB14_986:
	s_or_b64 s[20:21], s[20:21], exec
	s_andn2_b64 s[24:25], s[24:25], exec
	s_trap 2
	s_or_b64 exec, exec, s[0:1]
	s_and_saveexec_b64 s[0:1], s[24:25]
	s_xor_b64 s[0:1], exec, s[0:1]
	s_cbranch_execnz .LBB14_925
.LBB14_987:
	s_or_b64 exec, exec, s[0:1]
	s_and_saveexec_b64 s[0:1], s[22:23]
	s_xor_b64 s[0:1], exec, s[0:1]
	s_cbranch_execz .LBB14_1025
.LBB14_988:
	v_cmp_gt_i16_e32 vcc, 5, v5
	s_mov_b64 s[2:3], -1
	s_cbranch_vccnz .LBB14_1009
; %bb.989:
	v_cmp_gt_i16_e32 vcc, 8, v5
	s_cbranch_vccnz .LBB14_999
; %bb.990:
	v_cmp_gt_i16_e32 vcc, 9, v5
	s_cbranch_vccnz .LBB14_996
; %bb.991:
	v_cmp_lt_i16_e32 vcc, 9, v5
	s_cbranch_vccz .LBB14_993
; %bb.992:
	v_mov_b32_e32 v8, 0
	v_cvt_f64_f32_e32 v[6:7], v2
	v_mov_b32_e32 v9, v8
	s_mov_b64 s[2:3], 0
	global_store_dwordx4 v[0:1], v[6:9], off
.LBB14_993:
	s_andn2_b64 vcc, exec, s[2:3]
	s_cbranch_vccnz .LBB14_995
; %bb.994:
	s_waitcnt vmcnt(0)
	v_mov_b32_e32 v3, 0
	global_store_dwordx2 v[0:1], v[2:3], off
.LBB14_995:
	s_mov_b64 s[2:3], 0
.LBB14_996:
	s_andn2_b64 vcc, exec, s[2:3]
	s_cbranch_vccnz .LBB14_998
; %bb.997:
	s_waitcnt vmcnt(0)
	v_cvt_f16_f32_e32 v3, v2
	global_store_dword v[0:1], v3, off
.LBB14_998:
	s_mov_b64 s[2:3], 0
.LBB14_999:
	s_andn2_b64 vcc, exec, s[2:3]
	s_cbranch_vccnz .LBB14_1008
; %bb.1000:
	v_cmp_gt_i16_e32 vcc, 6, v5
	s_mov_b64 s[2:3], -1
	s_cbranch_vccnz .LBB14_1006
; %bb.1001:
	v_cmp_lt_i16_e32 vcc, 6, v5
	s_cbranch_vccz .LBB14_1003
; %bb.1002:
	v_cvt_f64_f32_e32 v[6:7], v2
	s_mov_b64 s[2:3], 0
	global_store_dwordx2 v[0:1], v[6:7], off
.LBB14_1003:
	s_andn2_b64 vcc, exec, s[2:3]
	s_cbranch_vccnz .LBB14_1005
; %bb.1004:
	global_store_dword v[0:1], v2, off
.LBB14_1005:
	s_mov_b64 s[2:3], 0
.LBB14_1006:
	s_andn2_b64 vcc, exec, s[2:3]
	s_cbranch_vccnz .LBB14_1008
; %bb.1007:
	s_waitcnt vmcnt(0)
	v_cvt_f16_f32_e32 v3, v2
	global_store_short v[0:1], v3, off
.LBB14_1008:
	s_mov_b64 s[2:3], 0
.LBB14_1009:
	s_andn2_b64 vcc, exec, s[2:3]
	s_cbranch_vccnz .LBB14_1025
; %bb.1010:
	v_cmp_gt_i16_e32 vcc, 2, v5
	s_mov_b64 s[2:3], -1
	s_cbranch_vccnz .LBB14_1020
; %bb.1011:
	v_cmp_gt_i16_e32 vcc, 3, v5
	s_cbranch_vccnz .LBB14_1017
; %bb.1012:
	v_cmp_lt_i16_e32 vcc, 3, v5
	s_cbranch_vccz .LBB14_1014
; %bb.1013:
	s_waitcnt vmcnt(0)
	v_trunc_f32_e32 v3, v2
	s_mov_b32 s2, 0x2f800000
	v_mul_f32_e64 v4, |v3|, s2
	v_floor_f32_e32 v4, v4
	s_mov_b32 s2, 0xcf800000
	v_cvt_u32_f32_e32 v6, v4
	v_fma_f32 v4, v4, s2, |v3|
	v_cvt_u32_f32_e32 v4, v4
	v_ashrrev_i32_e32 v3, 31, v3
	v_xor_b32_e32 v7, v6, v3
	s_mov_b64 s[2:3], 0
	v_xor_b32_e32 v4, v4, v3
	v_sub_co_u32_e32 v6, vcc, v4, v3
	v_subb_co_u32_e32 v7, vcc, v7, v3, vcc
	global_store_dwordx2 v[0:1], v[6:7], off
.LBB14_1014:
	s_andn2_b64 vcc, exec, s[2:3]
	s_cbranch_vccnz .LBB14_1016
; %bb.1015:
	s_waitcnt vmcnt(0)
	v_cvt_i32_f32_e32 v3, v2
	global_store_dword v[0:1], v3, off
.LBB14_1016:
	s_mov_b64 s[2:3], 0
.LBB14_1017:
	s_andn2_b64 vcc, exec, s[2:3]
	s_cbranch_vccnz .LBB14_1019
; %bb.1018:
	s_waitcnt vmcnt(0)
	v_cvt_i32_f32_e32 v3, v2
	global_store_short v[0:1], v3, off
.LBB14_1019:
	s_mov_b64 s[2:3], 0
.LBB14_1020:
	s_andn2_b64 vcc, exec, s[2:3]
	s_cbranch_vccnz .LBB14_1025
; %bb.1021:
	v_cmp_lt_i16_e32 vcc, 0, v5
	s_mov_b64 s[2:3], -1
	s_cbranch_vccz .LBB14_1023
; %bb.1022:
	s_waitcnt vmcnt(0)
	v_cvt_i32_f32_e32 v3, v2
	s_mov_b64 s[2:3], 0
	global_store_byte v[0:1], v3, off
.LBB14_1023:
	s_andn2_b64 vcc, exec, s[2:3]
	s_cbranch_vccnz .LBB14_1025
; %bb.1024:
	v_trunc_f32_e32 v2, v2
	s_mov_b32 s2, 0x2f800000
	s_waitcnt vmcnt(0)
	v_mul_f32_e64 v3, |v2|, s2
	v_floor_f32_e32 v3, v3
	s_mov_b32 s2, 0xcf800000
	v_fma_f32 v3, v3, s2, |v2|
	v_cvt_u32_f32_e32 v3, v3
	v_ashrrev_i32_e32 v2, 31, v2
	v_xor_b32_e32 v3, v3, v2
	v_sub_u32_e32 v2, v3, v2
	global_store_byte v[0:1], v2, off
.LBB14_1025:
	s_or_b64 exec, exec, s[0:1]
	s_and_b64 s[16:17], s[20:21], exec
                                        ; implicit-def: $vgpr4
                                        ; implicit-def: $vgpr5
.LBB14_1026:
	s_or_saveexec_b64 s[6:7], s[6:7]
	s_mov_b64 s[0:1], 0
                                        ; implicit-def: $vgpr6
                                        ; implicit-def: $vgpr0_vgpr1
                                        ; implicit-def: $vgpr2
	s_xor_b64 exec, exec, s[6:7]
	s_cbranch_execz .LBB14_1994
; %bb.1027:
	v_mul_lo_u32 v2, s13, v4
	v_ashrrev_i32_e32 v1, 31, v2
	s_waitcnt vmcnt(0)
	v_mov_b32_e32 v3, s11
	v_add_co_u32_e32 v0, vcc, s10, v2
	v_addc_co_u32_e32 v1, vcc, v3, v1, vcc
	v_cmp_gt_i16_e64 s[0:1], 11, v5
	s_and_b64 vcc, exec, s[0:1]
	s_cbranch_vccnz .LBB14_1034
; %bb.1028:
	v_cmp_lt_i16_e32 vcc, 25, v5
	s_cbranch_vccz .LBB14_1036
; %bb.1029:
	v_cmp_lt_i16_e32 vcc, 28, v5
	s_cbranch_vccz .LBB14_1037
; %bb.1030:
	v_cmp_lt_i16_e32 vcc, 43, v5
	s_cbranch_vccz .LBB14_1038
; %bb.1031:
	v_cmp_lt_i16_e32 vcc, 45, v5
	s_cbranch_vccz .LBB14_1039
; %bb.1032:
	v_cmp_eq_u16_e32 vcc, 46, v5
	s_mov_b64 s[18:19], 0
	s_cbranch_vccz .LBB14_1042
; %bb.1033:
	global_load_dword v3, v[0:1], off
	s_mov_b64 s[2:3], 0
	s_mov_b64 s[20:21], -1
	s_waitcnt vmcnt(0)
	v_lshlrev_b32_e32 v3, 16, v3
	s_branch .LBB14_1043
.LBB14_1034:
	s_mov_b64 s[20:21], 0
                                        ; implicit-def: $vgpr3
	s_mov_b64 s[18:19], s[16:17]
	s_cbranch_execnz .LBB14_1106
.LBB14_1035:
	s_andn2_b64 vcc, exec, s[20:21]
	s_cbranch_vccz .LBB14_1151
	s_branch .LBB14_1992
.LBB14_1036:
	s_mov_b64 s[20:21], 0
	s_mov_b64 s[2:3], 0
                                        ; implicit-def: $vgpr3
	s_cbranch_execnz .LBB14_1071
	s_branch .LBB14_1102
.LBB14_1037:
	s_mov_b64 s[18:19], -1
	s_mov_b64 s[20:21], 0
	s_mov_b64 s[2:3], 0
                                        ; implicit-def: $vgpr3
	s_branch .LBB14_1052
.LBB14_1038:
	s_mov_b64 s[20:21], 0
	s_mov_b64 s[2:3], 0
                                        ; implicit-def: $vgpr3
	s_cbranch_execnz .LBB14_1048
	s_branch .LBB14_1051
.LBB14_1039:
	s_mov_b64 s[18:19], -1
	s_mov_b64 s[20:21], 0
	s_mov_b64 s[2:3], 0
                                        ; implicit-def: $vgpr3
	s_branch .LBB14_1043
.LBB14_1040:
	s_or_saveexec_b64 s[26:27], s[26:27]
                                        ; implicit-def: $sgpr15
	s_xor_b64 exec, exec, s[26:27]
	s_cbranch_execz .LBB14_939
.LBB14_1041:
	v_add_f32_e32 v4, 0x46000000, v6
	v_and_b32_e32 v4, 0xff, v4
	v_cmp_ne_u32_e32 vcc, 0, v4
	s_andn2_b64 s[24:25], s[24:25], exec
	s_and_b64 s[28:29], vcc, exec
	s_mov_b32 s15, 0
	s_or_b64 s[24:25], s[24:25], s[28:29]
	s_or_b64 exec, exec, s[26:27]
	v_mov_b32_e32 v7, s15
	s_and_saveexec_b64 s[26:27], s[24:25]
	s_cbranch_execnz .LBB14_940
	s_branch .LBB14_941
.LBB14_1042:
	s_mov_b64 s[2:3], -1
                                        ; implicit-def: $vgpr3
	s_mov_b64 s[20:21], 0
.LBB14_1043:
	s_and_b64 vcc, exec, s[18:19]
	s_cbranch_vccz .LBB14_1046
; %bb.1044:
	v_cmp_eq_u16_e32 vcc, 44, v5
	s_cbranch_vccz .LBB14_1047
; %bb.1045:
	global_load_ubyte v3, v[0:1], off
	s_movk_i32 s15, 0xff
	v_mov_b32_e32 v6, 0x7f800001
	v_mov_b32_e32 v7, 0x400000
	s_mov_b64 s[2:3], 0
	s_mov_b64 s[20:21], -1
	s_waitcnt vmcnt(0)
	v_lshlrev_b32_e32 v8, 23, v3
	v_cmp_ne_u32_e32 vcc, s15, v3
	v_cndmask_b32_e32 v6, v6, v8, vcc
	v_cmp_ne_u32_e32 vcc, 0, v3
	v_cndmask_b32_e32 v3, v7, v6, vcc
.LBB14_1046:
	s_branch .LBB14_1051
.LBB14_1047:
	s_mov_b64 s[2:3], -1
                                        ; implicit-def: $vgpr3
	s_branch .LBB14_1051
.LBB14_1048:
	v_cmp_eq_u16_e32 vcc, 29, v5
	s_cbranch_vccz .LBB14_1050
; %bb.1049:
	global_load_dwordx2 v[6:7], v[0:1], off
	s_mov_b64 s[2:3], 0
	s_mov_b64 s[20:21], -1
	s_mov_b64 s[18:19], 0
	s_waitcnt vmcnt(0)
	v_ffbh_u32_e32 v3, v7
	v_min_u32_e32 v3, 32, v3
	v_lshlrev_b64 v[6:7], v3, v[6:7]
	v_min_u32_e32 v6, 1, v6
	v_or_b32_e32 v6, v7, v6
	v_cvt_f32_u32_e32 v6, v6
	v_sub_u32_e32 v3, 32, v3
	v_ldexp_f32 v3, v6, v3
	s_branch .LBB14_1052
.LBB14_1050:
	s_mov_b64 s[2:3], -1
                                        ; implicit-def: $vgpr3
.LBB14_1051:
	s_mov_b64 s[18:19], 0
.LBB14_1052:
	s_and_b64 vcc, exec, s[18:19]
	s_cbranch_vccz .LBB14_1070
; %bb.1053:
	v_cmp_gt_i16_e32 vcc, 27, v5
	s_cbranch_vccnz .LBB14_1056
; %bb.1054:
	v_cmp_lt_i16_e32 vcc, 27, v5
	s_cbranch_vccz .LBB14_1057
; %bb.1055:
	global_load_dword v3, v[0:1], off
	s_mov_b64 s[18:19], 0
	s_waitcnt vmcnt(0)
	v_cvt_f32_u32_e32 v3, v3
	s_branch .LBB14_1058
.LBB14_1056:
	s_mov_b64 s[18:19], -1
                                        ; implicit-def: $vgpr3
	s_branch .LBB14_1061
.LBB14_1057:
	s_mov_b64 s[18:19], -1
                                        ; implicit-def: $vgpr3
.LBB14_1058:
	s_andn2_b64 vcc, exec, s[18:19]
	s_cbranch_vccnz .LBB14_1060
; %bb.1059:
	global_load_ushort v3, v[0:1], off
	s_waitcnt vmcnt(0)
	v_cvt_f32_u32_e32 v3, v3
.LBB14_1060:
	s_mov_b64 s[18:19], 0
.LBB14_1061:
	s_andn2_b64 vcc, exec, s[18:19]
	s_cbranch_vccnz .LBB14_1069
; %bb.1062:
	global_load_ubyte v6, v[0:1], off
	s_movk_i32 s15, 0x7f
	s_mov_b64 s[18:19], 0
	s_waitcnt vmcnt(0)
	v_cmp_lt_i16_e32 vcc, s15, v6
                                        ; implicit-def: $sgpr15
	s_and_saveexec_b64 s[20:21], vcc
	s_xor_b64 s[20:21], exec, s[20:21]
	s_cbranch_execz .LBB14_1082
; %bb.1063:
	s_movk_i32 s15, 0x80
	v_cmp_eq_u16_e32 vcc, s15, v6
	s_mov_b64 s[18:19], -1
                                        ; implicit-def: $sgpr15
	s_and_saveexec_b64 s[22:23], vcc
; %bb.1064:
	s_mov_b32 s15, 0x7f800001
	s_xor_b64 s[18:19], exec, -1
; %bb.1065:
	s_or_b64 exec, exec, s[22:23]
	s_and_b64 s[18:19], s[18:19], exec
	s_or_saveexec_b64 s[20:21], s[20:21]
	v_mov_b32_e32 v3, s15
	s_xor_b64 exec, exec, s[20:21]
	s_cbranch_execnz .LBB14_1083
.LBB14_1066:
	s_or_b64 exec, exec, s[20:21]
	s_and_saveexec_b64 s[20:21], s[18:19]
	s_cbranch_execz .LBB14_1068
.LBB14_1067:
	v_lshlrev_b32_e32 v3, 24, v6
	v_and_b32_e32 v6, 0xffff, v6
	v_and_b32_e32 v7, 7, v6
	v_ffbh_u32_e32 v9, v7
	v_min_u32_e32 v9, 32, v9
	v_subrev_u32_e32 v10, 28, v9
	v_bfe_u32 v8, v6, 3, 4
	v_lshlrev_b32_e32 v6, v10, v6
	v_sub_u32_e32 v9, 29, v9
	v_and_b32_e32 v6, 7, v6
	v_cmp_eq_u32_e32 vcc, 0, v8
	v_cndmask_b32_e32 v8, v8, v9, vcc
	v_cndmask_b32_e32 v6, v7, v6, vcc
	v_mov_b32_e32 v7, 0x3b800000
	v_lshlrev_b32_e32 v6, 20, v6
	v_and_b32_e32 v3, 0x80000000, v3
	v_lshl_add_u32 v7, v8, 23, v7
	v_or3_b32 v3, v3, v7, v6
.LBB14_1068:
	s_or_b64 exec, exec, s[20:21]
.LBB14_1069:
	s_mov_b64 s[20:21], -1
.LBB14_1070:
	s_branch .LBB14_1102
.LBB14_1071:
	v_cmp_lt_i16_e32 vcc, 22, v5
	s_cbranch_vccz .LBB14_1081
; %bb.1072:
	v_cmp_gt_i16_e32 vcc, 24, v5
	s_cbranch_vccnz .LBB14_1084
; %bb.1073:
	v_cmp_lt_i16_e32 vcc, 24, v5
	s_cbranch_vccz .LBB14_1085
; %bb.1074:
	global_load_ubyte v6, v[0:1], off
	s_movk_i32 s4, 0x7f
                                        ; implicit-def: $sgpr15
	s_waitcnt vmcnt(0)
	v_cmp_lt_i16_e32 vcc, s4, v6
	s_mov_b64 s[4:5], 0
	s_and_saveexec_b64 s[18:19], vcc
	s_xor_b64 s[18:19], exec, s[18:19]
	s_cbranch_execz .LBB14_1096
; %bb.1075:
	s_movk_i32 s4, 0x80
	v_cmp_eq_u16_e32 vcc, s4, v6
	s_mov_b64 s[4:5], -1
                                        ; implicit-def: $sgpr15
	s_and_saveexec_b64 s[20:21], vcc
; %bb.1076:
	s_mov_b32 s15, 0x7f800001
	s_xor_b64 s[4:5], exec, -1
; %bb.1077:
	s_or_b64 exec, exec, s[20:21]
	s_and_b64 s[4:5], s[4:5], exec
	s_or_saveexec_b64 s[18:19], s[18:19]
	v_mov_b32_e32 v3, s15
	s_xor_b64 exec, exec, s[18:19]
	s_cbranch_execnz .LBB14_1097
.LBB14_1078:
	s_or_b64 exec, exec, s[18:19]
	s_and_saveexec_b64 s[18:19], s[4:5]
	s_cbranch_execz .LBB14_1080
.LBB14_1079:
	v_lshlrev_b32_e32 v3, 24, v6
	v_and_b32_e32 v6, 0xffff, v6
	v_and_b32_e32 v7, 3, v6
	v_ffbh_u32_e32 v9, v7
	v_min_u32_e32 v9, 32, v9
	v_subrev_u32_e32 v10, 29, v9
	v_bfe_u32 v8, v6, 2, 5
	v_lshlrev_b32_e32 v6, v10, v6
	v_sub_u32_e32 v9, 30, v9
	v_and_b32_e32 v6, 3, v6
	v_cmp_eq_u32_e32 vcc, 0, v8
	v_cndmask_b32_e32 v8, v8, v9, vcc
	v_cndmask_b32_e32 v6, v7, v6, vcc
	v_mov_b32_e32 v7, 0x37800000
	v_lshlrev_b32_e32 v6, 21, v6
	v_and_b32_e32 v3, 0x80000000, v3
	v_lshl_add_u32 v7, v8, 23, v7
	v_or3_b32 v3, v3, v7, v6
.LBB14_1080:
	s_or_b64 exec, exec, s[18:19]
	s_mov_b64 s[4:5], 0
	s_branch .LBB14_1086
.LBB14_1081:
                                        ; implicit-def: $vgpr3
	s_mov_b64 s[4:5], 0
	s_branch .LBB14_1092
.LBB14_1082:
	s_or_saveexec_b64 s[20:21], s[20:21]
	v_mov_b32_e32 v3, s15
	s_xor_b64 exec, exec, s[20:21]
	s_cbranch_execz .LBB14_1066
.LBB14_1083:
	v_cmp_ne_u16_e32 vcc, 0, v6
	s_andn2_b64 s[18:19], s[18:19], exec
	s_and_b64 s[22:23], vcc, exec
	v_mov_b32_e32 v3, 0
	s_or_b64 s[18:19], s[18:19], s[22:23]
	s_or_b64 exec, exec, s[20:21]
	s_and_saveexec_b64 s[20:21], s[18:19]
	s_cbranch_execnz .LBB14_1067
	s_branch .LBB14_1068
.LBB14_1084:
	s_mov_b64 s[4:5], -1
                                        ; implicit-def: $vgpr3
	s_branch .LBB14_1089
.LBB14_1085:
	s_mov_b64 s[4:5], -1
                                        ; implicit-def: $vgpr3
.LBB14_1086:
	s_and_b64 vcc, exec, s[4:5]
	s_cbranch_vccz .LBB14_1088
; %bb.1087:
	global_load_ubyte v3, v[0:1], off
	s_mov_b32 s4, 0x7f800000
	s_waitcnt vmcnt(0)
	v_lshlrev_b32_e32 v3, 24, v3
	v_and_b32_e32 v6, 0x7f000000, v3
	v_ffbh_u32_e32 v7, v6
	v_min_u32_e32 v7, 32, v7
	v_sub_u32_e64 v7, v7, 4 clamp
	v_lshlrev_b32_e32 v9, v7, v6
	v_lshlrev_b32_e32 v7, 23, v7
	v_lshrrev_b32_e32 v9, 4, v9
	v_add_u32_e32 v8, 0x1000000, v6
	v_sub_u32_e32 v7, v9, v7
	v_ashrrev_i32_e32 v8, 8, v8
	v_add_u32_e32 v7, 0x3c000000, v7
	v_and_or_b32 v7, v8, s4, v7
	v_cmp_ne_u32_e32 vcc, 0, v6
	v_cndmask_b32_e32 v6, 0, v7, vcc
	s_brev_b32 s4, 1
	v_and_or_b32 v3, v3, s4, v6
.LBB14_1088:
	s_mov_b64 s[4:5], 0
.LBB14_1089:
	s_andn2_b64 vcc, exec, s[4:5]
	s_cbranch_vccnz .LBB14_1091
; %bb.1090:
	global_load_ubyte v3, v[0:1], off
	s_movk_i32 s4, 0x7f00
	s_brev_b32 s5, 16
	s_waitcnt vmcnt(0)
	v_lshlrev_b16_e32 v6, 8, v3
	v_lshlrev_b32_e32 v3, 25, v3
	v_lshrrev_b32_e32 v7, 4, v3
	v_and_or_b32 v8, v6, s4, 0.5
	v_or_b32_e32 v7, 0x70000000, v7
	v_add_f32_e32 v8, -0.5, v8
	v_mul_f32_e32 v7, 0x7800000, v7
	v_cmp_gt_u32_e32 vcc, s5, v3
	v_bfe_i32 v6, v6, 0, 16
	v_cndmask_b32_e32 v3, v7, v8, vcc
	s_brev_b32 s4, 1
	v_and_or_b32 v3, v6, s4, v3
.LBB14_1091:
	s_mov_b64 s[20:21], -1
	s_mov_b64 s[4:5], 0
	s_cbranch_execnz .LBB14_1102
.LBB14_1092:
	v_cmp_lt_i16_e32 vcc, 14, v5
	s_cbranch_vccz .LBB14_1095
; %bb.1093:
	v_cmp_eq_u16_e32 vcc, 15, v5
	s_cbranch_vccz .LBB14_1098
; %bb.1094:
	global_load_ushort v3, v[0:1], off
	s_mov_b64 s[2:3], 0
	s_mov_b64 s[20:21], -1
	s_waitcnt vmcnt(0)
	v_lshlrev_b32_e32 v3, 16, v3
	s_branch .LBB14_1099
.LBB14_1095:
	s_mov_b64 s[18:19], -1
                                        ; implicit-def: $vgpr3
	s_branch .LBB14_1100
.LBB14_1096:
	s_or_saveexec_b64 s[18:19], s[18:19]
	v_mov_b32_e32 v3, s15
	s_xor_b64 exec, exec, s[18:19]
	s_cbranch_execz .LBB14_1078
.LBB14_1097:
	v_cmp_ne_u16_e32 vcc, 0, v6
	s_andn2_b64 s[4:5], s[4:5], exec
	s_and_b64 s[20:21], vcc, exec
	v_mov_b32_e32 v3, 0
	s_or_b64 s[4:5], s[4:5], s[20:21]
	s_or_b64 exec, exec, s[18:19]
	s_and_saveexec_b64 s[18:19], s[4:5]
	s_cbranch_execnz .LBB14_1079
	s_branch .LBB14_1080
.LBB14_1098:
	s_mov_b64 s[2:3], -1
                                        ; implicit-def: $vgpr3
.LBB14_1099:
	s_mov_b64 s[18:19], 0
.LBB14_1100:
	s_and_b64 vcc, exec, s[18:19]
	s_cbranch_vccz .LBB14_1102
; %bb.1101:
	v_cmp_ne_u16_e64 s[2:3], 11, v5
	s_mov_b64 s[4:5], -1
                                        ; implicit-def: $vgpr3
.LBB14_1102:
	s_and_b64 vcc, exec, s[2:3]
	s_mov_b64 s[18:19], s[16:17]
	s_cbranch_vccnz .LBB14_1163
; %bb.1103:
	s_andn2_b64 vcc, exec, s[4:5]
	s_cbranch_vccnz .LBB14_1105
.LBB14_1104:
	global_load_ubyte v3, v[0:1], off
	s_mov_b64 s[20:21], -1
	s_waitcnt vmcnt(0)
	v_cmp_ne_u16_e32 vcc, 0, v3
	v_cndmask_b32_e64 v3, 0, 1.0, vcc
.LBB14_1105:
	s_branch .LBB14_1035
.LBB14_1106:
	v_cmp_gt_i16_e32 vcc, 5, v5
	s_cbranch_vccnz .LBB14_1111
; %bb.1107:
	v_cmp_gt_i16_e32 vcc, 8, v5
	s_cbranch_vccnz .LBB14_1112
; %bb.1108:
	;; [unrolled: 3-line block ×3, first 2 shown]
	v_cmp_lt_i16_e32 vcc, 9, v5
	s_cbranch_vccz .LBB14_1114
; %bb.1110:
	global_load_dwordx2 v[6:7], v[0:1], off
	s_mov_b64 s[2:3], 0
	s_waitcnt vmcnt(0)
	v_cvt_f32_f64_e32 v3, v[6:7]
	s_branch .LBB14_1115
.LBB14_1111:
                                        ; implicit-def: $vgpr3
	s_branch .LBB14_1132
.LBB14_1112:
                                        ; implicit-def: $vgpr3
	s_branch .LBB14_1121
.LBB14_1113:
	s_mov_b64 s[2:3], -1
                                        ; implicit-def: $vgpr3
	s_branch .LBB14_1118
.LBB14_1114:
	s_mov_b64 s[2:3], -1
                                        ; implicit-def: $vgpr3
.LBB14_1115:
	s_andn2_b64 vcc, exec, s[2:3]
	s_cbranch_vccnz .LBB14_1117
; %bb.1116:
	global_load_dword v3, v[0:1], off
.LBB14_1117:
	s_mov_b64 s[2:3], 0
.LBB14_1118:
	s_andn2_b64 vcc, exec, s[2:3]
	s_cbranch_vccnz .LBB14_1120
; %bb.1119:
	global_load_dword v3, v[0:1], off
	s_waitcnt vmcnt(0)
	v_cvt_f32_f16_e32 v3, v3
.LBB14_1120:
	s_cbranch_execnz .LBB14_1131
.LBB14_1121:
	v_cmp_gt_i16_e32 vcc, 6, v5
	s_cbranch_vccnz .LBB14_1124
; %bb.1122:
	v_cmp_lt_i16_e32 vcc, 6, v5
	s_cbranch_vccz .LBB14_1125
; %bb.1123:
	global_load_dwordx2 v[6:7], v[0:1], off
	s_mov_b64 s[2:3], 0
	s_waitcnt vmcnt(0)
	v_cvt_f32_f64_e32 v3, v[6:7]
	s_branch .LBB14_1126
.LBB14_1124:
	s_mov_b64 s[2:3], -1
                                        ; implicit-def: $vgpr3
	s_branch .LBB14_1129
.LBB14_1125:
	s_mov_b64 s[2:3], -1
                                        ; implicit-def: $vgpr3
.LBB14_1126:
	s_andn2_b64 vcc, exec, s[2:3]
	s_cbranch_vccnz .LBB14_1128
; %bb.1127:
	global_load_dword v3, v[0:1], off
.LBB14_1128:
	s_mov_b64 s[2:3], 0
.LBB14_1129:
	s_andn2_b64 vcc, exec, s[2:3]
	s_cbranch_vccnz .LBB14_1131
; %bb.1130:
	global_load_ushort v3, v[0:1], off
	s_waitcnt vmcnt(0)
	v_cvt_f32_f16_e32 v3, v3
.LBB14_1131:
	s_cbranch_execnz .LBB14_1150
.LBB14_1132:
	v_cmp_gt_i16_e32 vcc, 2, v5
	s_cbranch_vccnz .LBB14_1136
; %bb.1133:
	v_cmp_gt_i16_e32 vcc, 3, v5
	s_cbranch_vccnz .LBB14_1137
; %bb.1134:
	v_cmp_lt_i16_e32 vcc, 3, v5
	s_cbranch_vccz .LBB14_1138
; %bb.1135:
	global_load_dwordx2 v[6:7], v[0:1], off
	s_mov_b64 s[2:3], 0
	s_waitcnt vmcnt(0)
	v_xor_b32_e32 v8, v6, v7
	v_ffbh_i32_e32 v3, v7
	v_ashrrev_i32_e32 v8, 31, v8
	v_add_u32_e32 v3, -1, v3
	v_add_u32_e32 v8, 32, v8
	v_min_u32_e32 v3, v3, v8
	v_lshlrev_b64 v[6:7], v3, v[6:7]
	v_min_u32_e32 v6, 1, v6
	v_or_b32_e32 v6, v7, v6
	v_cvt_f32_i32_e32 v6, v6
	v_sub_u32_e32 v3, 32, v3
	v_ldexp_f32 v3, v6, v3
	s_branch .LBB14_1139
.LBB14_1136:
                                        ; implicit-def: $vgpr3
	s_branch .LBB14_1145
.LBB14_1137:
	s_mov_b64 s[2:3], -1
                                        ; implicit-def: $vgpr3
	s_branch .LBB14_1142
.LBB14_1138:
	s_mov_b64 s[2:3], -1
                                        ; implicit-def: $vgpr3
.LBB14_1139:
	s_andn2_b64 vcc, exec, s[2:3]
	s_cbranch_vccnz .LBB14_1141
; %bb.1140:
	global_load_dword v3, v[0:1], off
	s_waitcnt vmcnt(0)
	v_cvt_f32_i32_e32 v3, v3
.LBB14_1141:
	s_mov_b64 s[2:3], 0
.LBB14_1142:
	s_andn2_b64 vcc, exec, s[2:3]
	s_cbranch_vccnz .LBB14_1144
; %bb.1143:
	global_load_sshort v3, v[0:1], off
	s_waitcnt vmcnt(0)
	v_cvt_f32_i32_e32 v3, v3
.LBB14_1144:
	s_cbranch_execnz .LBB14_1150
.LBB14_1145:
	v_cmp_lt_i16_e32 vcc, 0, v5
	s_cbranch_vccz .LBB14_1147
; %bb.1146:
	global_load_sbyte v3, v[0:1], off
	s_mov_b64 s[2:3], 0
	s_waitcnt vmcnt(0)
	v_cvt_f32_i32_e32 v3, v3
	s_branch .LBB14_1148
.LBB14_1147:
	s_mov_b64 s[2:3], -1
                                        ; implicit-def: $vgpr3
.LBB14_1148:
	s_andn2_b64 vcc, exec, s[2:3]
	s_cbranch_vccnz .LBB14_1150
; %bb.1149:
	global_load_ubyte v0, v[0:1], off
	s_waitcnt vmcnt(0)
	v_cvt_f32_ubyte0_e32 v3, v0
.LBB14_1150:
.LBB14_1151:
	s_lshl_b32 s13, s13, 7
	v_add_u32_e32 v2, s13, v2
	v_ashrrev_i32_e32 v1, 31, v2
	v_mov_b32_e32 v6, s11
	v_add_co_u32_e32 v0, vcc, s10, v2
	v_addc_co_u32_e32 v1, vcc, v6, v1, vcc
	s_and_b64 vcc, exec, s[0:1]
	s_cbranch_vccnz .LBB14_1158
; %bb.1152:
	v_cmp_lt_i16_e32 vcc, 25, v5
	s_mov_b64 s[4:5], 0
	s_cbranch_vccz .LBB14_1160
; %bb.1153:
	v_cmp_lt_i16_e32 vcc, 28, v5
	s_cbranch_vccz .LBB14_1161
; %bb.1154:
	v_cmp_lt_i16_e32 vcc, 43, v5
	;; [unrolled: 3-line block ×3, first 2 shown]
	s_cbranch_vccz .LBB14_1164
; %bb.1156:
	v_cmp_eq_u16_e32 vcc, 46, v5
	s_mov_b64 s[22:23], 0
	s_cbranch_vccz .LBB14_1167
; %bb.1157:
	global_load_dword v6, v[0:1], off
	s_mov_b64 s[2:3], 0
	s_mov_b64 s[20:21], -1
	s_waitcnt vmcnt(0)
	v_lshlrev_b32_e32 v6, 16, v6
	s_branch .LBB14_1168
.LBB14_1158:
	s_mov_b64 s[20:21], 0
                                        ; implicit-def: $vgpr6
	s_cbranch_execnz .LBB14_1233
.LBB14_1159:
	s_andn2_b64 vcc, exec, s[20:21]
	s_cbranch_vccnz .LBB14_1992
	s_branch .LBB14_1280
.LBB14_1160:
	s_mov_b64 s[20:21], 0
	s_mov_b64 s[2:3], 0
                                        ; implicit-def: $vgpr6
	s_cbranch_execnz .LBB14_1197
	s_branch .LBB14_1229
.LBB14_1161:
	s_mov_b64 s[22:23], -1
	s_mov_b64 s[20:21], 0
	s_mov_b64 s[2:3], 0
                                        ; implicit-def: $vgpr6
	s_branch .LBB14_1178
.LBB14_1162:
	s_mov_b64 s[22:23], -1
	s_mov_b64 s[20:21], 0
	s_mov_b64 s[2:3], 0
                                        ; implicit-def: $vgpr6
	s_branch .LBB14_1173
.LBB14_1163:
	s_or_b64 s[18:19], s[16:17], exec
	s_trap 2
                                        ; implicit-def: $vgpr3
	s_cbranch_execz .LBB14_1104
	s_branch .LBB14_1105
.LBB14_1164:
	s_mov_b64 s[22:23], -1
	s_mov_b64 s[20:21], 0
	s_mov_b64 s[2:3], 0
                                        ; implicit-def: $vgpr6
	s_branch .LBB14_1168
.LBB14_1165:
	s_or_saveexec_b64 s[28:29], s[28:29]
                                        ; implicit-def: $sgpr15
	s_xor_b64 exec, exec, s[28:29]
	s_cbranch_execz .LBB14_951
.LBB14_1166:
	v_add_f32_e32 v4, 0x42800000, v6
	v_and_b32_e32 v4, 0xff, v4
	v_cmp_ne_u32_e32 vcc, 0, v4
	s_andn2_b64 s[26:27], s[26:27], exec
	s_and_b64 s[30:31], vcc, exec
	s_mov_b32 s15, 0
	s_or_b64 s[26:27], s[26:27], s[30:31]
	s_or_b64 exec, exec, s[28:29]
	v_mov_b32_e32 v7, s15
	s_and_saveexec_b64 s[28:29], s[26:27]
	s_cbranch_execnz .LBB14_952
	s_branch .LBB14_953
.LBB14_1167:
	s_mov_b64 s[2:3], -1
                                        ; implicit-def: $vgpr6
	s_mov_b64 s[20:21], 0
.LBB14_1168:
	s_and_b64 vcc, exec, s[22:23]
	s_cbranch_vccz .LBB14_1172
; %bb.1169:
	v_cmp_eq_u16_e32 vcc, 44, v5
	s_cbranch_vccz .LBB14_1171
; %bb.1170:
	global_load_ubyte v6, v[0:1], off
	s_movk_i32 s15, 0xff
	v_mov_b32_e32 v7, 0x7f800001
	v_mov_b32_e32 v8, 0x400000
	s_mov_b64 s[2:3], 0
	s_mov_b64 s[20:21], -1
	s_waitcnt vmcnt(0)
	v_lshlrev_b32_e32 v9, 23, v6
	v_cmp_ne_u32_e32 vcc, s15, v6
	v_cndmask_b32_e32 v7, v7, v9, vcc
	v_cmp_ne_u32_e32 vcc, 0, v6
	v_cndmask_b32_e32 v6, v8, v7, vcc
	s_branch .LBB14_1172
.LBB14_1171:
	s_mov_b64 s[2:3], -1
                                        ; implicit-def: $vgpr6
.LBB14_1172:
	s_mov_b64 s[22:23], 0
.LBB14_1173:
	s_and_b64 vcc, exec, s[22:23]
	s_cbranch_vccz .LBB14_1177
; %bb.1174:
	v_cmp_eq_u16_e32 vcc, 29, v5
	s_cbranch_vccz .LBB14_1176
; %bb.1175:
	global_load_dwordx2 v[6:7], v[0:1], off
	s_mov_b64 s[2:3], 0
	s_mov_b64 s[20:21], -1
	s_mov_b64 s[22:23], 0
	s_waitcnt vmcnt(0)
	v_ffbh_u32_e32 v8, v7
	v_min_u32_e32 v8, 32, v8
	v_lshlrev_b64 v[6:7], v8, v[6:7]
	v_min_u32_e32 v6, 1, v6
	v_or_b32_e32 v6, v7, v6
	v_cvt_f32_u32_e32 v6, v6
	v_sub_u32_e32 v7, 32, v8
	v_ldexp_f32 v6, v6, v7
	s_branch .LBB14_1178
.LBB14_1176:
	s_mov_b64 s[2:3], -1
                                        ; implicit-def: $vgpr6
.LBB14_1177:
	s_mov_b64 s[22:23], 0
.LBB14_1178:
	s_and_b64 vcc, exec, s[22:23]
	s_cbranch_vccz .LBB14_1196
; %bb.1179:
	v_cmp_gt_i16_e32 vcc, 27, v5
	s_cbranch_vccnz .LBB14_1182
; %bb.1180:
	v_cmp_lt_i16_e32 vcc, 27, v5
	s_cbranch_vccz .LBB14_1183
; %bb.1181:
	global_load_dword v6, v[0:1], off
	s_mov_b64 s[20:21], 0
	s_waitcnt vmcnt(0)
	v_cvt_f32_u32_e32 v6, v6
	s_branch .LBB14_1184
.LBB14_1182:
	s_mov_b64 s[20:21], -1
                                        ; implicit-def: $vgpr6
	s_branch .LBB14_1187
.LBB14_1183:
	s_mov_b64 s[20:21], -1
                                        ; implicit-def: $vgpr6
.LBB14_1184:
	s_andn2_b64 vcc, exec, s[20:21]
	s_cbranch_vccnz .LBB14_1186
; %bb.1185:
	global_load_ushort v6, v[0:1], off
	s_waitcnt vmcnt(0)
	v_cvt_f32_u32_e32 v6, v6
.LBB14_1186:
	s_mov_b64 s[20:21], 0
.LBB14_1187:
	s_andn2_b64 vcc, exec, s[20:21]
	s_cbranch_vccnz .LBB14_1195
; %bb.1188:
	global_load_ubyte v7, v[0:1], off
	s_movk_i32 s15, 0x7f
	s_mov_b64 s[20:21], 0
	s_waitcnt vmcnt(0)
	v_cmp_lt_i16_e32 vcc, s15, v7
                                        ; implicit-def: $sgpr15
	s_and_saveexec_b64 s[22:23], vcc
	s_xor_b64 s[22:23], exec, s[22:23]
	s_cbranch_execz .LBB14_1208
; %bb.1189:
	s_movk_i32 s15, 0x80
	v_cmp_eq_u16_e32 vcc, s15, v7
	s_mov_b64 s[20:21], -1
                                        ; implicit-def: $sgpr15
	s_and_saveexec_b64 s[24:25], vcc
; %bb.1190:
	s_mov_b32 s15, 0x7f800001
	s_xor_b64 s[20:21], exec, -1
; %bb.1191:
	s_or_b64 exec, exec, s[24:25]
	s_and_b64 s[20:21], s[20:21], exec
	s_or_saveexec_b64 s[22:23], s[22:23]
	v_mov_b32_e32 v6, s15
	s_xor_b64 exec, exec, s[22:23]
	s_cbranch_execnz .LBB14_1209
.LBB14_1192:
	s_or_b64 exec, exec, s[22:23]
	s_and_saveexec_b64 s[22:23], s[20:21]
	s_cbranch_execz .LBB14_1194
.LBB14_1193:
	v_lshlrev_b32_e32 v6, 24, v7
	v_and_b32_e32 v7, 0xffff, v7
	v_and_b32_e32 v8, 7, v7
	v_ffbh_u32_e32 v10, v8
	v_min_u32_e32 v10, 32, v10
	v_subrev_u32_e32 v11, 28, v10
	v_bfe_u32 v9, v7, 3, 4
	v_lshlrev_b32_e32 v7, v11, v7
	v_sub_u32_e32 v10, 29, v10
	v_and_b32_e32 v7, 7, v7
	v_cmp_eq_u32_e32 vcc, 0, v9
	v_cndmask_b32_e32 v9, v9, v10, vcc
	v_cndmask_b32_e32 v7, v8, v7, vcc
	v_mov_b32_e32 v8, 0x3b800000
	v_lshlrev_b32_e32 v7, 20, v7
	v_and_b32_e32 v6, 0x80000000, v6
	v_lshl_add_u32 v8, v9, 23, v8
	v_or3_b32 v6, v6, v8, v7
.LBB14_1194:
	s_or_b64 exec, exec, s[22:23]
.LBB14_1195:
	s_mov_b64 s[20:21], -1
.LBB14_1196:
	s_branch .LBB14_1229
.LBB14_1197:
	v_cmp_lt_i16_e32 vcc, 22, v5
	s_cbranch_vccz .LBB14_1207
; %bb.1198:
	v_cmp_gt_i16_e32 vcc, 24, v5
	s_cbranch_vccnz .LBB14_1210
; %bb.1199:
	v_cmp_lt_i16_e32 vcc, 24, v5
	s_cbranch_vccz .LBB14_1211
; %bb.1200:
	global_load_ubyte v7, v[0:1], off
	s_movk_i32 s4, 0x7f
                                        ; implicit-def: $sgpr15
	s_waitcnt vmcnt(0)
	v_cmp_lt_i16_e32 vcc, s4, v7
	s_mov_b64 s[4:5], 0
	s_and_saveexec_b64 s[20:21], vcc
	s_xor_b64 s[20:21], exec, s[20:21]
	s_cbranch_execz .LBB14_1223
; %bb.1201:
	s_movk_i32 s4, 0x80
	v_cmp_eq_u16_e32 vcc, s4, v7
	s_mov_b64 s[4:5], -1
                                        ; implicit-def: $sgpr15
	s_and_saveexec_b64 s[22:23], vcc
; %bb.1202:
	s_mov_b32 s15, 0x7f800001
	s_xor_b64 s[4:5], exec, -1
; %bb.1203:
	s_or_b64 exec, exec, s[22:23]
	s_and_b64 s[4:5], s[4:5], exec
	s_or_saveexec_b64 s[20:21], s[20:21]
	v_mov_b32_e32 v6, s15
	s_xor_b64 exec, exec, s[20:21]
	s_cbranch_execnz .LBB14_1224
.LBB14_1204:
	s_or_b64 exec, exec, s[20:21]
	s_and_saveexec_b64 s[20:21], s[4:5]
	s_cbranch_execz .LBB14_1206
.LBB14_1205:
	v_lshlrev_b32_e32 v6, 24, v7
	v_and_b32_e32 v7, 0xffff, v7
	v_and_b32_e32 v8, 3, v7
	v_ffbh_u32_e32 v10, v8
	v_min_u32_e32 v10, 32, v10
	v_subrev_u32_e32 v11, 29, v10
	v_bfe_u32 v9, v7, 2, 5
	v_lshlrev_b32_e32 v7, v11, v7
	v_sub_u32_e32 v10, 30, v10
	v_and_b32_e32 v7, 3, v7
	v_cmp_eq_u32_e32 vcc, 0, v9
	v_cndmask_b32_e32 v9, v9, v10, vcc
	v_cndmask_b32_e32 v7, v8, v7, vcc
	v_mov_b32_e32 v8, 0x37800000
	v_lshlrev_b32_e32 v7, 21, v7
	v_and_b32_e32 v6, 0x80000000, v6
	v_lshl_add_u32 v8, v9, 23, v8
	v_or3_b32 v6, v6, v8, v7
.LBB14_1206:
	s_or_b64 exec, exec, s[20:21]
	s_mov_b64 s[4:5], 0
	s_branch .LBB14_1212
.LBB14_1207:
	s_mov_b64 s[4:5], -1
                                        ; implicit-def: $vgpr6
	s_branch .LBB14_1218
.LBB14_1208:
	s_or_saveexec_b64 s[22:23], s[22:23]
	v_mov_b32_e32 v6, s15
	s_xor_b64 exec, exec, s[22:23]
	s_cbranch_execz .LBB14_1192
.LBB14_1209:
	v_cmp_ne_u16_e32 vcc, 0, v7
	s_andn2_b64 s[20:21], s[20:21], exec
	s_and_b64 s[24:25], vcc, exec
	v_mov_b32_e32 v6, 0
	s_or_b64 s[20:21], s[20:21], s[24:25]
	s_or_b64 exec, exec, s[22:23]
	s_and_saveexec_b64 s[22:23], s[20:21]
	s_cbranch_execnz .LBB14_1193
	s_branch .LBB14_1194
.LBB14_1210:
	s_mov_b64 s[4:5], -1
                                        ; implicit-def: $vgpr6
	s_branch .LBB14_1215
.LBB14_1211:
	s_mov_b64 s[4:5], -1
                                        ; implicit-def: $vgpr6
.LBB14_1212:
	s_and_b64 vcc, exec, s[4:5]
	s_cbranch_vccz .LBB14_1214
; %bb.1213:
	global_load_ubyte v6, v[0:1], off
	s_mov_b32 s4, 0x7f800000
	s_waitcnt vmcnt(0)
	v_lshlrev_b32_e32 v6, 24, v6
	v_and_b32_e32 v7, 0x7f000000, v6
	v_ffbh_u32_e32 v8, v7
	v_min_u32_e32 v8, 32, v8
	v_sub_u32_e64 v8, v8, 4 clamp
	v_lshlrev_b32_e32 v10, v8, v7
	v_lshlrev_b32_e32 v8, 23, v8
	v_lshrrev_b32_e32 v10, 4, v10
	v_add_u32_e32 v9, 0x1000000, v7
	v_sub_u32_e32 v8, v10, v8
	v_ashrrev_i32_e32 v9, 8, v9
	v_add_u32_e32 v8, 0x3c000000, v8
	v_and_or_b32 v8, v9, s4, v8
	v_cmp_ne_u32_e32 vcc, 0, v7
	v_cndmask_b32_e32 v7, 0, v8, vcc
	s_brev_b32 s4, 1
	v_and_or_b32 v6, v6, s4, v7
.LBB14_1214:
	s_mov_b64 s[4:5], 0
.LBB14_1215:
	s_andn2_b64 vcc, exec, s[4:5]
	s_cbranch_vccnz .LBB14_1217
; %bb.1216:
	global_load_ubyte v6, v[0:1], off
	s_movk_i32 s4, 0x7f00
	s_brev_b32 s5, 16
	s_waitcnt vmcnt(0)
	v_lshlrev_b16_e32 v7, 8, v6
	v_lshlrev_b32_e32 v6, 25, v6
	v_lshrrev_b32_e32 v8, 4, v6
	v_and_or_b32 v9, v7, s4, 0.5
	v_or_b32_e32 v8, 0x70000000, v8
	v_add_f32_e32 v9, -0.5, v9
	v_mul_f32_e32 v8, 0x7800000, v8
	v_cmp_gt_u32_e32 vcc, s5, v6
	v_bfe_i32 v7, v7, 0, 16
	v_cndmask_b32_e32 v6, v8, v9, vcc
	s_brev_b32 s4, 1
	v_and_or_b32 v6, v7, s4, v6
.LBB14_1217:
	s_mov_b64 s[4:5], 0
	s_mov_b64 s[20:21], -1
.LBB14_1218:
	s_andn2_b64 vcc, exec, s[4:5]
	s_mov_b64 s[4:5], 0
	s_cbranch_vccnz .LBB14_1229
; %bb.1219:
	v_cmp_lt_i16_e32 vcc, 14, v5
	s_cbranch_vccz .LBB14_1222
; %bb.1220:
	v_cmp_eq_u16_e32 vcc, 15, v5
	s_cbranch_vccz .LBB14_1225
; %bb.1221:
	global_load_ushort v6, v[0:1], off
	s_mov_b64 s[2:3], 0
	s_mov_b64 s[20:21], -1
	s_waitcnt vmcnt(0)
	v_lshlrev_b32_e32 v6, 16, v6
	s_branch .LBB14_1226
.LBB14_1222:
	s_mov_b64 s[22:23], -1
                                        ; implicit-def: $vgpr6
	s_branch .LBB14_1227
.LBB14_1223:
	s_or_saveexec_b64 s[20:21], s[20:21]
	v_mov_b32_e32 v6, s15
	s_xor_b64 exec, exec, s[20:21]
	s_cbranch_execz .LBB14_1204
.LBB14_1224:
	v_cmp_ne_u16_e32 vcc, 0, v7
	s_andn2_b64 s[4:5], s[4:5], exec
	s_and_b64 s[22:23], vcc, exec
	v_mov_b32_e32 v6, 0
	s_or_b64 s[4:5], s[4:5], s[22:23]
	s_or_b64 exec, exec, s[20:21]
	s_and_saveexec_b64 s[20:21], s[4:5]
	s_cbranch_execnz .LBB14_1205
	s_branch .LBB14_1206
.LBB14_1225:
	s_mov_b64 s[2:3], -1
                                        ; implicit-def: $vgpr6
.LBB14_1226:
	s_mov_b64 s[22:23], 0
.LBB14_1227:
	s_and_b64 vcc, exec, s[22:23]
	s_cbranch_vccz .LBB14_1229
; %bb.1228:
	v_cmp_ne_u16_e64 s[2:3], 11, v5
	s_mov_b64 s[4:5], -1
                                        ; implicit-def: $vgpr6
.LBB14_1229:
	s_and_b64 vcc, exec, s[2:3]
	s_cbranch_vccnz .LBB14_1292
; %bb.1230:
	s_andn2_b64 vcc, exec, s[4:5]
	s_cbranch_vccnz .LBB14_1232
.LBB14_1231:
	global_load_ubyte v6, v[0:1], off
	s_mov_b64 s[20:21], -1
	s_waitcnt vmcnt(0)
	v_cmp_ne_u16_e32 vcc, 0, v6
	v_cndmask_b32_e64 v6, 0, 1.0, vcc
.LBB14_1232:
	s_branch .LBB14_1159
.LBB14_1233:
	v_cmp_gt_i16_e32 vcc, 5, v5
	s_cbranch_vccnz .LBB14_1238
; %bb.1234:
	v_cmp_gt_i16_e32 vcc, 8, v5
	s_cbranch_vccnz .LBB14_1239
; %bb.1235:
	;; [unrolled: 3-line block ×3, first 2 shown]
	v_cmp_lt_i16_e32 vcc, 9, v5
	s_cbranch_vccz .LBB14_1241
; %bb.1237:
	global_load_dwordx2 v[6:7], v[0:1], off
	s_mov_b64 s[2:3], 0
	s_waitcnt vmcnt(0)
	v_cvt_f32_f64_e32 v6, v[6:7]
	s_branch .LBB14_1242
.LBB14_1238:
                                        ; implicit-def: $vgpr6
	s_branch .LBB14_1260
.LBB14_1239:
	s_mov_b64 s[2:3], -1
                                        ; implicit-def: $vgpr6
	s_branch .LBB14_1248
.LBB14_1240:
	s_mov_b64 s[2:3], -1
                                        ; implicit-def: $vgpr6
	s_branch .LBB14_1245
.LBB14_1241:
	s_mov_b64 s[2:3], -1
                                        ; implicit-def: $vgpr6
.LBB14_1242:
	s_andn2_b64 vcc, exec, s[2:3]
	s_cbranch_vccnz .LBB14_1244
; %bb.1243:
	global_load_dword v6, v[0:1], off
.LBB14_1244:
	s_mov_b64 s[2:3], 0
.LBB14_1245:
	s_andn2_b64 vcc, exec, s[2:3]
	s_cbranch_vccnz .LBB14_1247
; %bb.1246:
	global_load_dword v6, v[0:1], off
	s_waitcnt vmcnt(0)
	v_cvt_f32_f16_e32 v6, v6
.LBB14_1247:
	s_mov_b64 s[2:3], 0
.LBB14_1248:
	s_andn2_b64 vcc, exec, s[2:3]
	s_cbranch_vccnz .LBB14_1259
; %bb.1249:
	v_cmp_gt_i16_e32 vcc, 6, v5
	s_cbranch_vccnz .LBB14_1252
; %bb.1250:
	v_cmp_lt_i16_e32 vcc, 6, v5
	s_cbranch_vccz .LBB14_1253
; %bb.1251:
	global_load_dwordx2 v[6:7], v[0:1], off
	s_mov_b64 s[2:3], 0
	s_waitcnt vmcnt(0)
	v_cvt_f32_f64_e32 v6, v[6:7]
	s_branch .LBB14_1254
.LBB14_1252:
	s_mov_b64 s[2:3], -1
                                        ; implicit-def: $vgpr6
	s_branch .LBB14_1257
.LBB14_1253:
	s_mov_b64 s[2:3], -1
                                        ; implicit-def: $vgpr6
.LBB14_1254:
	s_andn2_b64 vcc, exec, s[2:3]
	s_cbranch_vccnz .LBB14_1256
; %bb.1255:
	global_load_dword v6, v[0:1], off
.LBB14_1256:
	s_mov_b64 s[2:3], 0
.LBB14_1257:
	s_andn2_b64 vcc, exec, s[2:3]
	s_cbranch_vccnz .LBB14_1259
; %bb.1258:
	global_load_ushort v6, v[0:1], off
	s_waitcnt vmcnt(0)
	v_cvt_f32_f16_e32 v6, v6
.LBB14_1259:
	s_cbranch_execnz .LBB14_1279
.LBB14_1260:
	v_cmp_gt_i16_e32 vcc, 2, v5
	s_cbranch_vccnz .LBB14_1264
; %bb.1261:
	v_cmp_gt_i16_e32 vcc, 3, v5
	s_cbranch_vccnz .LBB14_1265
; %bb.1262:
	v_cmp_lt_i16_e32 vcc, 3, v5
	s_cbranch_vccz .LBB14_1266
; %bb.1263:
	global_load_dwordx2 v[6:7], v[0:1], off
	s_mov_b64 s[2:3], 0
	s_waitcnt vmcnt(0)
	v_xor_b32_e32 v9, v6, v7
	v_ffbh_i32_e32 v8, v7
	v_ashrrev_i32_e32 v9, 31, v9
	v_add_u32_e32 v8, -1, v8
	v_add_u32_e32 v9, 32, v9
	v_min_u32_e32 v8, v8, v9
	v_lshlrev_b64 v[6:7], v8, v[6:7]
	v_min_u32_e32 v6, 1, v6
	v_or_b32_e32 v6, v7, v6
	v_cvt_f32_i32_e32 v6, v6
	v_sub_u32_e32 v7, 32, v8
	v_ldexp_f32 v6, v6, v7
	s_branch .LBB14_1267
.LBB14_1264:
	s_mov_b64 s[2:3], -1
                                        ; implicit-def: $vgpr6
	s_branch .LBB14_1273
.LBB14_1265:
	s_mov_b64 s[2:3], -1
                                        ; implicit-def: $vgpr6
	s_branch .LBB14_1270
.LBB14_1266:
	s_mov_b64 s[2:3], -1
                                        ; implicit-def: $vgpr6
.LBB14_1267:
	s_andn2_b64 vcc, exec, s[2:3]
	s_cbranch_vccnz .LBB14_1269
; %bb.1268:
	global_load_dword v6, v[0:1], off
	s_waitcnt vmcnt(0)
	v_cvt_f32_i32_e32 v6, v6
.LBB14_1269:
	s_mov_b64 s[2:3], 0
.LBB14_1270:
	s_andn2_b64 vcc, exec, s[2:3]
	s_cbranch_vccnz .LBB14_1272
; %bb.1271:
	global_load_sshort v6, v[0:1], off
	s_waitcnt vmcnt(0)
	v_cvt_f32_i32_e32 v6, v6
.LBB14_1272:
	s_mov_b64 s[2:3], 0
.LBB14_1273:
	s_andn2_b64 vcc, exec, s[2:3]
	s_cbranch_vccnz .LBB14_1279
; %bb.1274:
	v_cmp_lt_i16_e32 vcc, 0, v5
	s_cbranch_vccz .LBB14_1276
; %bb.1275:
	global_load_sbyte v6, v[0:1], off
	s_mov_b64 s[2:3], 0
	s_waitcnt vmcnt(0)
	v_cvt_f32_i32_e32 v6, v6
	s_branch .LBB14_1277
.LBB14_1276:
	s_mov_b64 s[2:3], -1
                                        ; implicit-def: $vgpr6
.LBB14_1277:
	s_andn2_b64 vcc, exec, s[2:3]
	s_cbranch_vccnz .LBB14_1279
; %bb.1278:
	global_load_ubyte v0, v[0:1], off
	s_waitcnt vmcnt(0)
	v_cvt_f32_ubyte0_e32 v6, v0
.LBB14_1279:
.LBB14_1280:
	v_add_u32_e32 v2, s13, v2
	v_ashrrev_i32_e32 v1, 31, v2
	v_mov_b32_e32 v7, s11
	v_add_co_u32_e32 v0, vcc, s10, v2
	v_addc_co_u32_e32 v1, vcc, v7, v1, vcc
	s_and_b64 vcc, exec, s[0:1]
	s_cbranch_vccnz .LBB14_1287
; %bb.1281:
	v_cmp_lt_i16_e32 vcc, 25, v5
	s_mov_b64 s[4:5], 0
	s_cbranch_vccz .LBB14_1289
; %bb.1282:
	v_cmp_lt_i16_e32 vcc, 28, v5
	s_cbranch_vccz .LBB14_1290
; %bb.1283:
	v_cmp_lt_i16_e32 vcc, 43, v5
	;; [unrolled: 3-line block ×3, first 2 shown]
	s_cbranch_vccz .LBB14_1293
; %bb.1285:
	v_cmp_eq_u16_e32 vcc, 46, v5
	s_mov_b64 s[22:23], 0
	s_cbranch_vccz .LBB14_1294
; %bb.1286:
	global_load_dword v7, v[0:1], off
	s_mov_b64 s[2:3], 0
	s_mov_b64 s[20:21], -1
	s_waitcnt vmcnt(0)
	v_lshlrev_b32_e32 v7, 16, v7
	s_branch .LBB14_1295
.LBB14_1287:
	s_mov_b64 s[20:21], 0
                                        ; implicit-def: $vgpr7
	s_cbranch_execnz .LBB14_1361
.LBB14_1288:
	s_andn2_b64 vcc, exec, s[20:21]
	s_cbranch_vccnz .LBB14_1992
	s_branch .LBB14_1409
.LBB14_1289:
	s_mov_b64 s[22:23], -1
	s_mov_b64 s[20:21], 0
	s_mov_b64 s[2:3], 0
                                        ; implicit-def: $vgpr7
	s_branch .LBB14_1324
.LBB14_1290:
	s_mov_b64 s[22:23], -1
	s_mov_b64 s[20:21], 0
	s_mov_b64 s[2:3], 0
                                        ; implicit-def: $vgpr7
	s_branch .LBB14_1305
.LBB14_1291:
	s_mov_b64 s[22:23], -1
	s_mov_b64 s[20:21], 0
	s_mov_b64 s[2:3], 0
                                        ; implicit-def: $vgpr7
	s_branch .LBB14_1300
.LBB14_1292:
	s_trap 2
	s_or_b64 s[18:19], s[18:19], exec
                                        ; implicit-def: $vgpr6
	s_cbranch_execz .LBB14_1231
	s_branch .LBB14_1232
.LBB14_1293:
	s_mov_b64 s[22:23], -1
	s_mov_b64 s[20:21], 0
	s_mov_b64 s[2:3], 0
                                        ; implicit-def: $vgpr7
	s_branch .LBB14_1295
.LBB14_1294:
	s_mov_b64 s[2:3], -1
                                        ; implicit-def: $vgpr7
	s_mov_b64 s[20:21], 0
.LBB14_1295:
	s_and_b64 vcc, exec, s[22:23]
	s_cbranch_vccz .LBB14_1299
; %bb.1296:
	v_cmp_eq_u16_e32 vcc, 44, v5
	s_cbranch_vccz .LBB14_1298
; %bb.1297:
	global_load_ubyte v7, v[0:1], off
	s_movk_i32 s15, 0xff
	v_mov_b32_e32 v8, 0x7f800001
	v_mov_b32_e32 v9, 0x400000
	s_mov_b64 s[2:3], 0
	s_mov_b64 s[20:21], -1
	s_waitcnt vmcnt(0)
	v_lshlrev_b32_e32 v10, 23, v7
	v_cmp_ne_u32_e32 vcc, s15, v7
	v_cndmask_b32_e32 v8, v8, v10, vcc
	v_cmp_ne_u32_e32 vcc, 0, v7
	v_cndmask_b32_e32 v7, v9, v8, vcc
	s_branch .LBB14_1299
.LBB14_1298:
	s_mov_b64 s[2:3], -1
                                        ; implicit-def: $vgpr7
.LBB14_1299:
	s_mov_b64 s[22:23], 0
.LBB14_1300:
	s_and_b64 vcc, exec, s[22:23]
	s_cbranch_vccz .LBB14_1304
; %bb.1301:
	v_cmp_eq_u16_e32 vcc, 29, v5
	s_cbranch_vccz .LBB14_1303
; %bb.1302:
	global_load_dwordx2 v[8:9], v[0:1], off
	s_mov_b64 s[2:3], 0
	s_mov_b64 s[20:21], -1
	s_mov_b64 s[22:23], 0
	s_waitcnt vmcnt(0)
	v_ffbh_u32_e32 v7, v9
	v_min_u32_e32 v7, 32, v7
	v_lshlrev_b64 v[8:9], v7, v[8:9]
	v_min_u32_e32 v8, 1, v8
	v_or_b32_e32 v8, v9, v8
	v_cvt_f32_u32_e32 v8, v8
	v_sub_u32_e32 v7, 32, v7
	v_ldexp_f32 v7, v8, v7
	s_branch .LBB14_1305
.LBB14_1303:
	s_mov_b64 s[2:3], -1
                                        ; implicit-def: $vgpr7
.LBB14_1304:
	s_mov_b64 s[22:23], 0
.LBB14_1305:
	s_and_b64 vcc, exec, s[22:23]
	s_cbranch_vccz .LBB14_1323
; %bb.1306:
	v_cmp_gt_i16_e32 vcc, 27, v5
	s_cbranch_vccnz .LBB14_1309
; %bb.1307:
	v_cmp_lt_i16_e32 vcc, 27, v5
	s_cbranch_vccz .LBB14_1310
; %bb.1308:
	global_load_dword v7, v[0:1], off
	s_mov_b64 s[20:21], 0
	s_waitcnt vmcnt(0)
	v_cvt_f32_u32_e32 v7, v7
	s_branch .LBB14_1311
.LBB14_1309:
	s_mov_b64 s[20:21], -1
                                        ; implicit-def: $vgpr7
	s_branch .LBB14_1314
.LBB14_1310:
	s_mov_b64 s[20:21], -1
                                        ; implicit-def: $vgpr7
.LBB14_1311:
	s_andn2_b64 vcc, exec, s[20:21]
	s_cbranch_vccnz .LBB14_1313
; %bb.1312:
	global_load_ushort v7, v[0:1], off
	s_waitcnt vmcnt(0)
	v_cvt_f32_u32_e32 v7, v7
.LBB14_1313:
	s_mov_b64 s[20:21], 0
.LBB14_1314:
	s_andn2_b64 vcc, exec, s[20:21]
	s_cbranch_vccnz .LBB14_1322
; %bb.1315:
	global_load_ubyte v8, v[0:1], off
	s_movk_i32 s15, 0x7f
	s_mov_b64 s[20:21], 0
	s_waitcnt vmcnt(0)
	v_cmp_lt_i16_e32 vcc, s15, v8
                                        ; implicit-def: $sgpr15
	s_and_saveexec_b64 s[22:23], vcc
	s_xor_b64 s[22:23], exec, s[22:23]
	s_cbranch_execz .LBB14_1336
; %bb.1316:
	s_movk_i32 s15, 0x80
	v_cmp_eq_u16_e32 vcc, s15, v8
	s_mov_b64 s[20:21], -1
                                        ; implicit-def: $sgpr15
	s_and_saveexec_b64 s[24:25], vcc
; %bb.1317:
	s_mov_b32 s15, 0x7f800001
	s_xor_b64 s[20:21], exec, -1
; %bb.1318:
	s_or_b64 exec, exec, s[24:25]
	s_and_b64 s[20:21], s[20:21], exec
	s_or_saveexec_b64 s[22:23], s[22:23]
	v_mov_b32_e32 v7, s15
	s_xor_b64 exec, exec, s[22:23]
	s_cbranch_execnz .LBB14_1337
.LBB14_1319:
	s_or_b64 exec, exec, s[22:23]
	s_and_saveexec_b64 s[22:23], s[20:21]
	s_cbranch_execz .LBB14_1321
.LBB14_1320:
	v_lshlrev_b32_e32 v7, 24, v8
	v_and_b32_e32 v8, 0xffff, v8
	v_and_b32_e32 v9, 7, v8
	v_ffbh_u32_e32 v11, v9
	v_min_u32_e32 v11, 32, v11
	v_subrev_u32_e32 v12, 28, v11
	v_bfe_u32 v10, v8, 3, 4
	v_lshlrev_b32_e32 v8, v12, v8
	v_sub_u32_e32 v11, 29, v11
	v_and_b32_e32 v8, 7, v8
	v_cmp_eq_u32_e32 vcc, 0, v10
	v_cndmask_b32_e32 v10, v10, v11, vcc
	v_cndmask_b32_e32 v8, v9, v8, vcc
	v_mov_b32_e32 v9, 0x3b800000
	v_lshlrev_b32_e32 v8, 20, v8
	v_and_b32_e32 v7, 0x80000000, v7
	v_lshl_add_u32 v9, v10, 23, v9
	v_or3_b32 v7, v7, v9, v8
.LBB14_1321:
	s_or_b64 exec, exec, s[22:23]
.LBB14_1322:
	s_mov_b64 s[20:21], -1
.LBB14_1323:
	s_mov_b64 s[22:23], 0
.LBB14_1324:
	s_and_b64 vcc, exec, s[22:23]
	s_cbranch_vccz .LBB14_1357
; %bb.1325:
	v_cmp_lt_i16_e32 vcc, 22, v5
	s_cbranch_vccz .LBB14_1335
; %bb.1326:
	v_cmp_gt_i16_e32 vcc, 24, v5
	s_cbranch_vccnz .LBB14_1338
; %bb.1327:
	v_cmp_lt_i16_e32 vcc, 24, v5
	s_cbranch_vccz .LBB14_1339
; %bb.1328:
	global_load_ubyte v8, v[0:1], off
	s_movk_i32 s4, 0x7f
                                        ; implicit-def: $sgpr15
	s_waitcnt vmcnt(0)
	v_cmp_lt_i16_e32 vcc, s4, v8
	s_mov_b64 s[4:5], 0
	s_and_saveexec_b64 s[20:21], vcc
	s_xor_b64 s[20:21], exec, s[20:21]
	s_cbranch_execz .LBB14_1351
; %bb.1329:
	s_movk_i32 s4, 0x80
	v_cmp_eq_u16_e32 vcc, s4, v8
	s_mov_b64 s[4:5], -1
                                        ; implicit-def: $sgpr15
	s_and_saveexec_b64 s[22:23], vcc
; %bb.1330:
	s_mov_b32 s15, 0x7f800001
	s_xor_b64 s[4:5], exec, -1
; %bb.1331:
	s_or_b64 exec, exec, s[22:23]
	s_and_b64 s[4:5], s[4:5], exec
	s_or_saveexec_b64 s[20:21], s[20:21]
	v_mov_b32_e32 v7, s15
	s_xor_b64 exec, exec, s[20:21]
	s_cbranch_execnz .LBB14_1352
.LBB14_1332:
	s_or_b64 exec, exec, s[20:21]
	s_and_saveexec_b64 s[20:21], s[4:5]
	s_cbranch_execz .LBB14_1334
.LBB14_1333:
	v_lshlrev_b32_e32 v7, 24, v8
	v_and_b32_e32 v8, 0xffff, v8
	v_and_b32_e32 v9, 3, v8
	v_ffbh_u32_e32 v11, v9
	v_min_u32_e32 v11, 32, v11
	v_subrev_u32_e32 v12, 29, v11
	v_bfe_u32 v10, v8, 2, 5
	v_lshlrev_b32_e32 v8, v12, v8
	v_sub_u32_e32 v11, 30, v11
	v_and_b32_e32 v8, 3, v8
	v_cmp_eq_u32_e32 vcc, 0, v10
	v_cndmask_b32_e32 v10, v10, v11, vcc
	v_cndmask_b32_e32 v8, v9, v8, vcc
	v_mov_b32_e32 v9, 0x37800000
	v_lshlrev_b32_e32 v8, 21, v8
	v_and_b32_e32 v7, 0x80000000, v7
	v_lshl_add_u32 v9, v10, 23, v9
	v_or3_b32 v7, v7, v9, v8
.LBB14_1334:
	s_or_b64 exec, exec, s[20:21]
	s_mov_b64 s[4:5], 0
	s_branch .LBB14_1340
.LBB14_1335:
	s_mov_b64 s[4:5], -1
                                        ; implicit-def: $vgpr7
	s_branch .LBB14_1346
.LBB14_1336:
	s_or_saveexec_b64 s[22:23], s[22:23]
	v_mov_b32_e32 v7, s15
	s_xor_b64 exec, exec, s[22:23]
	s_cbranch_execz .LBB14_1319
.LBB14_1337:
	v_cmp_ne_u16_e32 vcc, 0, v8
	s_andn2_b64 s[20:21], s[20:21], exec
	s_and_b64 s[24:25], vcc, exec
	v_mov_b32_e32 v7, 0
	s_or_b64 s[20:21], s[20:21], s[24:25]
	s_or_b64 exec, exec, s[22:23]
	s_and_saveexec_b64 s[22:23], s[20:21]
	s_cbranch_execnz .LBB14_1320
	s_branch .LBB14_1321
.LBB14_1338:
	s_mov_b64 s[4:5], -1
                                        ; implicit-def: $vgpr7
	s_branch .LBB14_1343
.LBB14_1339:
	s_mov_b64 s[4:5], -1
                                        ; implicit-def: $vgpr7
.LBB14_1340:
	s_and_b64 vcc, exec, s[4:5]
	s_cbranch_vccz .LBB14_1342
; %bb.1341:
	global_load_ubyte v7, v[0:1], off
	s_mov_b32 s4, 0x7f800000
	s_waitcnt vmcnt(0)
	v_lshlrev_b32_e32 v7, 24, v7
	v_and_b32_e32 v8, 0x7f000000, v7
	v_ffbh_u32_e32 v9, v8
	v_min_u32_e32 v9, 32, v9
	v_sub_u32_e64 v9, v9, 4 clamp
	v_lshlrev_b32_e32 v11, v9, v8
	v_lshlrev_b32_e32 v9, 23, v9
	v_lshrrev_b32_e32 v11, 4, v11
	v_add_u32_e32 v10, 0x1000000, v8
	v_sub_u32_e32 v9, v11, v9
	v_ashrrev_i32_e32 v10, 8, v10
	v_add_u32_e32 v9, 0x3c000000, v9
	v_and_or_b32 v9, v10, s4, v9
	v_cmp_ne_u32_e32 vcc, 0, v8
	v_cndmask_b32_e32 v8, 0, v9, vcc
	s_brev_b32 s4, 1
	v_and_or_b32 v7, v7, s4, v8
.LBB14_1342:
	s_mov_b64 s[4:5], 0
.LBB14_1343:
	s_andn2_b64 vcc, exec, s[4:5]
	s_cbranch_vccnz .LBB14_1345
; %bb.1344:
	global_load_ubyte v7, v[0:1], off
	s_movk_i32 s4, 0x7f00
	s_brev_b32 s5, 16
	s_waitcnt vmcnt(0)
	v_lshlrev_b16_e32 v8, 8, v7
	v_lshlrev_b32_e32 v7, 25, v7
	v_lshrrev_b32_e32 v9, 4, v7
	v_and_or_b32 v10, v8, s4, 0.5
	v_or_b32_e32 v9, 0x70000000, v9
	v_add_f32_e32 v10, -0.5, v10
	v_mul_f32_e32 v9, 0x7800000, v9
	v_cmp_gt_u32_e32 vcc, s5, v7
	v_bfe_i32 v8, v8, 0, 16
	v_cndmask_b32_e32 v7, v9, v10, vcc
	s_brev_b32 s4, 1
	v_and_or_b32 v7, v8, s4, v7
.LBB14_1345:
	s_mov_b64 s[4:5], 0
	s_mov_b64 s[20:21], -1
.LBB14_1346:
	s_andn2_b64 vcc, exec, s[4:5]
	s_mov_b64 s[4:5], 0
	s_cbranch_vccnz .LBB14_1357
; %bb.1347:
	v_cmp_lt_i16_e32 vcc, 14, v5
	s_cbranch_vccz .LBB14_1350
; %bb.1348:
	v_cmp_eq_u16_e32 vcc, 15, v5
	s_cbranch_vccz .LBB14_1353
; %bb.1349:
	global_load_ushort v7, v[0:1], off
	s_mov_b64 s[2:3], 0
	s_mov_b64 s[20:21], -1
	s_waitcnt vmcnt(0)
	v_lshlrev_b32_e32 v7, 16, v7
	s_branch .LBB14_1354
.LBB14_1350:
	s_mov_b64 s[22:23], -1
                                        ; implicit-def: $vgpr7
	s_branch .LBB14_1355
.LBB14_1351:
	s_or_saveexec_b64 s[20:21], s[20:21]
	v_mov_b32_e32 v7, s15
	s_xor_b64 exec, exec, s[20:21]
	s_cbranch_execz .LBB14_1332
.LBB14_1352:
	v_cmp_ne_u16_e32 vcc, 0, v8
	s_andn2_b64 s[4:5], s[4:5], exec
	s_and_b64 s[22:23], vcc, exec
	v_mov_b32_e32 v7, 0
	s_or_b64 s[4:5], s[4:5], s[22:23]
	s_or_b64 exec, exec, s[20:21]
	s_and_saveexec_b64 s[20:21], s[4:5]
	s_cbranch_execnz .LBB14_1333
	s_branch .LBB14_1334
.LBB14_1353:
	s_mov_b64 s[2:3], -1
                                        ; implicit-def: $vgpr7
.LBB14_1354:
	s_mov_b64 s[22:23], 0
.LBB14_1355:
	s_and_b64 vcc, exec, s[22:23]
	s_cbranch_vccz .LBB14_1357
; %bb.1356:
	v_cmp_ne_u16_e64 s[2:3], 11, v5
	s_mov_b64 s[4:5], -1
                                        ; implicit-def: $vgpr7
.LBB14_1357:
	s_and_b64 vcc, exec, s[2:3]
	s_cbranch_vccnz .LBB14_1420
; %bb.1358:
	s_andn2_b64 vcc, exec, s[4:5]
	s_cbranch_vccnz .LBB14_1360
.LBB14_1359:
	global_load_ubyte v7, v[0:1], off
	s_mov_b64 s[20:21], -1
	s_waitcnt vmcnt(0)
	v_cmp_ne_u16_e32 vcc, 0, v7
	v_cndmask_b32_e64 v7, 0, 1.0, vcc
.LBB14_1360:
	s_branch .LBB14_1288
.LBB14_1361:
	v_cmp_gt_i16_e32 vcc, 5, v5
	s_cbranch_vccnz .LBB14_1366
; %bb.1362:
	v_cmp_gt_i16_e32 vcc, 8, v5
	s_cbranch_vccnz .LBB14_1367
; %bb.1363:
	v_cmp_gt_i16_e32 vcc, 9, v5
	s_cbranch_vccnz .LBB14_1368
; %bb.1364:
	v_cmp_lt_i16_e32 vcc, 9, v5
	s_cbranch_vccz .LBB14_1369
; %bb.1365:
	global_load_dwordx2 v[8:9], v[0:1], off
	s_mov_b64 s[2:3], 0
	s_waitcnt vmcnt(0)
	v_cvt_f32_f64_e32 v7, v[8:9]
	s_branch .LBB14_1370
.LBB14_1366:
	s_mov_b64 s[2:3], -1
                                        ; implicit-def: $vgpr7
	s_branch .LBB14_1388
.LBB14_1367:
	s_mov_b64 s[2:3], -1
                                        ; implicit-def: $vgpr7
	s_branch .LBB14_1376
.LBB14_1368:
	s_mov_b64 s[2:3], -1
                                        ; implicit-def: $vgpr7
	s_branch .LBB14_1373
.LBB14_1369:
	s_mov_b64 s[2:3], -1
                                        ; implicit-def: $vgpr7
.LBB14_1370:
	s_andn2_b64 vcc, exec, s[2:3]
	s_cbranch_vccnz .LBB14_1372
; %bb.1371:
	global_load_dword v7, v[0:1], off
.LBB14_1372:
	s_mov_b64 s[2:3], 0
.LBB14_1373:
	s_andn2_b64 vcc, exec, s[2:3]
	s_cbranch_vccnz .LBB14_1375
; %bb.1374:
	global_load_dword v7, v[0:1], off
	s_waitcnt vmcnt(0)
	v_cvt_f32_f16_e32 v7, v7
.LBB14_1375:
	s_mov_b64 s[2:3], 0
.LBB14_1376:
	s_andn2_b64 vcc, exec, s[2:3]
	s_cbranch_vccnz .LBB14_1387
; %bb.1377:
	v_cmp_gt_i16_e32 vcc, 6, v5
	s_cbranch_vccnz .LBB14_1380
; %bb.1378:
	v_cmp_lt_i16_e32 vcc, 6, v5
	s_cbranch_vccz .LBB14_1381
; %bb.1379:
	global_load_dwordx2 v[8:9], v[0:1], off
	s_mov_b64 s[2:3], 0
	s_waitcnt vmcnt(0)
	v_cvt_f32_f64_e32 v7, v[8:9]
	s_branch .LBB14_1382
.LBB14_1380:
	s_mov_b64 s[2:3], -1
                                        ; implicit-def: $vgpr7
	s_branch .LBB14_1385
.LBB14_1381:
	s_mov_b64 s[2:3], -1
                                        ; implicit-def: $vgpr7
.LBB14_1382:
	s_andn2_b64 vcc, exec, s[2:3]
	s_cbranch_vccnz .LBB14_1384
; %bb.1383:
	global_load_dword v7, v[0:1], off
.LBB14_1384:
	s_mov_b64 s[2:3], 0
.LBB14_1385:
	s_andn2_b64 vcc, exec, s[2:3]
	s_cbranch_vccnz .LBB14_1387
; %bb.1386:
	global_load_ushort v7, v[0:1], off
	s_waitcnt vmcnt(0)
	v_cvt_f32_f16_e32 v7, v7
.LBB14_1387:
	s_mov_b64 s[2:3], 0
.LBB14_1388:
	s_andn2_b64 vcc, exec, s[2:3]
	s_cbranch_vccnz .LBB14_1408
; %bb.1389:
	v_cmp_gt_i16_e32 vcc, 2, v5
	s_cbranch_vccnz .LBB14_1393
; %bb.1390:
	v_cmp_gt_i16_e32 vcc, 3, v5
	s_cbranch_vccnz .LBB14_1394
; %bb.1391:
	v_cmp_lt_i16_e32 vcc, 3, v5
	s_cbranch_vccz .LBB14_1395
; %bb.1392:
	global_load_dwordx2 v[8:9], v[0:1], off
	s_mov_b64 s[2:3], 0
	s_waitcnt vmcnt(0)
	v_xor_b32_e32 v10, v8, v9
	v_ffbh_i32_e32 v7, v9
	v_ashrrev_i32_e32 v10, 31, v10
	v_add_u32_e32 v7, -1, v7
	v_add_u32_e32 v10, 32, v10
	v_min_u32_e32 v7, v7, v10
	v_lshlrev_b64 v[8:9], v7, v[8:9]
	v_min_u32_e32 v8, 1, v8
	v_or_b32_e32 v8, v9, v8
	v_cvt_f32_i32_e32 v8, v8
	v_sub_u32_e32 v7, 32, v7
	v_ldexp_f32 v7, v8, v7
	s_branch .LBB14_1396
.LBB14_1393:
	s_mov_b64 s[2:3], -1
                                        ; implicit-def: $vgpr7
	s_branch .LBB14_1402
.LBB14_1394:
	s_mov_b64 s[2:3], -1
                                        ; implicit-def: $vgpr7
	s_branch .LBB14_1399
.LBB14_1395:
	s_mov_b64 s[2:3], -1
                                        ; implicit-def: $vgpr7
.LBB14_1396:
	s_andn2_b64 vcc, exec, s[2:3]
	s_cbranch_vccnz .LBB14_1398
; %bb.1397:
	global_load_dword v7, v[0:1], off
	s_waitcnt vmcnt(0)
	v_cvt_f32_i32_e32 v7, v7
.LBB14_1398:
	s_mov_b64 s[2:3], 0
.LBB14_1399:
	s_andn2_b64 vcc, exec, s[2:3]
	s_cbranch_vccnz .LBB14_1401
; %bb.1400:
	global_load_sshort v7, v[0:1], off
	s_waitcnt vmcnt(0)
	v_cvt_f32_i32_e32 v7, v7
.LBB14_1401:
	s_mov_b64 s[2:3], 0
.LBB14_1402:
	s_andn2_b64 vcc, exec, s[2:3]
	s_cbranch_vccnz .LBB14_1408
; %bb.1403:
	v_cmp_lt_i16_e32 vcc, 0, v5
	s_cbranch_vccz .LBB14_1405
; %bb.1404:
	global_load_sbyte v7, v[0:1], off
	s_mov_b64 s[2:3], 0
	s_waitcnt vmcnt(0)
	v_cvt_f32_i32_e32 v7, v7
	s_branch .LBB14_1406
.LBB14_1405:
	s_mov_b64 s[2:3], -1
                                        ; implicit-def: $vgpr7
.LBB14_1406:
	s_andn2_b64 vcc, exec, s[2:3]
	s_cbranch_vccnz .LBB14_1408
; %bb.1407:
	global_load_ubyte v0, v[0:1], off
	s_waitcnt vmcnt(0)
	v_cvt_f32_ubyte0_e32 v7, v0
.LBB14_1408:
.LBB14_1409:
	v_add_u32_e32 v0, s13, v2
	v_ashrrev_i32_e32 v1, 31, v0
	v_mov_b32_e32 v2, s11
	v_add_co_u32_e32 v0, vcc, s10, v0
	v_addc_co_u32_e32 v1, vcc, v2, v1, vcc
	s_and_b64 vcc, exec, s[0:1]
	s_cbranch_vccnz .LBB14_1416
; %bb.1410:
	v_cmp_lt_i16_e32 vcc, 25, v5
	s_mov_b64 s[2:3], 0
	s_cbranch_vccz .LBB14_1417
; %bb.1411:
	v_cmp_lt_i16_e32 vcc, 28, v5
	s_cbranch_vccz .LBB14_1418
; %bb.1412:
	v_cmp_lt_i16_e32 vcc, 43, v5
	;; [unrolled: 3-line block ×3, first 2 shown]
	s_cbranch_vccz .LBB14_1421
; %bb.1414:
	v_cmp_eq_u16_e32 vcc, 46, v5
	s_mov_b64 s[10:11], 0
	s_cbranch_vccz .LBB14_1422
; %bb.1415:
	global_load_dword v2, v[0:1], off
	s_mov_b64 s[0:1], 0
	s_mov_b64 s[4:5], -1
	s_waitcnt vmcnt(0)
	v_lshlrev_b32_e32 v8, 16, v2
	s_branch .LBB14_1423
.LBB14_1416:
	s_mov_b64 s[0:1], -1
	s_mov_b64 s[4:5], 0
                                        ; implicit-def: $vgpr8
	s_branch .LBB14_1489
.LBB14_1417:
	s_mov_b64 s[10:11], -1
	s_mov_b64 s[4:5], 0
	s_mov_b64 s[0:1], 0
                                        ; implicit-def: $vgpr8
	s_branch .LBB14_1452
.LBB14_1418:
	s_mov_b64 s[10:11], -1
	s_mov_b64 s[4:5], 0
	s_mov_b64 s[0:1], 0
                                        ; implicit-def: $vgpr8
	s_branch .LBB14_1433
.LBB14_1419:
	s_mov_b64 s[10:11], -1
	s_mov_b64 s[4:5], 0
	s_mov_b64 s[0:1], 0
                                        ; implicit-def: $vgpr8
	s_branch .LBB14_1428
.LBB14_1420:
	s_trap 2
	s_or_b64 s[18:19], s[18:19], exec
                                        ; implicit-def: $vgpr7
	s_cbranch_execz .LBB14_1359
	s_branch .LBB14_1360
.LBB14_1421:
	s_mov_b64 s[10:11], -1
	s_mov_b64 s[4:5], 0
	s_mov_b64 s[0:1], 0
                                        ; implicit-def: $vgpr8
	s_branch .LBB14_1423
.LBB14_1422:
	s_mov_b64 s[0:1], -1
                                        ; implicit-def: $vgpr8
	s_mov_b64 s[4:5], 0
.LBB14_1423:
	s_and_b64 vcc, exec, s[10:11]
	s_cbranch_vccz .LBB14_1427
; %bb.1424:
	v_cmp_eq_u16_e32 vcc, 44, v5
	s_cbranch_vccz .LBB14_1426
; %bb.1425:
	global_load_ubyte v2, v[0:1], off
	s_movk_i32 s4, 0xff
	v_mov_b32_e32 v8, 0x7f800001
	v_mov_b32_e32 v9, 0x400000
	s_mov_b64 s[0:1], 0
	s_waitcnt vmcnt(0)
	v_lshlrev_b32_e32 v10, 23, v2
	v_cmp_ne_u32_e32 vcc, s4, v2
	v_cndmask_b32_e32 v8, v8, v10, vcc
	v_cmp_ne_u32_e32 vcc, 0, v2
	v_cndmask_b32_e32 v8, v9, v8, vcc
	s_mov_b64 s[4:5], -1
	s_branch .LBB14_1427
.LBB14_1426:
	s_mov_b64 s[0:1], -1
                                        ; implicit-def: $vgpr8
.LBB14_1427:
	s_mov_b64 s[10:11], 0
.LBB14_1428:
	s_and_b64 vcc, exec, s[10:11]
	s_cbranch_vccz .LBB14_1432
; %bb.1429:
	v_cmp_eq_u16_e32 vcc, 29, v5
	s_cbranch_vccz .LBB14_1431
; %bb.1430:
	global_load_dwordx2 v[8:9], v[0:1], off
	s_mov_b64 s[0:1], 0
	s_mov_b64 s[4:5], -1
	s_mov_b64 s[10:11], 0
	s_waitcnt vmcnt(0)
	v_ffbh_u32_e32 v2, v9
	v_min_u32_e32 v2, 32, v2
	v_lshlrev_b64 v[8:9], v2, v[8:9]
	v_min_u32_e32 v8, 1, v8
	v_or_b32_e32 v8, v9, v8
	v_cvt_f32_u32_e32 v8, v8
	v_sub_u32_e32 v2, 32, v2
	v_ldexp_f32 v8, v8, v2
	s_branch .LBB14_1433
.LBB14_1431:
	s_mov_b64 s[0:1], -1
                                        ; implicit-def: $vgpr8
.LBB14_1432:
	s_mov_b64 s[10:11], 0
.LBB14_1433:
	s_and_b64 vcc, exec, s[10:11]
	s_cbranch_vccz .LBB14_1451
; %bb.1434:
	v_cmp_gt_i16_e32 vcc, 27, v5
	s_cbranch_vccnz .LBB14_1437
; %bb.1435:
	v_cmp_lt_i16_e32 vcc, 27, v5
	s_cbranch_vccz .LBB14_1438
; %bb.1436:
	global_load_dword v2, v[0:1], off
	s_mov_b64 s[4:5], 0
	s_waitcnt vmcnt(0)
	v_cvt_f32_u32_e32 v8, v2
	s_branch .LBB14_1439
.LBB14_1437:
	s_mov_b64 s[4:5], -1
                                        ; implicit-def: $vgpr8
	s_branch .LBB14_1442
.LBB14_1438:
	s_mov_b64 s[4:5], -1
                                        ; implicit-def: $vgpr8
.LBB14_1439:
	s_andn2_b64 vcc, exec, s[4:5]
	s_cbranch_vccnz .LBB14_1441
; %bb.1440:
	global_load_ushort v2, v[0:1], off
	s_waitcnt vmcnt(0)
	v_cvt_f32_u32_e32 v8, v2
.LBB14_1441:
	s_mov_b64 s[4:5], 0
.LBB14_1442:
	s_andn2_b64 vcc, exec, s[4:5]
	s_cbranch_vccnz .LBB14_1450
; %bb.1443:
	global_load_ubyte v2, v[0:1], off
	s_movk_i32 s4, 0x7f
                                        ; implicit-def: $sgpr13
	s_waitcnt vmcnt(0)
	v_cmp_lt_i16_e32 vcc, s4, v2
	s_mov_b64 s[4:5], 0
	s_and_saveexec_b64 s[10:11], vcc
	s_xor_b64 s[10:11], exec, s[10:11]
	s_cbranch_execz .LBB14_1464
; %bb.1444:
	s_movk_i32 s4, 0x80
	v_cmp_eq_u16_e32 vcc, s4, v2
	s_mov_b64 s[4:5], -1
                                        ; implicit-def: $sgpr13
	s_and_saveexec_b64 s[20:21], vcc
; %bb.1445:
	s_mov_b32 s13, 0x7f800001
	s_xor_b64 s[4:5], exec, -1
; %bb.1446:
	s_or_b64 exec, exec, s[20:21]
	s_and_b64 s[4:5], s[4:5], exec
	s_or_saveexec_b64 s[10:11], s[10:11]
	v_mov_b32_e32 v8, s13
	s_xor_b64 exec, exec, s[10:11]
	s_cbranch_execnz .LBB14_1465
.LBB14_1447:
	s_or_b64 exec, exec, s[10:11]
	s_and_saveexec_b64 s[10:11], s[4:5]
	s_cbranch_execz .LBB14_1449
.LBB14_1448:
	v_lshlrev_b32_e32 v8, 24, v2
	v_and_b32_e32 v2, 0xffff, v2
	v_and_b32_e32 v9, 7, v2
	v_ffbh_u32_e32 v11, v9
	v_min_u32_e32 v11, 32, v11
	v_subrev_u32_e32 v12, 28, v11
	v_bfe_u32 v10, v2, 3, 4
	v_lshlrev_b32_e32 v2, v12, v2
	v_sub_u32_e32 v11, 29, v11
	v_and_b32_e32 v2, 7, v2
	v_cmp_eq_u32_e32 vcc, 0, v10
	v_cndmask_b32_e32 v10, v10, v11, vcc
	v_cndmask_b32_e32 v2, v9, v2, vcc
	v_mov_b32_e32 v9, 0x3b800000
	v_lshlrev_b32_e32 v2, 20, v2
	v_and_b32_e32 v8, 0x80000000, v8
	v_lshl_add_u32 v9, v10, 23, v9
	v_or3_b32 v8, v8, v9, v2
.LBB14_1449:
	s_or_b64 exec, exec, s[10:11]
.LBB14_1450:
	s_mov_b64 s[4:5], -1
.LBB14_1451:
	s_mov_b64 s[10:11], 0
.LBB14_1452:
	s_and_b64 vcc, exec, s[10:11]
	s_cbranch_vccz .LBB14_1485
; %bb.1453:
	v_cmp_lt_i16_e32 vcc, 22, v5
	s_cbranch_vccz .LBB14_1463
; %bb.1454:
	v_cmp_gt_i16_e32 vcc, 24, v5
	s_cbranch_vccnz .LBB14_1466
; %bb.1455:
	v_cmp_lt_i16_e32 vcc, 24, v5
	s_cbranch_vccz .LBB14_1467
; %bb.1456:
	global_load_ubyte v2, v[0:1], off
	s_movk_i32 s2, 0x7f
                                        ; implicit-def: $sgpr13
	s_waitcnt vmcnt(0)
	v_cmp_lt_i16_e32 vcc, s2, v2
	s_mov_b64 s[2:3], 0
	s_and_saveexec_b64 s[4:5], vcc
	s_xor_b64 s[4:5], exec, s[4:5]
	s_cbranch_execz .LBB14_1479
; %bb.1457:
	s_movk_i32 s2, 0x80
	v_cmp_eq_u16_e32 vcc, s2, v2
	s_mov_b64 s[2:3], -1
                                        ; implicit-def: $sgpr13
	s_and_saveexec_b64 s[10:11], vcc
; %bb.1458:
	s_mov_b32 s13, 0x7f800001
	s_xor_b64 s[2:3], exec, -1
; %bb.1459:
	s_or_b64 exec, exec, s[10:11]
	s_and_b64 s[2:3], s[2:3], exec
	s_or_saveexec_b64 s[4:5], s[4:5]
	v_mov_b32_e32 v8, s13
	s_xor_b64 exec, exec, s[4:5]
	s_cbranch_execnz .LBB14_1480
.LBB14_1460:
	s_or_b64 exec, exec, s[4:5]
	s_and_saveexec_b64 s[4:5], s[2:3]
	s_cbranch_execz .LBB14_1462
.LBB14_1461:
	v_lshlrev_b32_e32 v8, 24, v2
	v_and_b32_e32 v2, 0xffff, v2
	v_and_b32_e32 v9, 3, v2
	v_ffbh_u32_e32 v11, v9
	v_min_u32_e32 v11, 32, v11
	v_subrev_u32_e32 v12, 29, v11
	v_bfe_u32 v10, v2, 2, 5
	v_lshlrev_b32_e32 v2, v12, v2
	v_sub_u32_e32 v11, 30, v11
	v_and_b32_e32 v2, 3, v2
	v_cmp_eq_u32_e32 vcc, 0, v10
	v_cndmask_b32_e32 v10, v10, v11, vcc
	v_cndmask_b32_e32 v2, v9, v2, vcc
	v_mov_b32_e32 v9, 0x37800000
	v_lshlrev_b32_e32 v2, 21, v2
	v_and_b32_e32 v8, 0x80000000, v8
	v_lshl_add_u32 v9, v10, 23, v9
	v_or3_b32 v8, v8, v9, v2
.LBB14_1462:
	s_or_b64 exec, exec, s[4:5]
	s_mov_b64 s[2:3], 0
	s_branch .LBB14_1468
.LBB14_1463:
	s_mov_b64 s[2:3], -1
                                        ; implicit-def: $vgpr8
	s_branch .LBB14_1474
.LBB14_1464:
	s_or_saveexec_b64 s[10:11], s[10:11]
	v_mov_b32_e32 v8, s13
	s_xor_b64 exec, exec, s[10:11]
	s_cbranch_execz .LBB14_1447
.LBB14_1465:
	v_cmp_ne_u16_e32 vcc, 0, v2
	s_andn2_b64 s[4:5], s[4:5], exec
	s_and_b64 s[20:21], vcc, exec
	v_mov_b32_e32 v8, 0
	s_or_b64 s[4:5], s[4:5], s[20:21]
	s_or_b64 exec, exec, s[10:11]
	s_and_saveexec_b64 s[10:11], s[4:5]
	s_cbranch_execnz .LBB14_1448
	s_branch .LBB14_1449
.LBB14_1466:
	s_mov_b64 s[2:3], -1
                                        ; implicit-def: $vgpr8
	s_branch .LBB14_1471
.LBB14_1467:
	s_mov_b64 s[2:3], -1
                                        ; implicit-def: $vgpr8
.LBB14_1468:
	s_and_b64 vcc, exec, s[2:3]
	s_cbranch_vccz .LBB14_1470
; %bb.1469:
	global_load_ubyte v2, v[0:1], off
	s_mov_b32 s2, 0x7f800000
	s_waitcnt vmcnt(0)
	v_lshlrev_b32_e32 v2, 24, v2
	v_and_b32_e32 v8, 0x7f000000, v2
	v_ffbh_u32_e32 v9, v8
	v_min_u32_e32 v9, 32, v9
	v_sub_u32_e64 v9, v9, 4 clamp
	v_lshlrev_b32_e32 v11, v9, v8
	v_lshlrev_b32_e32 v9, 23, v9
	v_lshrrev_b32_e32 v11, 4, v11
	v_add_u32_e32 v10, 0x1000000, v8
	v_sub_u32_e32 v9, v11, v9
	v_ashrrev_i32_e32 v10, 8, v10
	v_add_u32_e32 v9, 0x3c000000, v9
	v_and_or_b32 v9, v10, s2, v9
	v_cmp_ne_u32_e32 vcc, 0, v8
	v_cndmask_b32_e32 v8, 0, v9, vcc
	s_brev_b32 s2, 1
	v_and_or_b32 v8, v2, s2, v8
.LBB14_1470:
	s_mov_b64 s[2:3], 0
.LBB14_1471:
	s_andn2_b64 vcc, exec, s[2:3]
	s_cbranch_vccnz .LBB14_1473
; %bb.1472:
	global_load_ubyte v2, v[0:1], off
	s_movk_i32 s2, 0x7f00
	s_brev_b32 s3, 16
	s_waitcnt vmcnt(0)
	v_lshlrev_b16_e32 v8, 8, v2
	v_lshlrev_b32_e32 v2, 25, v2
	v_lshrrev_b32_e32 v9, 4, v2
	v_and_or_b32 v10, v8, s2, 0.5
	v_or_b32_e32 v9, 0x70000000, v9
	v_add_f32_e32 v10, -0.5, v10
	v_mul_f32_e32 v9, 0x7800000, v9
	v_cmp_gt_u32_e32 vcc, s3, v2
	v_bfe_i32 v8, v8, 0, 16
	v_cndmask_b32_e32 v2, v9, v10, vcc
	s_brev_b32 s2, 1
	v_and_or_b32 v8, v8, s2, v2
.LBB14_1473:
	s_mov_b64 s[2:3], 0
	s_mov_b64 s[4:5], -1
.LBB14_1474:
	s_andn2_b64 vcc, exec, s[2:3]
	s_mov_b64 s[2:3], 0
	s_cbranch_vccnz .LBB14_1485
; %bb.1475:
	v_cmp_lt_i16_e32 vcc, 14, v5
	s_cbranch_vccz .LBB14_1478
; %bb.1476:
	v_cmp_eq_u16_e32 vcc, 15, v5
	s_cbranch_vccz .LBB14_1481
; %bb.1477:
	global_load_ushort v2, v[0:1], off
	s_mov_b64 s[0:1], 0
	s_mov_b64 s[4:5], -1
	s_waitcnt vmcnt(0)
	v_lshlrev_b32_e32 v8, 16, v2
	s_branch .LBB14_1482
.LBB14_1478:
	s_mov_b64 s[10:11], -1
                                        ; implicit-def: $vgpr8
	s_branch .LBB14_1483
.LBB14_1479:
	s_or_saveexec_b64 s[4:5], s[4:5]
	v_mov_b32_e32 v8, s13
	s_xor_b64 exec, exec, s[4:5]
	s_cbranch_execz .LBB14_1460
.LBB14_1480:
	v_cmp_ne_u16_e32 vcc, 0, v2
	s_andn2_b64 s[2:3], s[2:3], exec
	s_and_b64 s[10:11], vcc, exec
	v_mov_b32_e32 v8, 0
	s_or_b64 s[2:3], s[2:3], s[10:11]
	s_or_b64 exec, exec, s[4:5]
	s_and_saveexec_b64 s[4:5], s[2:3]
	s_cbranch_execnz .LBB14_1461
	s_branch .LBB14_1462
.LBB14_1481:
	s_mov_b64 s[0:1], -1
                                        ; implicit-def: $vgpr8
.LBB14_1482:
	s_mov_b64 s[10:11], 0
.LBB14_1483:
	s_and_b64 vcc, exec, s[10:11]
	s_cbranch_vccz .LBB14_1485
; %bb.1484:
	v_cmp_ne_u16_e64 s[0:1], 11, v5
	s_mov_b64 s[2:3], -1
                                        ; implicit-def: $vgpr8
.LBB14_1485:
	s_and_b64 vcc, exec, s[0:1]
	s_cbranch_vccnz .LBB14_1549
; %bb.1486:
	s_andn2_b64 vcc, exec, s[2:3]
	s_cbranch_vccnz .LBB14_1488
.LBB14_1487:
	global_load_ubyte v2, v[0:1], off
	s_mov_b64 s[4:5], -1
	s_waitcnt vmcnt(0)
	v_cmp_ne_u16_e32 vcc, 0, v2
	v_cndmask_b32_e64 v8, 0, 1.0, vcc
.LBB14_1488:
	s_mov_b64 s[0:1], 0
.LBB14_1489:
	s_and_b64 vcc, exec, s[0:1]
	s_cbranch_vccz .LBB14_1538
; %bb.1490:
	v_cmp_gt_i16_e32 vcc, 5, v5
	s_cbranch_vccnz .LBB14_1495
; %bb.1491:
	v_cmp_gt_i16_e32 vcc, 8, v5
	s_cbranch_vccnz .LBB14_1496
	;; [unrolled: 3-line block ×3, first 2 shown]
; %bb.1493:
	v_cmp_lt_i16_e32 vcc, 9, v5
	s_cbranch_vccz .LBB14_1498
; %bb.1494:
	global_load_dwordx2 v[8:9], v[0:1], off
	s_mov_b64 s[0:1], 0
	s_waitcnt vmcnt(0)
	v_cvt_f32_f64_e32 v8, v[8:9]
	s_branch .LBB14_1499
.LBB14_1495:
	s_mov_b64 s[0:1], -1
                                        ; implicit-def: $vgpr8
	s_branch .LBB14_1517
.LBB14_1496:
	s_mov_b64 s[0:1], -1
                                        ; implicit-def: $vgpr8
	s_branch .LBB14_1505
.LBB14_1497:
	s_mov_b64 s[0:1], -1
                                        ; implicit-def: $vgpr8
	s_branch .LBB14_1502
.LBB14_1498:
	s_mov_b64 s[0:1], -1
                                        ; implicit-def: $vgpr8
.LBB14_1499:
	s_andn2_b64 vcc, exec, s[0:1]
	s_cbranch_vccnz .LBB14_1501
; %bb.1500:
	global_load_dword v8, v[0:1], off
.LBB14_1501:
	s_mov_b64 s[0:1], 0
.LBB14_1502:
	s_andn2_b64 vcc, exec, s[0:1]
	s_cbranch_vccnz .LBB14_1504
; %bb.1503:
	global_load_dword v2, v[0:1], off
	s_waitcnt vmcnt(0)
	v_cvt_f32_f16_e32 v8, v2
.LBB14_1504:
	s_mov_b64 s[0:1], 0
.LBB14_1505:
	s_andn2_b64 vcc, exec, s[0:1]
	s_cbranch_vccnz .LBB14_1516
; %bb.1506:
	v_cmp_gt_i16_e32 vcc, 6, v5
	s_cbranch_vccnz .LBB14_1509
; %bb.1507:
	v_cmp_lt_i16_e32 vcc, 6, v5
	s_cbranch_vccz .LBB14_1510
; %bb.1508:
	global_load_dwordx2 v[8:9], v[0:1], off
	s_mov_b64 s[0:1], 0
	s_waitcnt vmcnt(0)
	v_cvt_f32_f64_e32 v8, v[8:9]
	s_branch .LBB14_1511
.LBB14_1509:
	s_mov_b64 s[0:1], -1
                                        ; implicit-def: $vgpr8
	s_branch .LBB14_1514
.LBB14_1510:
	s_mov_b64 s[0:1], -1
                                        ; implicit-def: $vgpr8
.LBB14_1511:
	s_andn2_b64 vcc, exec, s[0:1]
	s_cbranch_vccnz .LBB14_1513
; %bb.1512:
	global_load_dword v8, v[0:1], off
.LBB14_1513:
	s_mov_b64 s[0:1], 0
.LBB14_1514:
	s_andn2_b64 vcc, exec, s[0:1]
	s_cbranch_vccnz .LBB14_1516
; %bb.1515:
	global_load_ushort v2, v[0:1], off
	s_waitcnt vmcnt(0)
	v_cvt_f32_f16_e32 v8, v2
.LBB14_1516:
	s_mov_b64 s[0:1], 0
.LBB14_1517:
	s_andn2_b64 vcc, exec, s[0:1]
	s_cbranch_vccnz .LBB14_1537
; %bb.1518:
	v_cmp_gt_i16_e32 vcc, 2, v5
	s_cbranch_vccnz .LBB14_1522
; %bb.1519:
	v_cmp_gt_i16_e32 vcc, 3, v5
	s_cbranch_vccnz .LBB14_1523
; %bb.1520:
	v_cmp_lt_i16_e32 vcc, 3, v5
	s_cbranch_vccz .LBB14_1524
; %bb.1521:
	global_load_dwordx2 v[8:9], v[0:1], off
	s_mov_b64 s[0:1], 0
	s_waitcnt vmcnt(0)
	v_xor_b32_e32 v10, v8, v9
	v_ffbh_i32_e32 v2, v9
	v_ashrrev_i32_e32 v10, 31, v10
	v_add_u32_e32 v2, -1, v2
	v_add_u32_e32 v10, 32, v10
	v_min_u32_e32 v2, v2, v10
	v_lshlrev_b64 v[8:9], v2, v[8:9]
	v_min_u32_e32 v8, 1, v8
	v_or_b32_e32 v8, v9, v8
	v_cvt_f32_i32_e32 v8, v8
	v_sub_u32_e32 v2, 32, v2
	v_ldexp_f32 v8, v8, v2
	s_branch .LBB14_1525
.LBB14_1522:
	s_mov_b64 s[0:1], -1
                                        ; implicit-def: $vgpr8
	s_branch .LBB14_1531
.LBB14_1523:
	s_mov_b64 s[0:1], -1
                                        ; implicit-def: $vgpr8
	s_branch .LBB14_1528
.LBB14_1524:
	s_mov_b64 s[0:1], -1
                                        ; implicit-def: $vgpr8
.LBB14_1525:
	s_andn2_b64 vcc, exec, s[0:1]
	s_cbranch_vccnz .LBB14_1527
; %bb.1526:
	global_load_dword v2, v[0:1], off
	s_waitcnt vmcnt(0)
	v_cvt_f32_i32_e32 v8, v2
.LBB14_1527:
	s_mov_b64 s[0:1], 0
.LBB14_1528:
	s_andn2_b64 vcc, exec, s[0:1]
	s_cbranch_vccnz .LBB14_1530
; %bb.1529:
	global_load_sshort v2, v[0:1], off
	s_waitcnt vmcnt(0)
	v_cvt_f32_i32_e32 v8, v2
.LBB14_1530:
	s_mov_b64 s[0:1], 0
.LBB14_1531:
	s_andn2_b64 vcc, exec, s[0:1]
	s_cbranch_vccnz .LBB14_1537
; %bb.1532:
	v_cmp_lt_i16_e32 vcc, 0, v5
	s_cbranch_vccz .LBB14_1534
; %bb.1533:
	global_load_sbyte v2, v[0:1], off
	s_mov_b64 s[0:1], 0
	s_waitcnt vmcnt(0)
	v_cvt_f32_i32_e32 v8, v2
	s_branch .LBB14_1535
.LBB14_1534:
	s_mov_b64 s[0:1], -1
                                        ; implicit-def: $vgpr8
.LBB14_1535:
	s_andn2_b64 vcc, exec, s[0:1]
	s_cbranch_vccnz .LBB14_1537
; %bb.1536:
	global_load_ubyte v0, v[0:1], off
	s_waitcnt vmcnt(0)
	v_cvt_f32_ubyte0_e32 v8, v0
.LBB14_1537:
	s_mov_b64 s[4:5], -1
.LBB14_1538:
	s_andn2_b64 vcc, exec, s[4:5]
	s_cbranch_vccnz .LBB14_1992
; %bb.1539:
	s_waitcnt vmcnt(0)
	v_cmp_nge_f32_e64 s[0:1], v3, -s14
	v_cmp_nge_f32_e32 vcc, s14, v3
	v_mul_lo_u32 v4, s12, v4
	s_or_b64 s[0:1], s[0:1], vcc
	v_ashrrev_i32_e32 v1, 31, v4
	v_mov_b32_e32 v5, s9
	v_add_co_u32_e32 v0, vcc, s8, v4
	v_addc_co_u32_e32 v1, vcc, v5, v1, vcc
	v_mov_b32_e32 v5, 11
	v_cmp_lt_i16_sdwa s[2:3], s33, v5 src0_sel:BYTE_0 src1_sel:DWORD
	v_cndmask_b32_e64 v2, 0, v3, s[0:1]
	s_and_b64 vcc, exec, s[2:3]
	s_cbranch_vccnz .LBB14_1546
; %bb.1540:
	v_mov_b32_e32 v5, 25
	v_cmp_gt_i16_sdwa s[2:3], s33, v5 src0_sel:BYTE_0 src1_sel:DWORD
	s_mov_b64 s[20:21], -1
	s_mov_b64 s[4:5], 0
	s_and_b64 vcc, exec, s[2:3]
	s_mov_b64 s[10:11], 0
	s_mov_b64 s[2:3], 0
	s_cbranch_vccz .LBB14_1578
; %bb.1541:
	v_mov_b32_e32 v5, 28
	v_cmp_gt_i16_sdwa s[2:3], s33, v5 src0_sel:BYTE_0 src1_sel:DWORD
	s_and_b64 vcc, exec, s[2:3]
	s_cbranch_vccz .LBB14_1547
; %bb.1542:
	v_mov_b32_e32 v5, 43
	v_cmp_gt_i16_sdwa s[2:3], s33, v5 src0_sel:BYTE_0 src1_sel:DWORD
	s_and_b64 vcc, exec, s[2:3]
	;; [unrolled: 5-line block ×3, first 2 shown]
	s_cbranch_vccz .LBB14_1550
; %bb.1544:
	v_mov_b32_e32 v5, 46
	v_cmp_eq_u16_sdwa s[10:11], s33, v5 src0_sel:BYTE_0 src1_sel:DWORD
	s_mov_b64 s[2:3], -1
	s_mov_b64 s[20:21], 0
	s_and_b64 vcc, exec, s[10:11]
	s_mov_b64 s[10:11], 0
	s_cbranch_vccz .LBB14_1551
; %bb.1545:
	v_bfe_u32 v5, v2, 16, 1
	s_movk_i32 s2, 0x7fff
	v_add3_u32 v5, v2, v5, s2
	v_lshrrev_b32_e32 v5, 16, v5
	v_mov_b32_e32 v9, 0x7fc0
	v_cmp_o_f32_e32 vcc, v2, v2
	v_cndmask_b32_e32 v5, v9, v5, vcc
	global_store_dword v[0:1], v5, off
	s_mov_b64 s[2:3], 0
	s_mov_b64 s[10:11], -1
	s_branch .LBB14_1551
.LBB14_1546:
	s_mov_b64 s[0:1], -1
	s_mov_b64 s[10:11], 0
	s_branch .LBB14_1622
.LBB14_1547:
	s_mov_b64 s[2:3], 0
	s_branch .LBB14_1561
.LBB14_1548:
	s_mov_b64 s[2:3], 0
	s_branch .LBB14_1557
.LBB14_1549:
	s_trap 2
	s_or_b64 s[18:19], s[18:19], exec
                                        ; implicit-def: $vgpr8
	s_cbranch_execz .LBB14_1487
	s_branch .LBB14_1488
.LBB14_1550:
	s_mov_b64 s[2:3], 0
.LBB14_1551:
	s_and_b64 vcc, exec, s[20:21]
	s_cbranch_vccz .LBB14_1556
; %bb.1552:
	v_mov_b32_e32 v5, 44
	v_cmp_eq_u16_sdwa s[20:21], s33, v5 src0_sel:BYTE_0 src1_sel:DWORD
	s_mov_b64 s[2:3], -1
	s_and_b64 vcc, exec, s[20:21]
	s_cbranch_vccz .LBB14_1556
; %bb.1553:
	v_bfe_u32 v5, v2, 23, 8
	s_movk_i32 s2, 0xff
	v_cmp_ne_u32_e32 vcc, s2, v5
	v_mov_b32_e32 v9, 0xff
	s_and_saveexec_b64 s[10:11], vcc
; %bb.1554:
	s_mov_b32 s2, 0x3fffff
	v_and_b32_e32 v10, 0x400000, v2
	v_and_or_b32 v5, v2, s2, v5
	v_cmp_ne_u32_e32 vcc, 0, v10
	v_cmp_ne_u32_e64 s[2:3], 0, v5
	s_and_b64 s[2:3], vcc, s[2:3]
	v_lshrrev_b32_e32 v9, 23, v2
	v_cndmask_b32_e64 v5, 0, 1, s[2:3]
	v_add_u32_e32 v9, v9, v5
; %bb.1555:
	s_or_b64 exec, exec, s[10:11]
	s_mov_b64 s[2:3], 0
	s_mov_b64 s[10:11], -1
	global_store_byte v[0:1], v9, off
.LBB14_1556:
	s_mov_b64 s[20:21], 0
.LBB14_1557:
	s_and_b64 vcc, exec, s[20:21]
	s_cbranch_vccz .LBB14_1560
; %bb.1558:
	v_mov_b32_e32 v5, 29
	v_cmp_eq_u16_sdwa s[20:21], s33, v5 src0_sel:BYTE_0 src1_sel:DWORD
	s_mov_b64 s[2:3], -1
	s_and_b64 vcc, exec, s[20:21]
	s_cbranch_vccz .LBB14_1560
; %bb.1559:
	v_trunc_f32_e32 v5, v2
	v_mul_f32_e32 v9, 0x2f800000, v5
	v_floor_f32_e32 v9, v9
	v_fmac_f32_e32 v5, 0xcf800000, v9
	v_cvt_u32_f32_e32 v11, v9
	v_cvt_u32_f32_e32 v10, v5
	s_mov_b64 s[2:3], 0
	s_mov_b64 s[10:11], -1
	s_mov_b64 s[20:21], 0
	global_store_dwordx2 v[0:1], v[10:11], off
	s_branch .LBB14_1561
.LBB14_1560:
	s_mov_b64 s[20:21], 0
.LBB14_1561:
	s_and_b64 vcc, exec, s[20:21]
	s_cbranch_vccz .LBB14_1577
; %bb.1562:
	v_mov_b32_e32 v5, 27
	v_cmp_lt_i16_sdwa s[20:21], s33, v5 src0_sel:BYTE_0 src1_sel:DWORD
	s_mov_b64 s[10:11], -1
	s_and_b64 vcc, exec, s[20:21]
	s_cbranch_vccnz .LBB14_1568
; %bb.1563:
	v_cmp_gt_i16_sdwa s[20:21], s33, v5 src0_sel:BYTE_0 src1_sel:DWORD
	v_cvt_u32_f32_e32 v5, v2
	s_and_b64 vcc, exec, s[20:21]
	s_cbranch_vccz .LBB14_1565
; %bb.1564:
	s_mov_b64 s[10:11], 0
	global_store_dword v[0:1], v5, off
.LBB14_1565:
	s_andn2_b64 vcc, exec, s[10:11]
	s_cbranch_vccnz .LBB14_1567
; %bb.1566:
	global_store_short v[0:1], v5, off
.LBB14_1567:
	s_mov_b64 s[10:11], 0
.LBB14_1568:
	s_andn2_b64 vcc, exec, s[10:11]
	s_cbranch_vccnz .LBB14_1576
; %bb.1569:
	v_cndmask_b32_e64 v9, 0, |v3|, s[0:1]
	s_mov_b32 s10, 0x43800000
	v_cmp_gt_u32_e32 vcc, s10, v9
	v_mov_b32_e32 v10, 0x80
	s_and_saveexec_b64 s[10:11], vcc
	s_cbranch_execz .LBB14_1575
; %bb.1570:
	s_mov_b32 s13, 0x3bffffff
	v_cmp_lt_u32_e32 vcc, s13, v9
	s_mov_b64 s[20:21], 0
                                        ; implicit-def: $vgpr5
	s_and_saveexec_b64 s[22:23], vcc
	s_xor_b64 s[22:23], exec, s[22:23]
	s_cbranch_execz .LBB14_1671
; %bb.1571:
	v_bfe_u32 v5, v2, 20, 1
	s_mov_b32 s13, 0x487ffff
	v_add3_u32 v5, v2, v5, s13
	s_mov_b64 s[20:21], exec
	v_lshrrev_b32_e32 v5, 20, v5
                                        ; implicit-def: $vgpr9
	s_or_saveexec_b64 s[22:23], s[22:23]
                                        ; implicit-def: $sgpr13
	s_xor_b64 exec, exec, s[22:23]
	s_cbranch_execnz .LBB14_1672
.LBB14_1572:
	s_or_b64 exec, exec, s[22:23]
	v_mov_b32_e32 v10, s13
	s_and_saveexec_b64 s[22:23], s[20:21]
.LBB14_1573:
	v_lshrrev_b32_e32 v9, 24, v2
	s_movk_i32 s13, 0x80
	v_and_or_b32 v10, v9, s13, v5
.LBB14_1574:
	s_or_b64 exec, exec, s[22:23]
.LBB14_1575:
	s_or_b64 exec, exec, s[10:11]
	global_store_byte v[0:1], v10, off
.LBB14_1576:
	s_mov_b64 s[10:11], -1
.LBB14_1577:
	s_mov_b64 s[20:21], 0
.LBB14_1578:
	s_and_b64 vcc, exec, s[20:21]
	s_cbranch_vccz .LBB14_1618
; %bb.1579:
	v_mov_b32_e32 v5, 22
	v_cmp_gt_i16_sdwa s[20:21], s33, v5 src0_sel:BYTE_0 src1_sel:DWORD
	s_mov_b64 s[4:5], -1
	s_and_b64 vcc, exec, s[20:21]
	s_cbranch_vccz .LBB14_1611
; %bb.1580:
	v_mov_b32_e32 v5, 24
	v_cmp_lt_i16_sdwa s[10:11], s33, v5 src0_sel:BYTE_0 src1_sel:DWORD
	s_and_b64 vcc, exec, s[10:11]
	s_cbranch_vccnz .LBB14_1600
; %bb.1581:
	v_cmp_gt_i16_sdwa s[10:11], s33, v5 src0_sel:BYTE_0 src1_sel:DWORD
	s_and_b64 vcc, exec, s[10:11]
	s_cbranch_vccz .LBB14_1589
; %bb.1582:
	v_cndmask_b32_e64 v9, 0, |v3|, s[0:1]
	s_mov_b32 s4, 0x47800000
	v_cmp_gt_u32_e32 vcc, s4, v9
	v_mov_b32_e32 v10, 0x80
	s_and_saveexec_b64 s[4:5], vcc
	s_cbranch_execz .LBB14_1588
; %bb.1583:
	s_mov_b32 s10, 0x37ffffff
	v_cmp_lt_u32_e32 vcc, s10, v9
	s_mov_b64 s[10:11], 0
                                        ; implicit-def: $vgpr5
	s_and_saveexec_b64 s[20:21], vcc
	s_xor_b64 s[20:21], exec, s[20:21]
	s_cbranch_execz .LBB14_1675
; %bb.1584:
	v_bfe_u32 v5, v2, 21, 1
	s_mov_b32 s13, 0x88fffff
	v_add3_u32 v5, v2, v5, s13
	s_mov_b64 s[10:11], exec
	v_lshrrev_b32_e32 v5, 21, v5
                                        ; implicit-def: $vgpr9
	s_or_saveexec_b64 s[20:21], s[20:21]
                                        ; implicit-def: $sgpr13
	s_xor_b64 exec, exec, s[20:21]
	s_cbranch_execnz .LBB14_1676
.LBB14_1585:
	s_or_b64 exec, exec, s[20:21]
	v_mov_b32_e32 v10, s13
	s_and_saveexec_b64 s[20:21], s[10:11]
.LBB14_1586:
	v_lshrrev_b32_e32 v9, 24, v2
	s_movk_i32 s10, 0x80
	v_and_or_b32 v10, v9, s10, v5
.LBB14_1587:
	s_or_b64 exec, exec, s[20:21]
.LBB14_1588:
	s_or_b64 exec, exec, s[4:5]
	s_mov_b64 s[4:5], 0
	global_store_byte v[0:1], v10, off
.LBB14_1589:
	s_and_b64 vcc, exec, s[4:5]
	s_cbranch_vccz .LBB14_1599
; %bb.1590:
	v_cndmask_b32_e64 v9, 0, |v3|, s[0:1]
	s_mov_b32 s4, 0x43f00000
	v_cmp_gt_u32_e32 vcc, s4, v9
                                        ; implicit-def: $vgpr5
	s_and_saveexec_b64 s[4:5], vcc
	s_xor_b64 s[4:5], exec, s[4:5]
	s_cbranch_execz .LBB14_1596
; %bb.1591:
	s_mov_b32 s10, 0x3c7fffff
	v_cmp_lt_u32_e32 vcc, s10, v9
                                        ; implicit-def: $vgpr5
	s_and_saveexec_b64 s[10:11], vcc
	s_xor_b64 s[10:11], exec, s[10:11]
; %bb.1592:
	v_bfe_u32 v5, v2, 20, 1
	s_mov_b32 s13, 0x407ffff
	v_add3_u32 v5, v2, v5, s13
	v_lshrrev_b32_e32 v9, 20, v5
	v_and_b32_e32 v5, 0xff00000, v5
	s_mov_b32 s13, 0x7f00000
	v_mov_b32_e32 v10, 0x7e
	v_cmp_ne_u32_e32 vcc, s13, v5
	v_cndmask_b32_e32 v5, v10, v9, vcc
                                        ; implicit-def: $vgpr9
; %bb.1593:
	s_andn2_saveexec_b64 s[10:11], s[10:11]
; %bb.1594:
	v_add_f32_e32 v5, 0x46800000, v9
; %bb.1595:
	s_or_b64 exec, exec, s[10:11]
                                        ; implicit-def: $vgpr9
.LBB14_1596:
	s_andn2_saveexec_b64 s[4:5], s[4:5]
; %bb.1597:
	s_mov_b32 s10, 0x7f800000
	v_mov_b32_e32 v5, 0x7e
	v_mov_b32_e32 v10, 0x7f
	v_cmp_lt_u32_e32 vcc, s10, v9
	v_cndmask_b32_e32 v5, v5, v10, vcc
; %bb.1598:
	s_or_b64 exec, exec, s[4:5]
	v_lshrrev_b32_e32 v9, 24, v2
	s_movk_i32 s4, 0x80
	v_and_or_b32 v5, v9, s4, v5
	global_store_byte v[0:1], v5, off
.LBB14_1599:
	s_mov_b64 s[4:5], 0
.LBB14_1600:
	s_andn2_b64 vcc, exec, s[4:5]
	s_cbranch_vccnz .LBB14_1610
; %bb.1601:
	v_cndmask_b32_e64 v5, 0, |v3|, s[0:1]
	s_mov_b32 s0, 0x47800000
	v_cmp_gt_u32_e32 vcc, s0, v5
                                        ; implicit-def: $vgpr3
	s_and_saveexec_b64 s[0:1], vcc
	s_xor_b64 s[0:1], exec, s[0:1]
	s_cbranch_execz .LBB14_1607
; %bb.1602:
	s_mov_b32 s4, 0x387fffff
	v_cmp_lt_u32_e32 vcc, s4, v5
                                        ; implicit-def: $vgpr3
	s_and_saveexec_b64 s[4:5], vcc
	s_xor_b64 s[4:5], exec, s[4:5]
; %bb.1603:
	v_bfe_u32 v3, v2, 21, 1
	s_mov_b32 s10, 0x80fffff
	v_add3_u32 v3, v2, v3, s10
	v_lshrrev_b32_e32 v3, 21, v3
                                        ; implicit-def: $vgpr5
; %bb.1604:
	s_andn2_saveexec_b64 s[4:5], s[4:5]
; %bb.1605:
	v_add_f32_e32 v3, 0x43000000, v5
; %bb.1606:
	s_or_b64 exec, exec, s[4:5]
                                        ; implicit-def: $vgpr5
.LBB14_1607:
	s_andn2_saveexec_b64 s[0:1], s[0:1]
; %bb.1608:
	s_mov_b32 s4, 0x7f800000
	v_mov_b32_e32 v3, 0x7c
	v_mov_b32_e32 v9, 0x7f
	v_cmp_lt_u32_e32 vcc, s4, v5
	v_cndmask_b32_e32 v3, v3, v9, vcc
; %bb.1609:
	s_or_b64 exec, exec, s[0:1]
	v_lshrrev_b32_e32 v5, 24, v2
	s_movk_i32 s0, 0x80
	v_and_or_b32 v3, v5, s0, v3
	global_store_byte v[0:1], v3, off
.LBB14_1610:
	s_mov_b64 s[4:5], 0
	s_mov_b64 s[10:11], -1
.LBB14_1611:
	s_andn2_b64 vcc, exec, s[4:5]
	s_mov_b64 s[4:5], 0
	s_cbranch_vccnz .LBB14_1618
; %bb.1612:
	v_mov_b32_e32 v3, 14
	v_cmp_gt_i16_sdwa s[4:5], s33, v3 src0_sel:BYTE_0 src1_sel:DWORD
	s_mov_b64 s[0:1], -1
	s_and_b64 vcc, exec, s[4:5]
	s_cbranch_vccz .LBB14_1616
; %bb.1613:
	v_mov_b32_e32 v3, 15
	v_cmp_eq_u16_sdwa s[0:1], s33, v3 src0_sel:BYTE_0 src1_sel:DWORD
	s_mov_b64 s[2:3], -1
	s_and_b64 vcc, exec, s[0:1]
	s_cbranch_vccz .LBB14_1615
; %bb.1614:
	v_bfe_u32 v3, v2, 16, 1
	s_movk_i32 s0, 0x7fff
	v_add3_u32 v3, v2, v3, s0
	v_lshrrev_b32_e32 v3, 16, v3
	v_mov_b32_e32 v5, 0x7fc0
	v_cmp_o_f32_e32 vcc, v2, v2
	v_cndmask_b32_e32 v3, v5, v3, vcc
	global_store_short v[0:1], v3, off
	s_mov_b64 s[2:3], 0
	s_mov_b64 s[10:11], -1
.LBB14_1615:
	s_mov_b64 s[0:1], 0
.LBB14_1616:
	s_mov_b64 s[4:5], 0
	s_and_b64 vcc, exec, s[0:1]
	s_cbranch_vccz .LBB14_1618
; %bb.1617:
	v_mov_b32_e32 v3, 11
	v_cmp_ne_u16_sdwa s[2:3], s33, v3 src0_sel:BYTE_0 src1_sel:DWORD
	s_mov_b64 s[4:5], -1
.LBB14_1618:
	s_and_b64 vcc, exec, s[2:3]
	s_cbranch_vccnz .LBB14_1674
; %bb.1619:
	s_andn2_b64 vcc, exec, s[4:5]
	s_cbranch_vccnz .LBB14_1621
.LBB14_1620:
	v_cmp_neq_f32_e32 vcc, 0, v2
	v_cndmask_b32_e64 v3, 0, 1, vcc
	s_mov_b64 s[10:11], -1
	global_store_byte v[0:1], v3, off
.LBB14_1621:
	s_mov_b64 s[0:1], 0
.LBB14_1622:
	s_and_b64 vcc, exec, s[0:1]
	s_cbranch_vccz .LBB14_1661
; %bb.1623:
	v_mov_b32_e32 v3, 5
	v_cmp_lt_i16_sdwa s[2:3], s33, v3 src0_sel:BYTE_0 src1_sel:DWORD
	s_mov_b64 s[0:1], -1
	s_and_b64 vcc, exec, s[2:3]
	s_cbranch_vccnz .LBB14_1644
; %bb.1624:
	v_mov_b32_e32 v3, 8
	v_cmp_lt_i16_sdwa s[2:3], s33, v3 src0_sel:BYTE_0 src1_sel:DWORD
	s_and_b64 vcc, exec, s[2:3]
	s_cbranch_vccnz .LBB14_1634
; %bb.1625:
	v_mov_b32_e32 v3, 9
	v_cmp_lt_i16_sdwa s[2:3], s33, v3 src0_sel:BYTE_0 src1_sel:DWORD
	s_and_b64 vcc, exec, s[2:3]
	s_cbranch_vccnz .LBB14_1631
; %bb.1626:
	v_cmp_gt_i16_sdwa s[2:3], s33, v3 src0_sel:BYTE_0 src1_sel:DWORD
	s_and_b64 vcc, exec, s[2:3]
	s_cbranch_vccz .LBB14_1628
; %bb.1627:
	v_mov_b32_e32 v12, 0
	v_cvt_f64_f32_e32 v[10:11], v2
	v_mov_b32_e32 v13, v12
	global_store_dwordx4 v[0:1], v[10:13], off
	s_mov_b64 s[0:1], 0
.LBB14_1628:
	s_andn2_b64 vcc, exec, s[0:1]
	s_cbranch_vccnz .LBB14_1630
; %bb.1629:
	v_mov_b32_e32 v3, 0
	global_store_dwordx2 v[0:1], v[2:3], off
.LBB14_1630:
	s_mov_b64 s[0:1], 0
.LBB14_1631:
	s_andn2_b64 vcc, exec, s[0:1]
	s_cbranch_vccnz .LBB14_1633
; %bb.1632:
	v_cvt_f16_f32_e32 v3, v2
	global_store_dword v[0:1], v3, off
.LBB14_1633:
	s_mov_b64 s[0:1], 0
.LBB14_1634:
	s_andn2_b64 vcc, exec, s[0:1]
	s_cbranch_vccnz .LBB14_1643
; %bb.1635:
	v_mov_b32_e32 v3, 6
	v_cmp_lt_i16_sdwa s[2:3], s33, v3 src0_sel:BYTE_0 src1_sel:DWORD
	s_mov_b64 s[0:1], -1
	s_and_b64 vcc, exec, s[2:3]
	s_cbranch_vccnz .LBB14_1641
; %bb.1636:
	v_cmp_gt_i16_sdwa s[2:3], s33, v3 src0_sel:BYTE_0 src1_sel:DWORD
	s_and_b64 vcc, exec, s[2:3]
	s_cbranch_vccz .LBB14_1638
; %bb.1637:
	v_cvt_f64_f32_e32 v[10:11], v2
	global_store_dwordx2 v[0:1], v[10:11], off
	s_mov_b64 s[0:1], 0
.LBB14_1638:
	s_andn2_b64 vcc, exec, s[0:1]
	s_cbranch_vccnz .LBB14_1640
; %bb.1639:
	global_store_dword v[0:1], v2, off
.LBB14_1640:
	s_mov_b64 s[0:1], 0
.LBB14_1641:
	s_andn2_b64 vcc, exec, s[0:1]
	s_cbranch_vccnz .LBB14_1643
; %bb.1642:
	v_cvt_f16_f32_e32 v3, v2
	global_store_short v[0:1], v3, off
.LBB14_1643:
	s_mov_b64 s[0:1], 0
.LBB14_1644:
	s_andn2_b64 vcc, exec, s[0:1]
	s_cbranch_vccnz .LBB14_1660
; %bb.1645:
	v_mov_b32_e32 v3, 2
	v_cmp_lt_i16_sdwa s[2:3], s33, v3 src0_sel:BYTE_0 src1_sel:DWORD
	s_mov_b64 s[0:1], -1
	s_and_b64 vcc, exec, s[2:3]
	s_cbranch_vccnz .LBB14_1655
; %bb.1646:
	v_mov_b32_e32 v3, 3
	v_cmp_lt_i16_sdwa s[2:3], s33, v3 src0_sel:BYTE_0 src1_sel:DWORD
	s_and_b64 vcc, exec, s[2:3]
	s_cbranch_vccnz .LBB14_1652
; %bb.1647:
	v_cmp_gt_i16_sdwa s[2:3], s33, v3 src0_sel:BYTE_0 src1_sel:DWORD
	s_and_b64 vcc, exec, s[2:3]
	s_cbranch_vccz .LBB14_1649
; %bb.1648:
	v_trunc_f32_e32 v3, v2
	s_mov_b32 s0, 0x2f800000
	v_mul_f32_e64 v5, |v3|, s0
	v_floor_f32_e32 v5, v5
	s_mov_b32 s0, 0xcf800000
	v_cvt_u32_f32_e32 v9, v5
	v_fma_f32 v5, v5, s0, |v3|
	v_cvt_u32_f32_e32 v5, v5
	v_ashrrev_i32_e32 v3, 31, v3
	v_xor_b32_e32 v9, v9, v3
	s_mov_b64 s[0:1], 0
	v_xor_b32_e32 v5, v5, v3
	v_sub_co_u32_e32 v10, vcc, v5, v3
	v_subb_co_u32_e32 v11, vcc, v9, v3, vcc
	global_store_dwordx2 v[0:1], v[10:11], off
.LBB14_1649:
	s_andn2_b64 vcc, exec, s[0:1]
	s_cbranch_vccnz .LBB14_1651
; %bb.1650:
	v_cvt_i32_f32_e32 v3, v2
	global_store_dword v[0:1], v3, off
.LBB14_1651:
	s_mov_b64 s[0:1], 0
.LBB14_1652:
	s_andn2_b64 vcc, exec, s[0:1]
	s_cbranch_vccnz .LBB14_1654
; %bb.1653:
	v_cvt_i32_f32_e32 v3, v2
	global_store_short v[0:1], v3, off
.LBB14_1654:
	s_mov_b64 s[0:1], 0
.LBB14_1655:
	s_andn2_b64 vcc, exec, s[0:1]
	s_cbranch_vccnz .LBB14_1660
; %bb.1656:
	v_mov_b32_e32 v3, 0
	v_cmp_gt_i16_sdwa s[2:3], s33, v3 src0_sel:BYTE_0 src1_sel:DWORD
	s_mov_b64 s[0:1], -1
	s_and_b64 vcc, exec, s[2:3]
	s_cbranch_vccz .LBB14_1658
; %bb.1657:
	v_cvt_i32_f32_e32 v3, v2
	s_mov_b64 s[0:1], 0
	global_store_byte v[0:1], v3, off
.LBB14_1658:
	s_andn2_b64 vcc, exec, s[0:1]
	s_cbranch_vccnz .LBB14_1660
; %bb.1659:
	v_trunc_f32_e32 v2, v2
	s_mov_b32 s0, 0x2f800000
	v_mul_f32_e64 v3, |v2|, s0
	v_floor_f32_e32 v3, v3
	s_mov_b32 s0, 0xcf800000
	v_fma_f32 v3, v3, s0, |v2|
	v_cvt_u32_f32_e32 v3, v3
	v_ashrrev_i32_e32 v2, 31, v2
	v_xor_b32_e32 v3, v3, v2
	v_sub_u32_e32 v2, v3, v2
	global_store_byte v[0:1], v2, off
.LBB14_1660:
	s_mov_b64 s[10:11], -1
.LBB14_1661:
	s_andn2_b64 vcc, exec, s[10:11]
	s_cbranch_vccnz .LBB14_1992
; %bb.1662:
	s_lshl_b32 s15, s12, 7
	v_cmp_nge_f32_e64 s[0:1], v6, -s14
	v_cmp_nge_f32_e32 vcc, s14, v6
	v_add_u32_e32 v4, s15, v4
	s_or_b64 s[0:1], s[0:1], vcc
	v_ashrrev_i32_e32 v1, 31, v4
	v_mov_b32_e32 v3, s9
	v_add_co_u32_e32 v0, vcc, s8, v4
	v_addc_co_u32_e32 v1, vcc, v3, v1, vcc
	v_mov_b32_e32 v3, 11
	v_cmp_lt_i16_sdwa s[2:3], s33, v3 src0_sel:BYTE_0 src1_sel:DWORD
	v_cndmask_b32_e64 v2, 0, v6, s[0:1]
	s_and_b64 vcc, exec, s[2:3]
	s_cbranch_vccnz .LBB14_1669
; %bb.1663:
	v_mov_b32_e32 v3, 25
	v_cmp_gt_i16_sdwa s[2:3], s33, v3 src0_sel:BYTE_0 src1_sel:DWORD
	s_mov_b64 s[12:13], -1
	s_mov_b64 s[4:5], 0
	s_and_b64 vcc, exec, s[2:3]
	s_mov_b64 s[10:11], 0
	s_mov_b64 s[2:3], 0
	s_cbranch_vccz .LBB14_1705
; %bb.1664:
	v_mov_b32_e32 v3, 28
	v_cmp_gt_i16_sdwa s[2:3], s33, v3 src0_sel:BYTE_0 src1_sel:DWORD
	s_and_b64 vcc, exec, s[2:3]
	s_cbranch_vccz .LBB14_1670
; %bb.1665:
	v_mov_b32_e32 v3, 43
	v_cmp_gt_i16_sdwa s[2:3], s33, v3 src0_sel:BYTE_0 src1_sel:DWORD
	s_and_b64 vcc, exec, s[2:3]
	;; [unrolled: 5-line block ×3, first 2 shown]
	s_cbranch_vccz .LBB14_1677
; %bb.1667:
	v_mov_b32_e32 v3, 46
	v_cmp_eq_u16_sdwa s[10:11], s33, v3 src0_sel:BYTE_0 src1_sel:DWORD
	s_mov_b64 s[2:3], -1
	s_mov_b64 s[12:13], 0
	s_and_b64 vcc, exec, s[10:11]
	s_mov_b64 s[10:11], 0
	s_cbranch_vccz .LBB14_1678
; %bb.1668:
	v_bfe_u32 v3, v2, 16, 1
	s_movk_i32 s2, 0x7fff
	v_add3_u32 v3, v2, v3, s2
	v_lshrrev_b32_e32 v3, 16, v3
	v_mov_b32_e32 v5, 0x7fc0
	v_cmp_o_f32_e32 vcc, v2, v2
	v_cndmask_b32_e32 v3, v5, v3, vcc
	global_store_dword v[0:1], v3, off
	s_mov_b64 s[2:3], 0
	s_mov_b64 s[10:11], -1
	s_branch .LBB14_1678
.LBB14_1669:
	s_mov_b64 s[0:1], -1
	s_mov_b64 s[10:11], 0
	s_branch .LBB14_1749
.LBB14_1670:
	s_mov_b64 s[2:3], 0
	s_branch .LBB14_1688
.LBB14_1671:
	s_or_saveexec_b64 s[22:23], s[22:23]
                                        ; implicit-def: $sgpr13
	s_xor_b64 exec, exec, s[22:23]
	s_cbranch_execz .LBB14_1572
.LBB14_1672:
	v_add_f32_e32 v5, 0x46000000, v9
	v_and_b32_e32 v5, 0xff, v5
	v_cmp_ne_u32_e32 vcc, 0, v5
	s_andn2_b64 s[20:21], s[20:21], exec
	s_and_b64 s[24:25], vcc, exec
	s_mov_b32 s13, 0
	s_or_b64 s[20:21], s[20:21], s[24:25]
	s_or_b64 exec, exec, s[22:23]
	v_mov_b32_e32 v10, s13
	s_and_saveexec_b64 s[22:23], s[20:21]
	s_cbranch_execnz .LBB14_1573
	s_branch .LBB14_1574
.LBB14_1673:
	s_mov_b64 s[2:3], 0
	s_branch .LBB14_1684
.LBB14_1674:
	s_trap 2
	s_or_b64 s[18:19], s[18:19], exec
	s_cbranch_execz .LBB14_1620
	s_branch .LBB14_1621
.LBB14_1675:
	s_or_saveexec_b64 s[20:21], s[20:21]
                                        ; implicit-def: $sgpr13
	s_xor_b64 exec, exec, s[20:21]
	s_cbranch_execz .LBB14_1585
.LBB14_1676:
	v_add_f32_e32 v5, 0x42800000, v9
	v_and_b32_e32 v5, 0xff, v5
	v_cmp_ne_u32_e32 vcc, 0, v5
	s_andn2_b64 s[10:11], s[10:11], exec
	s_and_b64 s[22:23], vcc, exec
	s_mov_b32 s13, 0
	s_or_b64 s[10:11], s[10:11], s[22:23]
	s_or_b64 exec, exec, s[20:21]
	v_mov_b32_e32 v10, s13
	s_and_saveexec_b64 s[20:21], s[10:11]
	s_cbranch_execnz .LBB14_1586
	s_branch .LBB14_1587
.LBB14_1677:
	s_mov_b64 s[2:3], 0
.LBB14_1678:
	s_and_b64 vcc, exec, s[12:13]
	s_cbranch_vccz .LBB14_1683
; %bb.1679:
	v_mov_b32_e32 v3, 44
	v_cmp_eq_u16_sdwa s[12:13], s33, v3 src0_sel:BYTE_0 src1_sel:DWORD
	s_mov_b64 s[2:3], -1
	s_and_b64 vcc, exec, s[12:13]
	s_cbranch_vccz .LBB14_1683
; %bb.1680:
	v_bfe_u32 v3, v2, 23, 8
	s_movk_i32 s2, 0xff
	v_cmp_ne_u32_e32 vcc, s2, v3
	v_mov_b32_e32 v5, 0xff
	s_and_saveexec_b64 s[10:11], vcc
; %bb.1681:
	s_mov_b32 s2, 0x3fffff
	v_and_b32_e32 v9, 0x400000, v2
	v_and_or_b32 v3, v2, s2, v3
	v_cmp_ne_u32_e32 vcc, 0, v9
	v_cmp_ne_u32_e64 s[2:3], 0, v3
	s_and_b64 s[2:3], vcc, s[2:3]
	v_lshrrev_b32_e32 v5, 23, v2
	v_cndmask_b32_e64 v3, 0, 1, s[2:3]
	v_add_u32_e32 v5, v5, v3
; %bb.1682:
	s_or_b64 exec, exec, s[10:11]
	s_mov_b64 s[2:3], 0
	s_mov_b64 s[10:11], -1
	global_store_byte v[0:1], v5, off
.LBB14_1683:
	s_mov_b64 s[12:13], 0
.LBB14_1684:
	s_and_b64 vcc, exec, s[12:13]
	s_cbranch_vccz .LBB14_1687
; %bb.1685:
	v_mov_b32_e32 v3, 29
	v_cmp_eq_u16_sdwa s[12:13], s33, v3 src0_sel:BYTE_0 src1_sel:DWORD
	s_mov_b64 s[2:3], -1
	s_and_b64 vcc, exec, s[12:13]
	s_cbranch_vccz .LBB14_1687
; %bb.1686:
	v_trunc_f32_e32 v3, v2
	v_mul_f32_e32 v5, 0x2f800000, v3
	v_floor_f32_e32 v5, v5
	v_fmac_f32_e32 v3, 0xcf800000, v5
	v_cvt_u32_f32_e32 v11, v5
	v_cvt_u32_f32_e32 v10, v3
	s_mov_b64 s[2:3], 0
	s_mov_b64 s[10:11], -1
	s_mov_b64 s[12:13], 0
	global_store_dwordx2 v[0:1], v[10:11], off
	s_branch .LBB14_1688
.LBB14_1687:
	s_mov_b64 s[12:13], 0
.LBB14_1688:
	s_and_b64 vcc, exec, s[12:13]
	s_cbranch_vccz .LBB14_1704
; %bb.1689:
	v_mov_b32_e32 v3, 27
	v_cmp_lt_i16_sdwa s[12:13], s33, v3 src0_sel:BYTE_0 src1_sel:DWORD
	s_mov_b64 s[10:11], -1
	s_and_b64 vcc, exec, s[12:13]
	s_cbranch_vccnz .LBB14_1695
; %bb.1690:
	v_cmp_gt_i16_sdwa s[12:13], s33, v3 src0_sel:BYTE_0 src1_sel:DWORD
	v_cvt_u32_f32_e32 v3, v2
	s_and_b64 vcc, exec, s[12:13]
	s_cbranch_vccz .LBB14_1692
; %bb.1691:
	s_mov_b64 s[10:11], 0
	global_store_dword v[0:1], v3, off
.LBB14_1692:
	s_andn2_b64 vcc, exec, s[10:11]
	s_cbranch_vccnz .LBB14_1694
; %bb.1693:
	global_store_short v[0:1], v3, off
.LBB14_1694:
	s_mov_b64 s[10:11], 0
.LBB14_1695:
	s_andn2_b64 vcc, exec, s[10:11]
	s_cbranch_vccnz .LBB14_1703
; %bb.1696:
	v_cndmask_b32_e64 v5, 0, |v6|, s[0:1]
	s_mov_b32 s10, 0x43800000
	v_cmp_gt_u32_e32 vcc, s10, v5
	v_mov_b32_e32 v9, 0x80
	s_and_saveexec_b64 s[10:11], vcc
	s_cbranch_execz .LBB14_1702
; %bb.1697:
	s_mov_b32 s12, 0x3bffffff
	v_cmp_lt_u32_e32 vcc, s12, v5
	s_mov_b64 s[12:13], 0
                                        ; implicit-def: $vgpr3
	s_and_saveexec_b64 s[20:21], vcc
	s_xor_b64 s[20:21], exec, s[20:21]
	s_cbranch_execz .LBB14_1798
; %bb.1698:
	v_bfe_u32 v3, v2, 20, 1
	s_mov_b32 s22, 0x487ffff
	v_add3_u32 v3, v2, v3, s22
	s_mov_b64 s[12:13], exec
	v_lshrrev_b32_e32 v3, 20, v3
                                        ; implicit-def: $vgpr5
	s_or_saveexec_b64 s[20:21], s[20:21]
                                        ; implicit-def: $sgpr22
	s_xor_b64 exec, exec, s[20:21]
	s_cbranch_execnz .LBB14_1799
.LBB14_1699:
	s_or_b64 exec, exec, s[20:21]
	v_mov_b32_e32 v9, s22
	s_and_saveexec_b64 s[20:21], s[12:13]
.LBB14_1700:
	v_lshrrev_b32_e32 v5, 24, v2
	s_movk_i32 s12, 0x80
	v_and_or_b32 v9, v5, s12, v3
.LBB14_1701:
	s_or_b64 exec, exec, s[20:21]
.LBB14_1702:
	s_or_b64 exec, exec, s[10:11]
	global_store_byte v[0:1], v9, off
.LBB14_1703:
	s_mov_b64 s[10:11], -1
.LBB14_1704:
	s_mov_b64 s[12:13], 0
.LBB14_1705:
	s_and_b64 vcc, exec, s[12:13]
	s_cbranch_vccz .LBB14_1745
; %bb.1706:
	v_mov_b32_e32 v3, 22
	v_cmp_gt_i16_sdwa s[12:13], s33, v3 src0_sel:BYTE_0 src1_sel:DWORD
	s_mov_b64 s[4:5], -1
	s_and_b64 vcc, exec, s[12:13]
	s_cbranch_vccz .LBB14_1738
; %bb.1707:
	v_mov_b32_e32 v3, 24
	v_cmp_lt_i16_sdwa s[10:11], s33, v3 src0_sel:BYTE_0 src1_sel:DWORD
	s_and_b64 vcc, exec, s[10:11]
	s_cbranch_vccnz .LBB14_1727
; %bb.1708:
	v_cmp_gt_i16_sdwa s[10:11], s33, v3 src0_sel:BYTE_0 src1_sel:DWORD
	s_and_b64 vcc, exec, s[10:11]
	s_cbranch_vccz .LBB14_1716
; %bb.1709:
	v_cndmask_b32_e64 v5, 0, |v6|, s[0:1]
	s_mov_b32 s4, 0x47800000
	v_cmp_gt_u32_e32 vcc, s4, v5
	v_mov_b32_e32 v9, 0x80
	s_and_saveexec_b64 s[4:5], vcc
	s_cbranch_execz .LBB14_1715
; %bb.1710:
	s_mov_b32 s10, 0x37ffffff
	v_cmp_lt_u32_e32 vcc, s10, v5
	s_mov_b64 s[10:11], 0
                                        ; implicit-def: $vgpr3
	s_and_saveexec_b64 s[12:13], vcc
	s_xor_b64 s[12:13], exec, s[12:13]
	s_cbranch_execz .LBB14_1802
; %bb.1711:
	v_bfe_u32 v3, v2, 21, 1
	s_mov_b32 s20, 0x88fffff
	v_add3_u32 v3, v2, v3, s20
	s_mov_b64 s[10:11], exec
	v_lshrrev_b32_e32 v3, 21, v3
                                        ; implicit-def: $vgpr5
	s_or_saveexec_b64 s[12:13], s[12:13]
                                        ; implicit-def: $sgpr20
	s_xor_b64 exec, exec, s[12:13]
	s_cbranch_execnz .LBB14_1803
.LBB14_1712:
	s_or_b64 exec, exec, s[12:13]
	v_mov_b32_e32 v9, s20
	s_and_saveexec_b64 s[12:13], s[10:11]
.LBB14_1713:
	v_lshrrev_b32_e32 v5, 24, v2
	s_movk_i32 s10, 0x80
	v_and_or_b32 v9, v5, s10, v3
.LBB14_1714:
	s_or_b64 exec, exec, s[12:13]
.LBB14_1715:
	s_or_b64 exec, exec, s[4:5]
	s_mov_b64 s[4:5], 0
	global_store_byte v[0:1], v9, off
.LBB14_1716:
	s_and_b64 vcc, exec, s[4:5]
	s_cbranch_vccz .LBB14_1726
; %bb.1717:
	v_cndmask_b32_e64 v5, 0, |v6|, s[0:1]
	s_mov_b32 s4, 0x43f00000
	v_cmp_gt_u32_e32 vcc, s4, v5
                                        ; implicit-def: $vgpr3
	s_and_saveexec_b64 s[4:5], vcc
	s_xor_b64 s[4:5], exec, s[4:5]
	s_cbranch_execz .LBB14_1723
; %bb.1718:
	s_mov_b32 s10, 0x3c7fffff
	v_cmp_lt_u32_e32 vcc, s10, v5
                                        ; implicit-def: $vgpr3
	s_and_saveexec_b64 s[10:11], vcc
	s_xor_b64 s[10:11], exec, s[10:11]
; %bb.1719:
	v_bfe_u32 v3, v2, 20, 1
	s_mov_b32 s12, 0x407ffff
	v_add3_u32 v3, v2, v3, s12
	v_lshrrev_b32_e32 v5, 20, v3
	v_and_b32_e32 v3, 0xff00000, v3
	s_mov_b32 s12, 0x7f00000
	v_mov_b32_e32 v9, 0x7e
	v_cmp_ne_u32_e32 vcc, s12, v3
	v_cndmask_b32_e32 v3, v9, v5, vcc
                                        ; implicit-def: $vgpr5
; %bb.1720:
	s_andn2_saveexec_b64 s[10:11], s[10:11]
; %bb.1721:
	v_add_f32_e32 v3, 0x46800000, v5
; %bb.1722:
	s_or_b64 exec, exec, s[10:11]
                                        ; implicit-def: $vgpr5
.LBB14_1723:
	s_andn2_saveexec_b64 s[4:5], s[4:5]
; %bb.1724:
	s_mov_b32 s10, 0x7f800000
	v_mov_b32_e32 v3, 0x7e
	v_mov_b32_e32 v9, 0x7f
	v_cmp_lt_u32_e32 vcc, s10, v5
	v_cndmask_b32_e32 v3, v3, v9, vcc
; %bb.1725:
	s_or_b64 exec, exec, s[4:5]
	v_lshrrev_b32_e32 v5, 24, v2
	s_movk_i32 s4, 0x80
	v_and_or_b32 v3, v5, s4, v3
	global_store_byte v[0:1], v3, off
.LBB14_1726:
	s_mov_b64 s[4:5], 0
.LBB14_1727:
	s_andn2_b64 vcc, exec, s[4:5]
	s_cbranch_vccnz .LBB14_1737
; %bb.1728:
	v_cndmask_b32_e64 v5, 0, |v6|, s[0:1]
	s_mov_b32 s0, 0x47800000
	v_cmp_gt_u32_e32 vcc, s0, v5
                                        ; implicit-def: $vgpr3
	s_and_saveexec_b64 s[0:1], vcc
	s_xor_b64 s[0:1], exec, s[0:1]
	s_cbranch_execz .LBB14_1734
; %bb.1729:
	s_mov_b32 s4, 0x387fffff
	v_cmp_lt_u32_e32 vcc, s4, v5
                                        ; implicit-def: $vgpr3
	s_and_saveexec_b64 s[4:5], vcc
	s_xor_b64 s[4:5], exec, s[4:5]
; %bb.1730:
	v_bfe_u32 v3, v2, 21, 1
	s_mov_b32 s10, 0x80fffff
	v_add3_u32 v3, v2, v3, s10
	v_lshrrev_b32_e32 v3, 21, v3
                                        ; implicit-def: $vgpr5
; %bb.1731:
	s_andn2_saveexec_b64 s[4:5], s[4:5]
; %bb.1732:
	v_add_f32_e32 v3, 0x43000000, v5
; %bb.1733:
	s_or_b64 exec, exec, s[4:5]
                                        ; implicit-def: $vgpr5
.LBB14_1734:
	s_andn2_saveexec_b64 s[0:1], s[0:1]
; %bb.1735:
	s_mov_b32 s4, 0x7f800000
	v_mov_b32_e32 v3, 0x7c
	v_mov_b32_e32 v6, 0x7f
	v_cmp_lt_u32_e32 vcc, s4, v5
	v_cndmask_b32_e32 v3, v3, v6, vcc
; %bb.1736:
	s_or_b64 exec, exec, s[0:1]
	v_lshrrev_b32_e32 v5, 24, v2
	s_movk_i32 s0, 0x80
	v_and_or_b32 v3, v5, s0, v3
	global_store_byte v[0:1], v3, off
.LBB14_1737:
	s_mov_b64 s[4:5], 0
	s_mov_b64 s[10:11], -1
.LBB14_1738:
	s_andn2_b64 vcc, exec, s[4:5]
	s_mov_b64 s[4:5], 0
	s_cbranch_vccnz .LBB14_1745
; %bb.1739:
	v_mov_b32_e32 v3, 14
	v_cmp_gt_i16_sdwa s[4:5], s33, v3 src0_sel:BYTE_0 src1_sel:DWORD
	s_mov_b64 s[0:1], -1
	s_and_b64 vcc, exec, s[4:5]
	s_cbranch_vccz .LBB14_1743
; %bb.1740:
	v_mov_b32_e32 v3, 15
	v_cmp_eq_u16_sdwa s[0:1], s33, v3 src0_sel:BYTE_0 src1_sel:DWORD
	s_mov_b64 s[2:3], -1
	s_and_b64 vcc, exec, s[0:1]
	s_cbranch_vccz .LBB14_1742
; %bb.1741:
	v_bfe_u32 v3, v2, 16, 1
	s_movk_i32 s0, 0x7fff
	v_add3_u32 v3, v2, v3, s0
	v_lshrrev_b32_e32 v3, 16, v3
	v_mov_b32_e32 v5, 0x7fc0
	v_cmp_o_f32_e32 vcc, v2, v2
	v_cndmask_b32_e32 v3, v5, v3, vcc
	global_store_short v[0:1], v3, off
	s_mov_b64 s[2:3], 0
	s_mov_b64 s[10:11], -1
.LBB14_1742:
	s_mov_b64 s[0:1], 0
.LBB14_1743:
	s_mov_b64 s[4:5], 0
	s_and_b64 vcc, exec, s[0:1]
	s_cbranch_vccz .LBB14_1745
; %bb.1744:
	v_mov_b32_e32 v3, 11
	v_cmp_ne_u16_sdwa s[2:3], s33, v3 src0_sel:BYTE_0 src1_sel:DWORD
	s_mov_b64 s[4:5], -1
.LBB14_1745:
	s_and_b64 vcc, exec, s[2:3]
	s_cbranch_vccnz .LBB14_1801
; %bb.1746:
	s_andn2_b64 vcc, exec, s[4:5]
	s_cbranch_vccnz .LBB14_1748
.LBB14_1747:
	v_cmp_neq_f32_e32 vcc, 0, v2
	v_cndmask_b32_e64 v3, 0, 1, vcc
	s_mov_b64 s[10:11], -1
	global_store_byte v[0:1], v3, off
.LBB14_1748:
	s_mov_b64 s[0:1], 0
.LBB14_1749:
	s_and_b64 vcc, exec, s[0:1]
	s_cbranch_vccz .LBB14_1788
; %bb.1750:
	v_mov_b32_e32 v3, 5
	v_cmp_lt_i16_sdwa s[2:3], s33, v3 src0_sel:BYTE_0 src1_sel:DWORD
	s_mov_b64 s[0:1], -1
	s_and_b64 vcc, exec, s[2:3]
	s_cbranch_vccnz .LBB14_1771
; %bb.1751:
	v_mov_b32_e32 v3, 8
	v_cmp_lt_i16_sdwa s[2:3], s33, v3 src0_sel:BYTE_0 src1_sel:DWORD
	s_and_b64 vcc, exec, s[2:3]
	s_cbranch_vccnz .LBB14_1761
; %bb.1752:
	v_mov_b32_e32 v3, 9
	v_cmp_lt_i16_sdwa s[2:3], s33, v3 src0_sel:BYTE_0 src1_sel:DWORD
	s_and_b64 vcc, exec, s[2:3]
	s_cbranch_vccnz .LBB14_1758
; %bb.1753:
	v_cmp_gt_i16_sdwa s[2:3], s33, v3 src0_sel:BYTE_0 src1_sel:DWORD
	s_and_b64 vcc, exec, s[2:3]
	s_cbranch_vccz .LBB14_1755
; %bb.1754:
	v_mov_b32_e32 v12, 0
	v_cvt_f64_f32_e32 v[10:11], v2
	v_mov_b32_e32 v13, v12
	global_store_dwordx4 v[0:1], v[10:13], off
	s_mov_b64 s[0:1], 0
.LBB14_1755:
	s_andn2_b64 vcc, exec, s[0:1]
	s_cbranch_vccnz .LBB14_1757
; %bb.1756:
	v_mov_b32_e32 v3, 0
	global_store_dwordx2 v[0:1], v[2:3], off
.LBB14_1757:
	s_mov_b64 s[0:1], 0
.LBB14_1758:
	s_andn2_b64 vcc, exec, s[0:1]
	s_cbranch_vccnz .LBB14_1760
; %bb.1759:
	v_cvt_f16_f32_e32 v3, v2
	global_store_dword v[0:1], v3, off
.LBB14_1760:
	s_mov_b64 s[0:1], 0
.LBB14_1761:
	s_andn2_b64 vcc, exec, s[0:1]
	s_cbranch_vccnz .LBB14_1770
; %bb.1762:
	v_mov_b32_e32 v3, 6
	v_cmp_lt_i16_sdwa s[2:3], s33, v3 src0_sel:BYTE_0 src1_sel:DWORD
	s_mov_b64 s[0:1], -1
	s_and_b64 vcc, exec, s[2:3]
	s_cbranch_vccnz .LBB14_1768
; %bb.1763:
	v_cmp_gt_i16_sdwa s[2:3], s33, v3 src0_sel:BYTE_0 src1_sel:DWORD
	s_and_b64 vcc, exec, s[2:3]
	s_cbranch_vccz .LBB14_1765
; %bb.1764:
	v_cvt_f64_f32_e32 v[10:11], v2
	global_store_dwordx2 v[0:1], v[10:11], off
	s_mov_b64 s[0:1], 0
.LBB14_1765:
	s_andn2_b64 vcc, exec, s[0:1]
	s_cbranch_vccnz .LBB14_1767
; %bb.1766:
	global_store_dword v[0:1], v2, off
.LBB14_1767:
	s_mov_b64 s[0:1], 0
.LBB14_1768:
	s_andn2_b64 vcc, exec, s[0:1]
	s_cbranch_vccnz .LBB14_1770
; %bb.1769:
	v_cvt_f16_f32_e32 v3, v2
	global_store_short v[0:1], v3, off
.LBB14_1770:
	s_mov_b64 s[0:1], 0
.LBB14_1771:
	s_andn2_b64 vcc, exec, s[0:1]
	s_cbranch_vccnz .LBB14_1787
; %bb.1772:
	v_mov_b32_e32 v3, 2
	v_cmp_lt_i16_sdwa s[2:3], s33, v3 src0_sel:BYTE_0 src1_sel:DWORD
	s_mov_b64 s[0:1], -1
	s_and_b64 vcc, exec, s[2:3]
	s_cbranch_vccnz .LBB14_1782
; %bb.1773:
	v_mov_b32_e32 v3, 3
	v_cmp_lt_i16_sdwa s[2:3], s33, v3 src0_sel:BYTE_0 src1_sel:DWORD
	s_and_b64 vcc, exec, s[2:3]
	s_cbranch_vccnz .LBB14_1779
; %bb.1774:
	v_cmp_gt_i16_sdwa s[2:3], s33, v3 src0_sel:BYTE_0 src1_sel:DWORD
	s_and_b64 vcc, exec, s[2:3]
	s_cbranch_vccz .LBB14_1776
; %bb.1775:
	v_trunc_f32_e32 v3, v2
	s_mov_b32 s0, 0x2f800000
	v_mul_f32_e64 v5, |v3|, s0
	v_floor_f32_e32 v5, v5
	s_mov_b32 s0, 0xcf800000
	v_cvt_u32_f32_e32 v6, v5
	v_fma_f32 v5, v5, s0, |v3|
	v_cvt_u32_f32_e32 v5, v5
	v_ashrrev_i32_e32 v3, 31, v3
	v_xor_b32_e32 v6, v6, v3
	s_mov_b64 s[0:1], 0
	v_xor_b32_e32 v5, v5, v3
	v_sub_co_u32_e32 v10, vcc, v5, v3
	v_subb_co_u32_e32 v11, vcc, v6, v3, vcc
	global_store_dwordx2 v[0:1], v[10:11], off
.LBB14_1776:
	s_andn2_b64 vcc, exec, s[0:1]
	s_cbranch_vccnz .LBB14_1778
; %bb.1777:
	v_cvt_i32_f32_e32 v3, v2
	global_store_dword v[0:1], v3, off
.LBB14_1778:
	s_mov_b64 s[0:1], 0
.LBB14_1779:
	s_andn2_b64 vcc, exec, s[0:1]
	s_cbranch_vccnz .LBB14_1781
; %bb.1780:
	v_cvt_i32_f32_e32 v3, v2
	global_store_short v[0:1], v3, off
.LBB14_1781:
	s_mov_b64 s[0:1], 0
.LBB14_1782:
	s_andn2_b64 vcc, exec, s[0:1]
	s_cbranch_vccnz .LBB14_1787
; %bb.1783:
	v_mov_b32_e32 v3, 0
	v_cmp_gt_i16_sdwa s[2:3], s33, v3 src0_sel:BYTE_0 src1_sel:DWORD
	s_mov_b64 s[0:1], -1
	s_and_b64 vcc, exec, s[2:3]
	s_cbranch_vccz .LBB14_1785
; %bb.1784:
	v_cvt_i32_f32_e32 v3, v2
	s_mov_b64 s[0:1], 0
	global_store_byte v[0:1], v3, off
.LBB14_1785:
	s_andn2_b64 vcc, exec, s[0:1]
	s_cbranch_vccnz .LBB14_1787
; %bb.1786:
	v_trunc_f32_e32 v2, v2
	s_mov_b32 s0, 0x2f800000
	v_mul_f32_e64 v3, |v2|, s0
	v_floor_f32_e32 v3, v3
	s_mov_b32 s0, 0xcf800000
	v_fma_f32 v3, v3, s0, |v2|
	v_cvt_u32_f32_e32 v3, v3
	v_ashrrev_i32_e32 v2, 31, v2
	v_xor_b32_e32 v3, v3, v2
	v_sub_u32_e32 v2, v3, v2
	global_store_byte v[0:1], v2, off
.LBB14_1787:
	s_mov_b64 s[10:11], -1
.LBB14_1788:
	s_andn2_b64 vcc, exec, s[10:11]
	s_cbranch_vccnz .LBB14_1992
; %bb.1789:
	v_cmp_nge_f32_e64 s[0:1], v7, -s14
	v_cmp_nge_f32_e32 vcc, s14, v7
	v_add_u32_e32 v4, s15, v4
	s_or_b64 s[0:1], s[0:1], vcc
	v_ashrrev_i32_e32 v1, 31, v4
	v_mov_b32_e32 v3, s9
	v_add_co_u32_e32 v0, vcc, s8, v4
	v_addc_co_u32_e32 v1, vcc, v3, v1, vcc
	v_mov_b32_e32 v3, 11
	v_cmp_lt_i16_sdwa s[2:3], s33, v3 src0_sel:BYTE_0 src1_sel:DWORD
	v_cndmask_b32_e64 v2, 0, v7, s[0:1]
	s_and_b64 vcc, exec, s[2:3]
	s_cbranch_vccnz .LBB14_1796
; %bb.1790:
	v_mov_b32_e32 v3, 25
	v_cmp_gt_i16_sdwa s[2:3], s33, v3 src0_sel:BYTE_0 src1_sel:DWORD
	s_mov_b64 s[12:13], -1
	s_mov_b64 s[4:5], 0
	s_and_b64 vcc, exec, s[2:3]
	s_mov_b64 s[10:11], 0
	s_mov_b64 s[2:3], 0
	s_cbranch_vccz .LBB14_1832
; %bb.1791:
	v_mov_b32_e32 v3, 28
	v_cmp_gt_i16_sdwa s[2:3], s33, v3 src0_sel:BYTE_0 src1_sel:DWORD
	s_and_b64 vcc, exec, s[2:3]
	s_cbranch_vccz .LBB14_1797
; %bb.1792:
	v_mov_b32_e32 v3, 43
	v_cmp_gt_i16_sdwa s[2:3], s33, v3 src0_sel:BYTE_0 src1_sel:DWORD
	s_and_b64 vcc, exec, s[2:3]
	;; [unrolled: 5-line block ×3, first 2 shown]
	s_cbranch_vccz .LBB14_1804
; %bb.1794:
	v_mov_b32_e32 v3, 46
	v_cmp_eq_u16_sdwa s[10:11], s33, v3 src0_sel:BYTE_0 src1_sel:DWORD
	s_mov_b64 s[2:3], -1
	s_mov_b64 s[12:13], 0
	s_and_b64 vcc, exec, s[10:11]
	s_mov_b64 s[10:11], 0
	s_cbranch_vccz .LBB14_1805
; %bb.1795:
	v_bfe_u32 v3, v2, 16, 1
	s_movk_i32 s2, 0x7fff
	v_add3_u32 v3, v2, v3, s2
	v_lshrrev_b32_e32 v3, 16, v3
	v_mov_b32_e32 v5, 0x7fc0
	v_cmp_o_f32_e32 vcc, v2, v2
	v_cndmask_b32_e32 v3, v5, v3, vcc
	global_store_dword v[0:1], v3, off
	s_mov_b64 s[2:3], 0
	s_mov_b64 s[10:11], -1
	s_branch .LBB14_1805
.LBB14_1796:
	s_mov_b64 s[0:1], -1
	s_mov_b64 s[10:11], 0
	s_branch .LBB14_1876
.LBB14_1797:
	s_mov_b64 s[2:3], 0
	s_branch .LBB14_1815
.LBB14_1798:
	s_or_saveexec_b64 s[20:21], s[20:21]
                                        ; implicit-def: $sgpr22
	s_xor_b64 exec, exec, s[20:21]
	s_cbranch_execz .LBB14_1699
.LBB14_1799:
	v_add_f32_e32 v3, 0x46000000, v5
	v_and_b32_e32 v3, 0xff, v3
	v_cmp_ne_u32_e32 vcc, 0, v3
	s_andn2_b64 s[12:13], s[12:13], exec
	s_and_b64 s[24:25], vcc, exec
	s_mov_b32 s22, 0
	s_or_b64 s[12:13], s[12:13], s[24:25]
	s_or_b64 exec, exec, s[20:21]
	v_mov_b32_e32 v9, s22
	s_and_saveexec_b64 s[20:21], s[12:13]
	s_cbranch_execnz .LBB14_1700
	s_branch .LBB14_1701
.LBB14_1800:
	s_mov_b64 s[2:3], 0
	s_branch .LBB14_1811
.LBB14_1801:
	s_trap 2
	s_or_b64 s[18:19], s[18:19], exec
	s_cbranch_execz .LBB14_1747
	s_branch .LBB14_1748
.LBB14_1802:
	s_or_saveexec_b64 s[12:13], s[12:13]
                                        ; implicit-def: $sgpr20
	s_xor_b64 exec, exec, s[12:13]
	s_cbranch_execz .LBB14_1712
.LBB14_1803:
	v_add_f32_e32 v3, 0x42800000, v5
	v_and_b32_e32 v3, 0xff, v3
	v_cmp_ne_u32_e32 vcc, 0, v3
	s_andn2_b64 s[10:11], s[10:11], exec
	s_and_b64 s[22:23], vcc, exec
	s_mov_b32 s20, 0
	s_or_b64 s[10:11], s[10:11], s[22:23]
	s_or_b64 exec, exec, s[12:13]
	v_mov_b32_e32 v9, s20
	s_and_saveexec_b64 s[12:13], s[10:11]
	s_cbranch_execnz .LBB14_1713
	s_branch .LBB14_1714
.LBB14_1804:
	s_mov_b64 s[2:3], 0
.LBB14_1805:
	s_and_b64 vcc, exec, s[12:13]
	s_cbranch_vccz .LBB14_1810
; %bb.1806:
	v_mov_b32_e32 v3, 44
	v_cmp_eq_u16_sdwa s[12:13], s33, v3 src0_sel:BYTE_0 src1_sel:DWORD
	s_mov_b64 s[2:3], -1
	s_and_b64 vcc, exec, s[12:13]
	s_cbranch_vccz .LBB14_1810
; %bb.1807:
	v_bfe_u32 v3, v2, 23, 8
	s_movk_i32 s2, 0xff
	v_cmp_ne_u32_e32 vcc, s2, v3
	v_mov_b32_e32 v5, 0xff
	s_and_saveexec_b64 s[10:11], vcc
; %bb.1808:
	s_mov_b32 s2, 0x3fffff
	v_and_b32_e32 v6, 0x400000, v2
	v_and_or_b32 v3, v2, s2, v3
	v_cmp_ne_u32_e32 vcc, 0, v6
	v_cmp_ne_u32_e64 s[2:3], 0, v3
	s_and_b64 s[2:3], vcc, s[2:3]
	v_lshrrev_b32_e32 v5, 23, v2
	v_cndmask_b32_e64 v3, 0, 1, s[2:3]
	v_add_u32_e32 v5, v5, v3
; %bb.1809:
	s_or_b64 exec, exec, s[10:11]
	s_mov_b64 s[2:3], 0
	s_mov_b64 s[10:11], -1
	global_store_byte v[0:1], v5, off
.LBB14_1810:
	s_mov_b64 s[12:13], 0
.LBB14_1811:
	s_and_b64 vcc, exec, s[12:13]
	s_cbranch_vccz .LBB14_1814
; %bb.1812:
	v_mov_b32_e32 v3, 29
	v_cmp_eq_u16_sdwa s[12:13], s33, v3 src0_sel:BYTE_0 src1_sel:DWORD
	s_mov_b64 s[2:3], -1
	s_and_b64 vcc, exec, s[12:13]
	s_cbranch_vccz .LBB14_1814
; %bb.1813:
	v_trunc_f32_e32 v3, v2
	v_mul_f32_e32 v5, 0x2f800000, v3
	v_floor_f32_e32 v5, v5
	v_fmac_f32_e32 v3, 0xcf800000, v5
	v_cvt_u32_f32_e32 v11, v5
	v_cvt_u32_f32_e32 v10, v3
	s_mov_b64 s[2:3], 0
	s_mov_b64 s[10:11], -1
	s_mov_b64 s[12:13], 0
	global_store_dwordx2 v[0:1], v[10:11], off
	s_branch .LBB14_1815
.LBB14_1814:
	s_mov_b64 s[12:13], 0
.LBB14_1815:
	s_and_b64 vcc, exec, s[12:13]
	s_cbranch_vccz .LBB14_1831
; %bb.1816:
	v_mov_b32_e32 v3, 27
	v_cmp_lt_i16_sdwa s[12:13], s33, v3 src0_sel:BYTE_0 src1_sel:DWORD
	s_mov_b64 s[10:11], -1
	s_and_b64 vcc, exec, s[12:13]
	s_cbranch_vccnz .LBB14_1822
; %bb.1817:
	v_cmp_gt_i16_sdwa s[12:13], s33, v3 src0_sel:BYTE_0 src1_sel:DWORD
	v_cvt_u32_f32_e32 v3, v2
	s_and_b64 vcc, exec, s[12:13]
	s_cbranch_vccz .LBB14_1819
; %bb.1818:
	s_mov_b64 s[10:11], 0
	global_store_dword v[0:1], v3, off
.LBB14_1819:
	s_andn2_b64 vcc, exec, s[10:11]
	s_cbranch_vccnz .LBB14_1821
; %bb.1820:
	global_store_short v[0:1], v3, off
.LBB14_1821:
	s_mov_b64 s[10:11], 0
.LBB14_1822:
	s_andn2_b64 vcc, exec, s[10:11]
	s_cbranch_vccnz .LBB14_1830
; %bb.1823:
	v_cndmask_b32_e64 v5, 0, |v7|, s[0:1]
	s_mov_b32 s10, 0x43800000
	v_cmp_gt_u32_e32 vcc, s10, v5
	v_mov_b32_e32 v6, 0x80
	s_and_saveexec_b64 s[10:11], vcc
	s_cbranch_execz .LBB14_1829
; %bb.1824:
	s_mov_b32 s12, 0x3bffffff
	v_cmp_lt_u32_e32 vcc, s12, v5
	s_mov_b64 s[12:13], 0
                                        ; implicit-def: $vgpr3
	s_and_saveexec_b64 s[20:21], vcc
	s_xor_b64 s[20:21], exec, s[20:21]
	s_cbranch_execz .LBB14_2038
; %bb.1825:
	v_bfe_u32 v3, v2, 20, 1
	s_mov_b32 s22, 0x487ffff
	v_add3_u32 v3, v2, v3, s22
	s_mov_b64 s[12:13], exec
	v_lshrrev_b32_e32 v3, 20, v3
                                        ; implicit-def: $vgpr5
	s_or_saveexec_b64 s[20:21], s[20:21]
                                        ; implicit-def: $sgpr22
	s_xor_b64 exec, exec, s[20:21]
	s_cbranch_execnz .LBB14_2039
.LBB14_1826:
	s_or_b64 exec, exec, s[20:21]
	v_mov_b32_e32 v6, s22
	s_and_saveexec_b64 s[20:21], s[12:13]
.LBB14_1827:
	v_lshrrev_b32_e32 v5, 24, v2
	s_movk_i32 s12, 0x80
	v_and_or_b32 v6, v5, s12, v3
.LBB14_1828:
	s_or_b64 exec, exec, s[20:21]
.LBB14_1829:
	s_or_b64 exec, exec, s[10:11]
	global_store_byte v[0:1], v6, off
.LBB14_1830:
	s_mov_b64 s[10:11], -1
.LBB14_1831:
	s_mov_b64 s[12:13], 0
.LBB14_1832:
	s_and_b64 vcc, exec, s[12:13]
	s_cbranch_vccz .LBB14_1872
; %bb.1833:
	v_mov_b32_e32 v3, 22
	v_cmp_gt_i16_sdwa s[12:13], s33, v3 src0_sel:BYTE_0 src1_sel:DWORD
	s_mov_b64 s[4:5], -1
	s_and_b64 vcc, exec, s[12:13]
	s_cbranch_vccz .LBB14_1865
; %bb.1834:
	v_mov_b32_e32 v3, 24
	v_cmp_lt_i16_sdwa s[10:11], s33, v3 src0_sel:BYTE_0 src1_sel:DWORD
	s_and_b64 vcc, exec, s[10:11]
	s_cbranch_vccnz .LBB14_1854
; %bb.1835:
	v_cmp_gt_i16_sdwa s[10:11], s33, v3 src0_sel:BYTE_0 src1_sel:DWORD
	s_and_b64 vcc, exec, s[10:11]
	s_cbranch_vccz .LBB14_1843
; %bb.1836:
	v_cndmask_b32_e64 v5, 0, |v7|, s[0:1]
	s_mov_b32 s4, 0x47800000
	v_cmp_gt_u32_e32 vcc, s4, v5
	v_mov_b32_e32 v6, 0x80
	s_and_saveexec_b64 s[4:5], vcc
	s_cbranch_execz .LBB14_1842
; %bb.1837:
	s_mov_b32 s10, 0x37ffffff
	v_cmp_lt_u32_e32 vcc, s10, v5
	s_mov_b64 s[10:11], 0
                                        ; implicit-def: $vgpr3
	s_and_saveexec_b64 s[12:13], vcc
	s_xor_b64 s[12:13], exec, s[12:13]
	s_cbranch_execz .LBB14_2041
; %bb.1838:
	v_bfe_u32 v3, v2, 21, 1
	s_mov_b32 s20, 0x88fffff
	v_add3_u32 v3, v2, v3, s20
	s_mov_b64 s[10:11], exec
	v_lshrrev_b32_e32 v3, 21, v3
                                        ; implicit-def: $vgpr5
	s_or_saveexec_b64 s[12:13], s[12:13]
                                        ; implicit-def: $sgpr20
	s_xor_b64 exec, exec, s[12:13]
	s_cbranch_execnz .LBB14_2042
.LBB14_1839:
	s_or_b64 exec, exec, s[12:13]
	v_mov_b32_e32 v6, s20
	s_and_saveexec_b64 s[12:13], s[10:11]
.LBB14_1840:
	v_lshrrev_b32_e32 v5, 24, v2
	s_movk_i32 s10, 0x80
	v_and_or_b32 v6, v5, s10, v3
.LBB14_1841:
	s_or_b64 exec, exec, s[12:13]
.LBB14_1842:
	s_or_b64 exec, exec, s[4:5]
	s_mov_b64 s[4:5], 0
	global_store_byte v[0:1], v6, off
.LBB14_1843:
	s_and_b64 vcc, exec, s[4:5]
	s_cbranch_vccz .LBB14_1853
; %bb.1844:
	v_cndmask_b32_e64 v5, 0, |v7|, s[0:1]
	s_mov_b32 s4, 0x43f00000
	v_cmp_gt_u32_e32 vcc, s4, v5
                                        ; implicit-def: $vgpr3
	s_and_saveexec_b64 s[4:5], vcc
	s_xor_b64 s[4:5], exec, s[4:5]
	s_cbranch_execz .LBB14_1850
; %bb.1845:
	s_mov_b32 s10, 0x3c7fffff
	v_cmp_lt_u32_e32 vcc, s10, v5
                                        ; implicit-def: $vgpr3
	s_and_saveexec_b64 s[10:11], vcc
	s_xor_b64 s[10:11], exec, s[10:11]
; %bb.1846:
	v_bfe_u32 v3, v2, 20, 1
	s_mov_b32 s12, 0x407ffff
	v_add3_u32 v3, v2, v3, s12
	v_lshrrev_b32_e32 v5, 20, v3
	v_and_b32_e32 v3, 0xff00000, v3
	s_mov_b32 s12, 0x7f00000
	v_mov_b32_e32 v6, 0x7e
	v_cmp_ne_u32_e32 vcc, s12, v3
	v_cndmask_b32_e32 v3, v6, v5, vcc
                                        ; implicit-def: $vgpr5
; %bb.1847:
	s_andn2_saveexec_b64 s[10:11], s[10:11]
; %bb.1848:
	v_add_f32_e32 v3, 0x46800000, v5
; %bb.1849:
	s_or_b64 exec, exec, s[10:11]
                                        ; implicit-def: $vgpr5
.LBB14_1850:
	s_andn2_saveexec_b64 s[4:5], s[4:5]
; %bb.1851:
	s_mov_b32 s10, 0x7f800000
	v_mov_b32_e32 v3, 0x7e
	v_mov_b32_e32 v6, 0x7f
	v_cmp_lt_u32_e32 vcc, s10, v5
	v_cndmask_b32_e32 v3, v3, v6, vcc
; %bb.1852:
	s_or_b64 exec, exec, s[4:5]
	v_lshrrev_b32_e32 v5, 24, v2
	s_movk_i32 s4, 0x80
	v_and_or_b32 v3, v5, s4, v3
	global_store_byte v[0:1], v3, off
.LBB14_1853:
	s_mov_b64 s[4:5], 0
.LBB14_1854:
	s_andn2_b64 vcc, exec, s[4:5]
	s_cbranch_vccnz .LBB14_1864
; %bb.1855:
	v_cndmask_b32_e64 v5, 0, |v7|, s[0:1]
	s_mov_b32 s0, 0x47800000
	v_cmp_gt_u32_e32 vcc, s0, v5
                                        ; implicit-def: $vgpr3
	s_and_saveexec_b64 s[0:1], vcc
	s_xor_b64 s[0:1], exec, s[0:1]
	s_cbranch_execz .LBB14_1861
; %bb.1856:
	s_mov_b32 s4, 0x387fffff
	v_cmp_lt_u32_e32 vcc, s4, v5
                                        ; implicit-def: $vgpr3
	s_and_saveexec_b64 s[4:5], vcc
	s_xor_b64 s[4:5], exec, s[4:5]
; %bb.1857:
	v_bfe_u32 v3, v2, 21, 1
	s_mov_b32 s10, 0x80fffff
	v_add3_u32 v3, v2, v3, s10
	v_lshrrev_b32_e32 v3, 21, v3
                                        ; implicit-def: $vgpr5
; %bb.1858:
	s_andn2_saveexec_b64 s[4:5], s[4:5]
; %bb.1859:
	v_add_f32_e32 v3, 0x43000000, v5
; %bb.1860:
	s_or_b64 exec, exec, s[4:5]
                                        ; implicit-def: $vgpr5
.LBB14_1861:
	s_andn2_saveexec_b64 s[0:1], s[0:1]
; %bb.1862:
	s_mov_b32 s4, 0x7f800000
	v_mov_b32_e32 v3, 0x7c
	v_mov_b32_e32 v6, 0x7f
	v_cmp_lt_u32_e32 vcc, s4, v5
	v_cndmask_b32_e32 v3, v3, v6, vcc
; %bb.1863:
	s_or_b64 exec, exec, s[0:1]
	v_lshrrev_b32_e32 v5, 24, v2
	s_movk_i32 s0, 0x80
	v_and_or_b32 v3, v5, s0, v3
	global_store_byte v[0:1], v3, off
.LBB14_1864:
	s_mov_b64 s[4:5], 0
	s_mov_b64 s[10:11], -1
.LBB14_1865:
	s_andn2_b64 vcc, exec, s[4:5]
	s_mov_b64 s[4:5], 0
	s_cbranch_vccnz .LBB14_1872
; %bb.1866:
	v_mov_b32_e32 v3, 14
	v_cmp_gt_i16_sdwa s[4:5], s33, v3 src0_sel:BYTE_0 src1_sel:DWORD
	s_mov_b64 s[0:1], -1
	s_and_b64 vcc, exec, s[4:5]
	s_cbranch_vccz .LBB14_1870
; %bb.1867:
	v_mov_b32_e32 v3, 15
	v_cmp_eq_u16_sdwa s[0:1], s33, v3 src0_sel:BYTE_0 src1_sel:DWORD
	s_mov_b64 s[2:3], -1
	s_and_b64 vcc, exec, s[0:1]
	s_cbranch_vccz .LBB14_1869
; %bb.1868:
	v_bfe_u32 v3, v2, 16, 1
	s_movk_i32 s0, 0x7fff
	v_add3_u32 v3, v2, v3, s0
	v_lshrrev_b32_e32 v3, 16, v3
	v_mov_b32_e32 v5, 0x7fc0
	v_cmp_o_f32_e32 vcc, v2, v2
	v_cndmask_b32_e32 v3, v5, v3, vcc
	global_store_short v[0:1], v3, off
	s_mov_b64 s[2:3], 0
	s_mov_b64 s[10:11], -1
.LBB14_1869:
	s_mov_b64 s[0:1], 0
.LBB14_1870:
	s_mov_b64 s[4:5], 0
	s_and_b64 vcc, exec, s[0:1]
	s_cbranch_vccz .LBB14_1872
; %bb.1871:
	v_mov_b32_e32 v3, 11
	v_cmp_ne_u16_sdwa s[2:3], s33, v3 src0_sel:BYTE_0 src1_sel:DWORD
	s_mov_b64 s[4:5], -1
.LBB14_1872:
	s_and_b64 vcc, exec, s[2:3]
	s_cbranch_vccnz .LBB14_2040
; %bb.1873:
	s_andn2_b64 vcc, exec, s[4:5]
	s_cbranch_vccnz .LBB14_1875
.LBB14_1874:
	v_cmp_neq_f32_e32 vcc, 0, v2
	v_cndmask_b32_e64 v3, 0, 1, vcc
	s_mov_b64 s[10:11], -1
	global_store_byte v[0:1], v3, off
.LBB14_1875:
	s_mov_b64 s[0:1], 0
.LBB14_1876:
	s_and_b64 vcc, exec, s[0:1]
	s_cbranch_vccz .LBB14_1915
; %bb.1877:
	v_mov_b32_e32 v3, 5
	v_cmp_lt_i16_sdwa s[2:3], s33, v3 src0_sel:BYTE_0 src1_sel:DWORD
	s_mov_b64 s[0:1], -1
	s_and_b64 vcc, exec, s[2:3]
	s_cbranch_vccnz .LBB14_1898
; %bb.1878:
	v_mov_b32_e32 v3, 8
	v_cmp_lt_i16_sdwa s[2:3], s33, v3 src0_sel:BYTE_0 src1_sel:DWORD
	s_and_b64 vcc, exec, s[2:3]
	s_cbranch_vccnz .LBB14_1888
; %bb.1879:
	v_mov_b32_e32 v3, 9
	v_cmp_lt_i16_sdwa s[2:3], s33, v3 src0_sel:BYTE_0 src1_sel:DWORD
	s_and_b64 vcc, exec, s[2:3]
	s_cbranch_vccnz .LBB14_1885
; %bb.1880:
	v_cmp_gt_i16_sdwa s[2:3], s33, v3 src0_sel:BYTE_0 src1_sel:DWORD
	s_and_b64 vcc, exec, s[2:3]
	s_cbranch_vccz .LBB14_1882
; %bb.1881:
	v_mov_b32_e32 v12, 0
	v_cvt_f64_f32_e32 v[10:11], v2
	v_mov_b32_e32 v13, v12
	global_store_dwordx4 v[0:1], v[10:13], off
	s_mov_b64 s[0:1], 0
.LBB14_1882:
	s_andn2_b64 vcc, exec, s[0:1]
	s_cbranch_vccnz .LBB14_1884
; %bb.1883:
	v_mov_b32_e32 v3, 0
	global_store_dwordx2 v[0:1], v[2:3], off
.LBB14_1884:
	s_mov_b64 s[0:1], 0
.LBB14_1885:
	s_andn2_b64 vcc, exec, s[0:1]
	s_cbranch_vccnz .LBB14_1887
; %bb.1886:
	v_cvt_f16_f32_e32 v3, v2
	global_store_dword v[0:1], v3, off
.LBB14_1887:
	s_mov_b64 s[0:1], 0
.LBB14_1888:
	s_andn2_b64 vcc, exec, s[0:1]
	s_cbranch_vccnz .LBB14_1897
; %bb.1889:
	v_mov_b32_e32 v3, 6
	v_cmp_lt_i16_sdwa s[2:3], s33, v3 src0_sel:BYTE_0 src1_sel:DWORD
	s_mov_b64 s[0:1], -1
	s_and_b64 vcc, exec, s[2:3]
	s_cbranch_vccnz .LBB14_1895
; %bb.1890:
	v_cmp_gt_i16_sdwa s[2:3], s33, v3 src0_sel:BYTE_0 src1_sel:DWORD
	s_and_b64 vcc, exec, s[2:3]
	s_cbranch_vccz .LBB14_1892
; %bb.1891:
	v_cvt_f64_f32_e32 v[6:7], v2
	global_store_dwordx2 v[0:1], v[6:7], off
	s_mov_b64 s[0:1], 0
.LBB14_1892:
	s_andn2_b64 vcc, exec, s[0:1]
	s_cbranch_vccnz .LBB14_1894
; %bb.1893:
	global_store_dword v[0:1], v2, off
.LBB14_1894:
	s_mov_b64 s[0:1], 0
.LBB14_1895:
	s_andn2_b64 vcc, exec, s[0:1]
	s_cbranch_vccnz .LBB14_1897
; %bb.1896:
	v_cvt_f16_f32_e32 v3, v2
	global_store_short v[0:1], v3, off
.LBB14_1897:
	s_mov_b64 s[0:1], 0
.LBB14_1898:
	s_andn2_b64 vcc, exec, s[0:1]
	s_cbranch_vccnz .LBB14_1914
; %bb.1899:
	v_mov_b32_e32 v3, 2
	v_cmp_lt_i16_sdwa s[2:3], s33, v3 src0_sel:BYTE_0 src1_sel:DWORD
	s_mov_b64 s[0:1], -1
	s_and_b64 vcc, exec, s[2:3]
	s_cbranch_vccnz .LBB14_1909
; %bb.1900:
	v_mov_b32_e32 v3, 3
	v_cmp_lt_i16_sdwa s[2:3], s33, v3 src0_sel:BYTE_0 src1_sel:DWORD
	s_and_b64 vcc, exec, s[2:3]
	s_cbranch_vccnz .LBB14_1906
; %bb.1901:
	v_cmp_gt_i16_sdwa s[2:3], s33, v3 src0_sel:BYTE_0 src1_sel:DWORD
	s_and_b64 vcc, exec, s[2:3]
	s_cbranch_vccz .LBB14_1903
; %bb.1902:
	v_trunc_f32_e32 v3, v2
	s_mov_b32 s0, 0x2f800000
	v_mul_f32_e64 v5, |v3|, s0
	v_floor_f32_e32 v5, v5
	s_mov_b32 s0, 0xcf800000
	v_cvt_u32_f32_e32 v6, v5
	v_fma_f32 v5, v5, s0, |v3|
	v_cvt_u32_f32_e32 v5, v5
	v_ashrrev_i32_e32 v3, 31, v3
	v_xor_b32_e32 v7, v6, v3
	s_mov_b64 s[0:1], 0
	v_xor_b32_e32 v5, v5, v3
	v_sub_co_u32_e32 v6, vcc, v5, v3
	v_subb_co_u32_e32 v7, vcc, v7, v3, vcc
	global_store_dwordx2 v[0:1], v[6:7], off
.LBB14_1903:
	s_andn2_b64 vcc, exec, s[0:1]
	s_cbranch_vccnz .LBB14_1905
; %bb.1904:
	v_cvt_i32_f32_e32 v3, v2
	global_store_dword v[0:1], v3, off
.LBB14_1905:
	s_mov_b64 s[0:1], 0
.LBB14_1906:
	s_andn2_b64 vcc, exec, s[0:1]
	s_cbranch_vccnz .LBB14_1908
; %bb.1907:
	v_cvt_i32_f32_e32 v3, v2
	global_store_short v[0:1], v3, off
.LBB14_1908:
	s_mov_b64 s[0:1], 0
.LBB14_1909:
	s_andn2_b64 vcc, exec, s[0:1]
	s_cbranch_vccnz .LBB14_1914
; %bb.1910:
	v_mov_b32_e32 v3, 0
	v_cmp_gt_i16_sdwa s[2:3], s33, v3 src0_sel:BYTE_0 src1_sel:DWORD
	s_mov_b64 s[0:1], -1
	s_and_b64 vcc, exec, s[2:3]
	s_cbranch_vccz .LBB14_1912
; %bb.1911:
	v_cvt_i32_f32_e32 v3, v2
	s_mov_b64 s[0:1], 0
	global_store_byte v[0:1], v3, off
.LBB14_1912:
	s_andn2_b64 vcc, exec, s[0:1]
	s_cbranch_vccnz .LBB14_1914
; %bb.1913:
	v_trunc_f32_e32 v2, v2
	s_mov_b32 s0, 0x2f800000
	v_mul_f32_e64 v3, |v2|, s0
	v_floor_f32_e32 v3, v3
	s_mov_b32 s0, 0xcf800000
	v_fma_f32 v3, v3, s0, |v2|
	v_cvt_u32_f32_e32 v3, v3
	v_ashrrev_i32_e32 v2, 31, v2
	v_xor_b32_e32 v3, v3, v2
	v_sub_u32_e32 v2, v3, v2
	global_store_byte v[0:1], v2, off
.LBB14_1914:
	s_mov_b64 s[10:11], -1
.LBB14_1915:
	s_andn2_b64 vcc, exec, s[10:11]
	s_cbranch_vccnz .LBB14_1992
; %bb.1916:
	v_cmp_nge_f32_e64 s[0:1], v8, -s14
	v_cmp_nge_f32_e32 vcc, s14, v8
	v_add_u32_e32 v0, s15, v4
	s_or_b64 s[0:1], s[0:1], vcc
	v_ashrrev_i32_e32 v1, 31, v0
	v_mov_b32_e32 v3, s9
	v_add_co_u32_e32 v0, vcc, s8, v0
	v_addc_co_u32_e32 v1, vcc, v3, v1, vcc
	v_mov_b32_e32 v3, 0xff
	v_and_b32_e32 v6, s33, v3
	v_cmp_gt_i16_e32 vcc, 11, v6
	v_cndmask_b32_e64 v2, 0, v8, s[0:1]
	s_cbranch_vccnz .LBB14_2037
; %bb.1917:
	v_cmp_lt_i16_e32 vcc, 25, v6
	s_mov_b64 s[8:9], -1
	s_mov_b64 s[4:5], 0
	s_mov_b64 s[2:3], 0
	s_cbranch_vccz .LBB14_1950
; %bb.1918:
	v_cmp_lt_i16_e32 vcc, 28, v6
	s_cbranch_vccz .LBB14_1934
; %bb.1919:
	v_cmp_lt_i16_e32 vcc, 43, v6
	s_cbranch_vccz .LBB14_1930
; %bb.1920:
	v_cmp_lt_i16_e32 vcc, 45, v6
	s_cbranch_vccz .LBB14_1924
; %bb.1921:
	v_cmp_eq_u16_e32 vcc, 46, v6
	s_mov_b64 s[2:3], -1
	s_cbranch_vccz .LBB14_1923
; %bb.1922:
	v_bfe_u32 v3, v2, 16, 1
	s_movk_i32 s2, 0x7fff
	v_add3_u32 v3, v2, v3, s2
	v_lshrrev_b32_e32 v3, 16, v3
	v_mov_b32_e32 v4, 0x7fc0
	v_cmp_o_f32_e32 vcc, v2, v2
	v_cndmask_b32_e32 v3, v4, v3, vcc
	global_store_dword v[0:1], v3, off
	s_mov_b64 s[2:3], 0
.LBB14_1923:
	s_mov_b64 s[8:9], 0
.LBB14_1924:
	s_and_b64 vcc, exec, s[8:9]
	s_cbranch_vccz .LBB14_1929
; %bb.1925:
	v_cmp_eq_u16_e32 vcc, 44, v6
	s_mov_b64 s[2:3], -1
	s_cbranch_vccz .LBB14_1929
; %bb.1926:
	v_bfe_u32 v3, v2, 23, 8
	s_movk_i32 s2, 0xff
	v_cmp_ne_u32_e32 vcc, s2, v3
	v_mov_b32_e32 v4, 0xff
	s_and_saveexec_b64 s[8:9], vcc
; %bb.1927:
	s_mov_b32 s2, 0x3fffff
	v_and_b32_e32 v5, 0x400000, v2
	v_and_or_b32 v3, v2, s2, v3
	v_cmp_ne_u32_e32 vcc, 0, v5
	v_cmp_ne_u32_e64 s[2:3], 0, v3
	s_and_b64 s[2:3], vcc, s[2:3]
	v_lshrrev_b32_e32 v4, 23, v2
	v_cndmask_b32_e64 v3, 0, 1, s[2:3]
	v_add_u32_e32 v4, v4, v3
; %bb.1928:
	s_or_b64 exec, exec, s[8:9]
	s_mov_b64 s[2:3], 0
	global_store_byte v[0:1], v4, off
.LBB14_1929:
	s_mov_b64 s[8:9], 0
.LBB14_1930:
	s_and_b64 vcc, exec, s[8:9]
	s_cbranch_vccz .LBB14_1933
; %bb.1931:
	v_cmp_eq_u16_e32 vcc, 29, v6
	s_mov_b64 s[2:3], -1
	s_cbranch_vccz .LBB14_1933
; %bb.1932:
	v_trunc_f32_e32 v3, v2
	v_mul_f32_e32 v4, 0x2f800000, v3
	v_floor_f32_e32 v4, v4
	v_fmac_f32_e32 v3, 0xcf800000, v4
	v_cvt_u32_f32_e32 v5, v4
	v_cvt_u32_f32_e32 v4, v3
	s_mov_b64 s[2:3], 0
	global_store_dwordx2 v[0:1], v[4:5], off
.LBB14_1933:
	s_mov_b64 s[8:9], 0
.LBB14_1934:
	s_and_b64 vcc, exec, s[8:9]
	s_cbranch_vccz .LBB14_1949
; %bb.1935:
	v_cmp_gt_i16_e32 vcc, 27, v6
	s_mov_b64 s[8:9], -1
	s_cbranch_vccnz .LBB14_1941
; %bb.1936:
	v_cvt_u32_f32_e32 v3, v2
	v_cmp_lt_i16_e32 vcc, 27, v6
	s_cbranch_vccz .LBB14_1938
; %bb.1937:
	global_store_dword v[0:1], v3, off
	s_mov_b64 s[8:9], 0
.LBB14_1938:
	s_andn2_b64 vcc, exec, s[8:9]
	s_cbranch_vccnz .LBB14_1940
; %bb.1939:
	global_store_short v[0:1], v3, off
.LBB14_1940:
	s_mov_b64 s[8:9], 0
.LBB14_1941:
	s_andn2_b64 vcc, exec, s[8:9]
	s_cbranch_vccnz .LBB14_1949
; %bb.1942:
	v_cndmask_b32_e64 v4, 0, |v8|, s[0:1]
	s_mov_b32 s8, 0x43800000
	v_cmp_gt_u32_e32 vcc, s8, v4
	v_mov_b32_e32 v5, 0x80
	s_and_saveexec_b64 s[8:9], vcc
	s_cbranch_execz .LBB14_1948
; %bb.1943:
	s_mov_b32 s10, 0x3bffffff
	v_cmp_lt_u32_e32 vcc, s10, v4
	s_mov_b64 s[10:11], 0
                                        ; implicit-def: $vgpr3
	s_and_saveexec_b64 s[12:13], vcc
	s_xor_b64 s[12:13], exec, s[12:13]
	s_cbranch_execz .LBB14_2043
; %bb.1944:
	v_bfe_u32 v3, v2, 20, 1
	s_mov_b32 s14, 0x487ffff
	v_add3_u32 v3, v2, v3, s14
	s_mov_b64 s[10:11], exec
	v_lshrrev_b32_e32 v3, 20, v3
                                        ; implicit-def: $vgpr4
	s_or_saveexec_b64 s[12:13], s[12:13]
                                        ; implicit-def: $sgpr14
	s_xor_b64 exec, exec, s[12:13]
	s_cbranch_execnz .LBB14_2044
.LBB14_1945:
	s_or_b64 exec, exec, s[12:13]
	v_mov_b32_e32 v5, s14
	s_and_saveexec_b64 s[12:13], s[10:11]
.LBB14_1946:
	v_lshrrev_b32_e32 v4, 24, v2
	s_movk_i32 s10, 0x80
	v_and_or_b32 v5, v4, s10, v3
.LBB14_1947:
	s_or_b64 exec, exec, s[12:13]
.LBB14_1948:
	s_or_b64 exec, exec, s[8:9]
	global_store_byte v[0:1], v5, off
.LBB14_1949:
	s_mov_b64 s[8:9], 0
.LBB14_1950:
	s_and_b64 vcc, exec, s[8:9]
	s_cbranch_vccz .LBB14_1990
; %bb.1951:
	v_cmp_lt_i16_e32 vcc, 22, v6
	s_mov_b64 s[4:5], -1
	s_cbranch_vccz .LBB14_1983
; %bb.1952:
	v_cmp_gt_i16_e32 vcc, 24, v6
	s_cbranch_vccnz .LBB14_1972
; %bb.1953:
	v_cmp_lt_i16_e32 vcc, 24, v6
	s_cbranch_vccz .LBB14_1961
; %bb.1954:
	v_cndmask_b32_e64 v4, 0, |v8|, s[0:1]
	s_mov_b32 s4, 0x47800000
	v_cmp_gt_u32_e32 vcc, s4, v4
	v_mov_b32_e32 v5, 0x80
	s_and_saveexec_b64 s[4:5], vcc
	s_cbranch_execz .LBB14_1960
; %bb.1955:
	s_mov_b32 s8, 0x37ffffff
	v_cmp_lt_u32_e32 vcc, s8, v4
	s_mov_b64 s[8:9], 0
                                        ; implicit-def: $vgpr3
	s_and_saveexec_b64 s[10:11], vcc
	s_xor_b64 s[10:11], exec, s[10:11]
	s_cbranch_execz .LBB14_2046
; %bb.1956:
	v_bfe_u32 v3, v2, 21, 1
	s_mov_b32 s12, 0x88fffff
	v_add3_u32 v3, v2, v3, s12
	s_mov_b64 s[8:9], exec
	v_lshrrev_b32_e32 v3, 21, v3
                                        ; implicit-def: $vgpr4
	s_or_saveexec_b64 s[10:11], s[10:11]
                                        ; implicit-def: $sgpr12
	s_xor_b64 exec, exec, s[10:11]
	s_cbranch_execnz .LBB14_2047
.LBB14_1957:
	s_or_b64 exec, exec, s[10:11]
	v_mov_b32_e32 v5, s12
	s_and_saveexec_b64 s[10:11], s[8:9]
.LBB14_1958:
	v_lshrrev_b32_e32 v4, 24, v2
	s_movk_i32 s8, 0x80
	v_and_or_b32 v5, v4, s8, v3
.LBB14_1959:
	s_or_b64 exec, exec, s[10:11]
.LBB14_1960:
	s_or_b64 exec, exec, s[4:5]
	s_mov_b64 s[4:5], 0
	global_store_byte v[0:1], v5, off
.LBB14_1961:
	s_and_b64 vcc, exec, s[4:5]
	s_cbranch_vccz .LBB14_1971
; %bb.1962:
	v_cndmask_b32_e64 v4, 0, |v8|, s[0:1]
	s_mov_b32 s4, 0x43f00000
	v_cmp_gt_u32_e32 vcc, s4, v4
                                        ; implicit-def: $vgpr3
	s_and_saveexec_b64 s[4:5], vcc
	s_xor_b64 s[4:5], exec, s[4:5]
	s_cbranch_execz .LBB14_1968
; %bb.1963:
	s_mov_b32 s8, 0x3c7fffff
	v_cmp_lt_u32_e32 vcc, s8, v4
                                        ; implicit-def: $vgpr3
	s_and_saveexec_b64 s[8:9], vcc
	s_xor_b64 s[8:9], exec, s[8:9]
; %bb.1964:
	v_bfe_u32 v3, v2, 20, 1
	s_mov_b32 s10, 0x407ffff
	v_add3_u32 v3, v2, v3, s10
	v_lshrrev_b32_e32 v4, 20, v3
	v_and_b32_e32 v3, 0xff00000, v3
	s_mov_b32 s10, 0x7f00000
	v_mov_b32_e32 v5, 0x7e
	v_cmp_ne_u32_e32 vcc, s10, v3
	v_cndmask_b32_e32 v3, v5, v4, vcc
                                        ; implicit-def: $vgpr4
; %bb.1965:
	s_andn2_saveexec_b64 s[8:9], s[8:9]
; %bb.1966:
	v_add_f32_e32 v3, 0x46800000, v4
; %bb.1967:
	s_or_b64 exec, exec, s[8:9]
                                        ; implicit-def: $vgpr4
.LBB14_1968:
	s_andn2_saveexec_b64 s[4:5], s[4:5]
; %bb.1969:
	s_mov_b32 s8, 0x7f800000
	v_mov_b32_e32 v3, 0x7e
	v_mov_b32_e32 v5, 0x7f
	v_cmp_lt_u32_e32 vcc, s8, v4
	v_cndmask_b32_e32 v3, v3, v5, vcc
; %bb.1970:
	s_or_b64 exec, exec, s[4:5]
	v_lshrrev_b32_e32 v4, 24, v2
	s_movk_i32 s4, 0x80
	v_and_or_b32 v3, v4, s4, v3
	global_store_byte v[0:1], v3, off
.LBB14_1971:
	s_mov_b64 s[4:5], 0
.LBB14_1972:
	s_andn2_b64 vcc, exec, s[4:5]
	s_cbranch_vccnz .LBB14_1982
; %bb.1973:
	v_cndmask_b32_e64 v4, 0, |v8|, s[0:1]
	s_mov_b32 s0, 0x47800000
	v_cmp_gt_u32_e32 vcc, s0, v4
                                        ; implicit-def: $vgpr3
	s_and_saveexec_b64 s[0:1], vcc
	s_xor_b64 s[0:1], exec, s[0:1]
	s_cbranch_execz .LBB14_1979
; %bb.1974:
	s_mov_b32 s4, 0x387fffff
	v_cmp_lt_u32_e32 vcc, s4, v4
                                        ; implicit-def: $vgpr3
	s_and_saveexec_b64 s[4:5], vcc
	s_xor_b64 s[4:5], exec, s[4:5]
; %bb.1975:
	v_bfe_u32 v3, v2, 21, 1
	s_mov_b32 s8, 0x80fffff
	v_add3_u32 v3, v2, v3, s8
	v_lshrrev_b32_e32 v3, 21, v3
                                        ; implicit-def: $vgpr4
; %bb.1976:
	s_andn2_saveexec_b64 s[4:5], s[4:5]
; %bb.1977:
	v_add_f32_e32 v3, 0x43000000, v4
; %bb.1978:
	s_or_b64 exec, exec, s[4:5]
                                        ; implicit-def: $vgpr4
.LBB14_1979:
	s_andn2_saveexec_b64 s[0:1], s[0:1]
; %bb.1980:
	s_mov_b32 s4, 0x7f800000
	v_mov_b32_e32 v3, 0x7c
	v_mov_b32_e32 v5, 0x7f
	v_cmp_lt_u32_e32 vcc, s4, v4
	v_cndmask_b32_e32 v3, v3, v5, vcc
; %bb.1981:
	s_or_b64 exec, exec, s[0:1]
	v_lshrrev_b32_e32 v4, 24, v2
	s_movk_i32 s0, 0x80
	v_and_or_b32 v3, v4, s0, v3
	global_store_byte v[0:1], v3, off
.LBB14_1982:
	s_mov_b64 s[4:5], 0
.LBB14_1983:
	s_andn2_b64 vcc, exec, s[4:5]
	s_mov_b64 s[4:5], 0
	s_cbranch_vccnz .LBB14_1990
; %bb.1984:
	v_cmp_lt_i16_e32 vcc, 14, v6
	s_mov_b64 s[0:1], -1
	s_cbranch_vccz .LBB14_1988
; %bb.1985:
	v_cmp_eq_u16_e32 vcc, 15, v6
	s_mov_b64 s[2:3], -1
	s_cbranch_vccz .LBB14_1987
; %bb.1986:
	v_bfe_u32 v3, v2, 16, 1
	s_movk_i32 s0, 0x7fff
	v_add3_u32 v3, v2, v3, s0
	v_lshrrev_b32_e32 v3, 16, v3
	v_mov_b32_e32 v4, 0x7fc0
	v_cmp_o_f32_e32 vcc, v2, v2
	v_cndmask_b32_e32 v3, v4, v3, vcc
	global_store_short v[0:1], v3, off
	s_mov_b64 s[2:3], 0
.LBB14_1987:
	s_mov_b64 s[0:1], 0
.LBB14_1988:
	s_and_b64 vcc, exec, s[0:1]
	s_cbranch_vccz .LBB14_1990
; %bb.1989:
	v_cmp_ne_u16_e64 s[2:3], 11, v6
	s_mov_b64 s[4:5], -1
.LBB14_1990:
	s_and_b64 vcc, exec, s[2:3]
	s_cbranch_vccnz .LBB14_2045
.LBB14_1991:
	s_mov_b64 s[0:1], 0
	s_branch .LBB14_1993
.LBB14_1992:
	s_mov_b64 s[0:1], 0
	s_mov_b64 s[4:5], 0
                                        ; implicit-def: $vgpr6
                                        ; implicit-def: $vgpr0_vgpr1
                                        ; implicit-def: $vgpr2
.LBB14_1993:
	s_andn2_b64 s[2:3], s[16:17], exec
	s_and_b64 s[8:9], s[18:19], exec
	s_and_b64 s[0:1], s[0:1], exec
	;; [unrolled: 1-line block ×3, first 2 shown]
	s_or_b64 s[16:17], s[2:3], s[8:9]
.LBB14_1994:
	s_or_b64 exec, exec, s[6:7]
	s_and_saveexec_b64 s[2:3], s[16:17]
	s_cbranch_execz .LBB14_1997
; %bb.1995:
	; divergent unreachable
	s_or_b64 exec, exec, s[2:3]
	s_and_saveexec_b64 s[2:3], s[4:5]
	s_xor_b64 s[2:3], exec, s[2:3]
	s_cbranch_execnz .LBB14_1998
.LBB14_1996:
	s_or_b64 exec, exec, s[2:3]
	s_and_saveexec_b64 s[2:3], s[0:1]
	s_cbranch_execnz .LBB14_1999
	s_branch .LBB14_2036
.LBB14_1997:
	s_or_b64 exec, exec, s[2:3]
	s_and_saveexec_b64 s[2:3], s[4:5]
	s_xor_b64 s[2:3], exec, s[2:3]
	s_cbranch_execz .LBB14_1996
.LBB14_1998:
	v_cmp_neq_f32_e32 vcc, 0, v2
	s_waitcnt vmcnt(0)
	v_cndmask_b32_e64 v3, 0, 1, vcc
	global_store_byte v[0:1], v3, off
	s_or_b64 exec, exec, s[2:3]
	s_and_saveexec_b64 s[2:3], s[0:1]
	s_cbranch_execz .LBB14_2036
.LBB14_1999:
	s_waitcnt vmcnt(0)
	v_cmp_gt_i16_e32 vcc, 5, v6
	s_mov_b64 s[0:1], -1
	s_cbranch_vccnz .LBB14_2020
; %bb.2000:
	v_cmp_gt_i16_e32 vcc, 8, v6
	s_cbranch_vccnz .LBB14_2010
; %bb.2001:
	v_cmp_gt_i16_e32 vcc, 9, v6
	s_cbranch_vccnz .LBB14_2007
; %bb.2002:
	v_cmp_lt_i16_e32 vcc, 9, v6
	s_cbranch_vccz .LBB14_2004
; %bb.2003:
	v_mov_b32_e32 v10, 0
	v_cvt_f64_f32_e32 v[8:9], v2
	v_mov_b32_e32 v11, v10
	global_store_dwordx4 v[0:1], v[8:11], off
	s_mov_b64 s[0:1], 0
.LBB14_2004:
	s_andn2_b64 vcc, exec, s[0:1]
	s_cbranch_vccnz .LBB14_2006
; %bb.2005:
	v_mov_b32_e32 v3, 0
	global_store_dwordx2 v[0:1], v[2:3], off
.LBB14_2006:
	s_mov_b64 s[0:1], 0
.LBB14_2007:
	s_andn2_b64 vcc, exec, s[0:1]
	s_cbranch_vccnz .LBB14_2009
; %bb.2008:
	v_cvt_f16_f32_e32 v3, v2
	global_store_dword v[0:1], v3, off
.LBB14_2009:
	s_mov_b64 s[0:1], 0
.LBB14_2010:
	s_andn2_b64 vcc, exec, s[0:1]
	s_cbranch_vccnz .LBB14_2019
; %bb.2011:
	v_cmp_gt_i16_e32 vcc, 6, v6
	s_mov_b64 s[0:1], -1
	s_cbranch_vccnz .LBB14_2017
; %bb.2012:
	v_cmp_lt_i16_e32 vcc, 6, v6
	s_cbranch_vccz .LBB14_2014
; %bb.2013:
	v_cvt_f64_f32_e32 v[4:5], v2
	global_store_dwordx2 v[0:1], v[4:5], off
	s_mov_b64 s[0:1], 0
.LBB14_2014:
	s_andn2_b64 vcc, exec, s[0:1]
	s_cbranch_vccnz .LBB14_2016
; %bb.2015:
	global_store_dword v[0:1], v2, off
.LBB14_2016:
	s_mov_b64 s[0:1], 0
.LBB14_2017:
	s_andn2_b64 vcc, exec, s[0:1]
	s_cbranch_vccnz .LBB14_2019
; %bb.2018:
	v_cvt_f16_f32_e32 v3, v2
	global_store_short v[0:1], v3, off
.LBB14_2019:
	s_mov_b64 s[0:1], 0
.LBB14_2020:
	s_andn2_b64 vcc, exec, s[0:1]
	s_cbranch_vccnz .LBB14_2036
; %bb.2021:
	v_cmp_gt_i16_e32 vcc, 2, v6
	s_mov_b64 s[0:1], -1
	s_cbranch_vccnz .LBB14_2031
; %bb.2022:
	v_cmp_gt_i16_e32 vcc, 3, v6
	s_cbranch_vccnz .LBB14_2028
; %bb.2023:
	v_cmp_lt_i16_e32 vcc, 3, v6
	s_cbranch_vccz .LBB14_2025
; %bb.2024:
	v_trunc_f32_e32 v3, v2
	s_mov_b32 s0, 0x2f800000
	v_mul_f32_e64 v4, |v3|, s0
	v_floor_f32_e32 v4, v4
	s_mov_b32 s0, 0xcf800000
	v_cvt_u32_f32_e32 v5, v4
	v_fma_f32 v4, v4, s0, |v3|
	v_cvt_u32_f32_e32 v4, v4
	v_ashrrev_i32_e32 v3, 31, v3
	v_xor_b32_e32 v5, v5, v3
	s_mov_b64 s[0:1], 0
	v_xor_b32_e32 v4, v4, v3
	v_sub_co_u32_e32 v4, vcc, v4, v3
	v_subb_co_u32_e32 v5, vcc, v5, v3, vcc
	global_store_dwordx2 v[0:1], v[4:5], off
.LBB14_2025:
	s_andn2_b64 vcc, exec, s[0:1]
	s_cbranch_vccnz .LBB14_2027
; %bb.2026:
	v_cvt_i32_f32_e32 v3, v2
	global_store_dword v[0:1], v3, off
.LBB14_2027:
	s_mov_b64 s[0:1], 0
.LBB14_2028:
	s_andn2_b64 vcc, exec, s[0:1]
	s_cbranch_vccnz .LBB14_2030
; %bb.2029:
	v_cvt_i32_f32_e32 v3, v2
	global_store_short v[0:1], v3, off
.LBB14_2030:
	s_mov_b64 s[0:1], 0
.LBB14_2031:
	s_andn2_b64 vcc, exec, s[0:1]
	s_cbranch_vccnz .LBB14_2036
; %bb.2032:
	v_cmp_lt_i16_e32 vcc, 0, v6
	s_mov_b64 s[0:1], -1
	s_cbranch_vccz .LBB14_2034
; %bb.2033:
	v_cvt_i32_f32_e32 v3, v2
	s_mov_b64 s[0:1], 0
	global_store_byte v[0:1], v3, off
.LBB14_2034:
	s_andn2_b64 vcc, exec, s[0:1]
	s_cbranch_vccnz .LBB14_2036
; %bb.2035:
	v_trunc_f32_e32 v2, v2
	s_mov_b32 s0, 0x2f800000
	v_mul_f32_e64 v3, |v2|, s0
	v_floor_f32_e32 v3, v3
	s_mov_b32 s0, 0xcf800000
	v_fma_f32 v3, v3, s0, |v2|
	v_cvt_u32_f32_e32 v3, v3
	v_ashrrev_i32_e32 v2, 31, v2
	v_xor_b32_e32 v3, v3, v2
	v_sub_u32_e32 v2, v3, v2
	global_store_byte v[0:1], v2, off
	s_endpgm
.LBB14_2036:
	s_endpgm
.LBB14_2037:
	s_mov_b64 s[4:5], 0
	s_mov_b64 s[0:1], -1
	s_branch .LBB14_1993
.LBB14_2038:
	s_or_saveexec_b64 s[20:21], s[20:21]
                                        ; implicit-def: $sgpr22
	s_xor_b64 exec, exec, s[20:21]
	s_cbranch_execz .LBB14_1826
.LBB14_2039:
	v_add_f32_e32 v3, 0x46000000, v5
	v_and_b32_e32 v3, 0xff, v3
	v_cmp_ne_u32_e32 vcc, 0, v3
	s_andn2_b64 s[12:13], s[12:13], exec
	s_and_b64 s[24:25], vcc, exec
	s_mov_b32 s22, 0
	s_or_b64 s[12:13], s[12:13], s[24:25]
	s_or_b64 exec, exec, s[20:21]
	v_mov_b32_e32 v6, s22
	s_and_saveexec_b64 s[20:21], s[12:13]
	s_cbranch_execnz .LBB14_1827
	s_branch .LBB14_1828
.LBB14_2040:
	s_trap 2
	s_or_b64 s[18:19], s[18:19], exec
	s_cbranch_execz .LBB14_1874
	s_branch .LBB14_1875
.LBB14_2041:
	s_or_saveexec_b64 s[12:13], s[12:13]
                                        ; implicit-def: $sgpr20
	s_xor_b64 exec, exec, s[12:13]
	s_cbranch_execz .LBB14_1839
.LBB14_2042:
	v_add_f32_e32 v3, 0x42800000, v5
	v_and_b32_e32 v3, 0xff, v3
	v_cmp_ne_u32_e32 vcc, 0, v3
	s_andn2_b64 s[10:11], s[10:11], exec
	s_and_b64 s[22:23], vcc, exec
	s_mov_b32 s20, 0
	s_or_b64 s[10:11], s[10:11], s[22:23]
	s_or_b64 exec, exec, s[12:13]
	v_mov_b32_e32 v6, s20
	s_and_saveexec_b64 s[12:13], s[10:11]
	s_cbranch_execnz .LBB14_1840
	s_branch .LBB14_1841
.LBB14_2043:
	s_or_saveexec_b64 s[12:13], s[12:13]
                                        ; implicit-def: $sgpr14
	s_xor_b64 exec, exec, s[12:13]
	s_cbranch_execz .LBB14_1945
.LBB14_2044:
	v_add_f32_e32 v3, 0x46000000, v4
	v_and_b32_e32 v3, 0xff, v3
	v_cmp_ne_u32_e32 vcc, 0, v3
	s_andn2_b64 s[10:11], s[10:11], exec
	s_and_b64 s[20:21], vcc, exec
	s_mov_b32 s14, 0
	s_or_b64 s[10:11], s[10:11], s[20:21]
	s_or_b64 exec, exec, s[12:13]
	v_mov_b32_e32 v5, s14
	s_and_saveexec_b64 s[12:13], s[10:11]
	s_cbranch_execnz .LBB14_1946
	s_branch .LBB14_1947
.LBB14_2045:
	s_mov_b64 s[4:5], 0
	s_or_b64 s[18:19], s[18:19], exec
	s_trap 2
	s_branch .LBB14_1991
.LBB14_2046:
	s_or_saveexec_b64 s[10:11], s[10:11]
                                        ; implicit-def: $sgpr12
	s_xor_b64 exec, exec, s[10:11]
	s_cbranch_execz .LBB14_1957
.LBB14_2047:
	v_add_f32_e32 v3, 0x42800000, v4
	v_and_b32_e32 v3, 0xff, v3
	v_cmp_ne_u32_e32 vcc, 0, v3
	s_andn2_b64 s[8:9], s[8:9], exec
	s_and_b64 s[14:15], vcc, exec
	s_mov_b32 s12, 0
	s_or_b64 s[8:9], s[8:9], s[14:15]
	s_or_b64 exec, exec, s[10:11]
	v_mov_b32_e32 v5, s12
	s_and_saveexec_b64 s[10:11], s[8:9]
	s_cbranch_execnz .LBB14_1958
	s_branch .LBB14_1959
	.section	.rodata,"a",@progbits
	.p2align	6, 0x0
	.amdhsa_kernel _ZN2at6native32elementwise_kernel_manual_unrollILi128ELi4EZNS0_15gpu_kernel_implIZZZNS0_12_GLOBAL__N_117hardshrink_kernelERNS_18TensorIteratorBaseERKN3c106ScalarEENKUlvE_clEvENKUlvE0_clEvEUlfE_EEvS5_RKT_EUlibE_EEviT1_
		.amdhsa_group_segment_fixed_size 0
		.amdhsa_private_segment_fixed_size 0
		.amdhsa_kernarg_size 40
		.amdhsa_user_sgpr_count 6
		.amdhsa_user_sgpr_private_segment_buffer 1
		.amdhsa_user_sgpr_dispatch_ptr 0
		.amdhsa_user_sgpr_queue_ptr 0
		.amdhsa_user_sgpr_kernarg_segment_ptr 1
		.amdhsa_user_sgpr_dispatch_id 0
		.amdhsa_user_sgpr_flat_scratch_init 0
		.amdhsa_user_sgpr_kernarg_preload_length 0
		.amdhsa_user_sgpr_kernarg_preload_offset 0
		.amdhsa_user_sgpr_private_segment_size 0
		.amdhsa_uses_dynamic_stack 0
		.amdhsa_system_sgpr_private_segment_wavefront_offset 0
		.amdhsa_system_sgpr_workgroup_id_x 1
		.amdhsa_system_sgpr_workgroup_id_y 0
		.amdhsa_system_sgpr_workgroup_id_z 0
		.amdhsa_system_sgpr_workgroup_info 0
		.amdhsa_system_vgpr_workitem_id 0
		.amdhsa_next_free_vgpr 14
		.amdhsa_next_free_sgpr 44
		.amdhsa_accum_offset 16
		.amdhsa_reserve_vcc 1
		.amdhsa_reserve_flat_scratch 0
		.amdhsa_float_round_mode_32 0
		.amdhsa_float_round_mode_16_64 0
		.amdhsa_float_denorm_mode_32 3
		.amdhsa_float_denorm_mode_16_64 3
		.amdhsa_dx10_clamp 1
		.amdhsa_ieee_mode 1
		.amdhsa_fp16_overflow 0
		.amdhsa_tg_split 0
		.amdhsa_exception_fp_ieee_invalid_op 0
		.amdhsa_exception_fp_denorm_src 0
		.amdhsa_exception_fp_ieee_div_zero 0
		.amdhsa_exception_fp_ieee_overflow 0
		.amdhsa_exception_fp_ieee_underflow 0
		.amdhsa_exception_fp_ieee_inexact 0
		.amdhsa_exception_int_div_zero 0
	.end_amdhsa_kernel
	.section	.text._ZN2at6native32elementwise_kernel_manual_unrollILi128ELi4EZNS0_15gpu_kernel_implIZZZNS0_12_GLOBAL__N_117hardshrink_kernelERNS_18TensorIteratorBaseERKN3c106ScalarEENKUlvE_clEvENKUlvE0_clEvEUlfE_EEvS5_RKT_EUlibE_EEviT1_,"axG",@progbits,_ZN2at6native32elementwise_kernel_manual_unrollILi128ELi4EZNS0_15gpu_kernel_implIZZZNS0_12_GLOBAL__N_117hardshrink_kernelERNS_18TensorIteratorBaseERKN3c106ScalarEENKUlvE_clEvENKUlvE0_clEvEUlfE_EEvS5_RKT_EUlibE_EEviT1_,comdat
.Lfunc_end14:
	.size	_ZN2at6native32elementwise_kernel_manual_unrollILi128ELi4EZNS0_15gpu_kernel_implIZZZNS0_12_GLOBAL__N_117hardshrink_kernelERNS_18TensorIteratorBaseERKN3c106ScalarEENKUlvE_clEvENKUlvE0_clEvEUlfE_EEvS5_RKT_EUlibE_EEviT1_, .Lfunc_end14-_ZN2at6native32elementwise_kernel_manual_unrollILi128ELi4EZNS0_15gpu_kernel_implIZZZNS0_12_GLOBAL__N_117hardshrink_kernelERNS_18TensorIteratorBaseERKN3c106ScalarEENKUlvE_clEvENKUlvE0_clEvEUlfE_EEvS5_RKT_EUlibE_EEviT1_
                                        ; -- End function
	.section	.AMDGPU.csdata,"",@progbits
; Kernel info:
; codeLenInByte = 33876
; NumSgprs: 48
; NumVgprs: 14
; NumAgprs: 0
; TotalNumVgprs: 14
; ScratchSize: 0
; MemoryBound: 1
; FloatMode: 240
; IeeeMode: 1
; LDSByteSize: 0 bytes/workgroup (compile time only)
; SGPRBlocks: 5
; VGPRBlocks: 1
; NumSGPRsForWavesPerEU: 48
; NumVGPRsForWavesPerEU: 14
; AccumOffset: 16
; Occupancy: 8
; WaveLimiterHint : 0
; COMPUTE_PGM_RSRC2:SCRATCH_EN: 0
; COMPUTE_PGM_RSRC2:USER_SGPR: 6
; COMPUTE_PGM_RSRC2:TRAP_HANDLER: 0
; COMPUTE_PGM_RSRC2:TGID_X_EN: 1
; COMPUTE_PGM_RSRC2:TGID_Y_EN: 0
; COMPUTE_PGM_RSRC2:TGID_Z_EN: 0
; COMPUTE_PGM_RSRC2:TIDIG_COMP_CNT: 0
; COMPUTE_PGM_RSRC3_GFX90A:ACCUM_OFFSET: 3
; COMPUTE_PGM_RSRC3_GFX90A:TG_SPLIT: 0
	.section	.text._ZN2at6native32elementwise_kernel_manual_unrollILi128ELi4EZNS0_15gpu_kernel_implIZZZNS0_12_GLOBAL__N_117hardshrink_kernelERNS_18TensorIteratorBaseERKN3c106ScalarEENKUlvE_clEvENKUlvE0_clEvEUlfE_EEvS5_RKT_EUlibE0_EEviT1_,"axG",@progbits,_ZN2at6native32elementwise_kernel_manual_unrollILi128ELi4EZNS0_15gpu_kernel_implIZZZNS0_12_GLOBAL__N_117hardshrink_kernelERNS_18TensorIteratorBaseERKN3c106ScalarEENKUlvE_clEvENKUlvE0_clEvEUlfE_EEvS5_RKT_EUlibE0_EEviT1_,comdat
	.globl	_ZN2at6native32elementwise_kernel_manual_unrollILi128ELi4EZNS0_15gpu_kernel_implIZZZNS0_12_GLOBAL__N_117hardshrink_kernelERNS_18TensorIteratorBaseERKN3c106ScalarEENKUlvE_clEvENKUlvE0_clEvEUlfE_EEvS5_RKT_EUlibE0_EEviT1_ ; -- Begin function _ZN2at6native32elementwise_kernel_manual_unrollILi128ELi4EZNS0_15gpu_kernel_implIZZZNS0_12_GLOBAL__N_117hardshrink_kernelERNS_18TensorIteratorBaseERKN3c106ScalarEENKUlvE_clEvENKUlvE0_clEvEUlfE_EEvS5_RKT_EUlibE0_EEviT1_
	.p2align	8
	.type	_ZN2at6native32elementwise_kernel_manual_unrollILi128ELi4EZNS0_15gpu_kernel_implIZZZNS0_12_GLOBAL__N_117hardshrink_kernelERNS_18TensorIteratorBaseERKN3c106ScalarEENKUlvE_clEvENKUlvE0_clEvEUlfE_EEvS5_RKT_EUlibE0_EEviT1_,@function
_ZN2at6native32elementwise_kernel_manual_unrollILi128ELi4EZNS0_15gpu_kernel_implIZZZNS0_12_GLOBAL__N_117hardshrink_kernelERNS_18TensorIteratorBaseERKN3c106ScalarEENKUlvE_clEvENKUlvE0_clEvEUlfE_EEvS5_RKT_EUlibE0_EEviT1_: ; @_ZN2at6native32elementwise_kernel_manual_unrollILi128ELi4EZNS0_15gpu_kernel_implIZZZNS0_12_GLOBAL__N_117hardshrink_kernelERNS_18TensorIteratorBaseERKN3c106ScalarEENKUlvE_clEvENKUlvE0_clEvEUlfE_EEvS5_RKT_EUlibE0_EEviT1_
; %bb.0:
	s_load_dword s74, s[4:5], 0x0
	s_load_dword s33, s[4:5], 0x8
	s_or_b32 s34, s4, 8
	v_lshl_or_b32 v8, s6, 9, v0
	v_or_b32_e32 v9, 0x180, v8
	s_mov_b32 s35, s5
	s_waitcnt lgkmcnt(0)
	s_add_i32 s76, s33, -1
	s_cmp_gt_u32 s76, 1
	v_cmp_le_i32_e32 vcc, s74, v9
	s_cselect_b64 s[40:41], -1, 0
	s_mov_b64 s[6:7], 0
	s_mov_b64 s[28:29], 0
	s_and_saveexec_b64 s[0:1], vcc
	s_xor_b64 s[42:43], exec, s[0:1]
	s_cbranch_execz .LBB15_1090
; %bb.1:
	s_load_dwordx4 s[28:31], s[34:35], 0x4
	s_load_dwordx2 s[46:47], s[34:35], 0x14
	s_load_dwordx2 s[44:45], s[34:35], 0x158
	s_cmp_lg_u32 s33, 0
	s_load_dwordx4 s[36:39], s[34:35], 0xc4
	s_load_dwordx4 s[24:27], s[34:35], 0x148
	s_cselect_b64 s[52:53], -1, 0
	s_add_u32 s50, s34, 0xc4
	s_addc_u32 s51, s35, 0
	s_min_u32 s75, s76, 15
	s_cmp_gt_u32 s33, 1
	s_cselect_b64 s[48:49], -1, 0
	s_waitcnt lgkmcnt(0)
	v_lshrrev_b16_e64 v4, 8, s45
	v_cmp_gt_i32_e32 vcc, s74, v8
	s_mov_b64 s[2:3], -1
	s_mov_b64 s[62:63], 0
	s_mov_b64 s[56:57], 0
	;; [unrolled: 1-line block ×3, first 2 shown]
	s_and_saveexec_b64 s[58:59], vcc
	s_cbranch_execz .LBB15_267
; %bb.2:
	s_andn2_b64 vcc, exec, s[40:41]
	s_cbranch_vccnz .LBB15_8
; %bb.3:
	s_mov_b32 s54, 0
	s_andn2_b64 vcc, exec, s[52:53]
	v_mov_b32_e32 v2, 0
	v_mov_b32_e32 v0, 0
	s_cbranch_vccnz .LBB15_14
; %bb.4:
	s_add_i32 s64, s75, 1
	s_cmp_eq_u32 s76, 2
	s_cbranch_scc1 .LBB15_9
; %bb.5:
	s_and_b32 s54, s64, 28
	s_mov_b32 s55, 0
	v_mov_b32_e32 v0, 0
	s_mov_b64 s[56:57], s[34:35]
	s_mov_b64 s[60:61], s[50:51]
	v_mov_b32_e32 v3, v8
	v_mov_b32_e32 v2, 0
.LBB15_6:                               ; =>This Inner Loop Header: Depth=1
	s_load_dwordx8 s[16:23], s[56:57], 0x4
	s_load_dwordx4 s[0:3], s[56:57], 0x24
	s_load_dwordx8 s[8:15], s[60:61], 0x0
	s_add_u32 s56, s56, 48
	s_addc_u32 s57, s57, 0
	s_waitcnt lgkmcnt(0)
	v_mul_hi_u32 v1, s17, v3
	v_add_u32_e32 v1, v3, v1
	v_lshrrev_b32_e32 v1, s18, v1
	v_mul_lo_u32 v5, v1, s16
	v_mul_hi_u32 v6, s20, v1
	v_sub_u32_e32 v3, v3, v5
	v_add_u32_e32 v5, v1, v6
	v_lshrrev_b32_e32 v5, s21, v5
	v_mul_lo_u32 v7, v5, s19
	v_mul_hi_u32 v9, s23, v5
	v_sub_u32_e32 v1, v1, v7
	v_add_u32_e32 v7, v5, v9
	v_mul_lo_u32 v6, v3, s9
	v_mul_lo_u32 v3, v3, s8
	;; [unrolled: 1-line block ×4, first 2 shown]
	v_lshrrev_b32_e32 v7, s0, v7
	v_add3_u32 v0, v3, v0, v1
	v_mul_hi_u32 v3, s2, v7
	v_add_u32_e32 v3, v7, v3
	v_lshrrev_b32_e32 v3, s3, v3
	s_add_i32 s55, s55, 4
	v_add3_u32 v1, v6, v2, v9
	v_mul_lo_u32 v2, v7, s22
	v_mul_lo_u32 v6, v3, s1
	s_add_u32 s60, s60, 32
	v_sub_u32_e32 v2, v5, v2
	v_sub_u32_e32 v6, v7, v6
	s_addc_u32 s61, s61, 0
	v_mul_lo_u32 v5, v2, s12
	v_mul_lo_u32 v2, v2, s13
	;; [unrolled: 1-line block ×4, first 2 shown]
	s_cmp_lg_u32 s54, s55
	v_add3_u32 v2, v2, v1, v6
	v_add3_u32 v0, v5, v0, v7
	s_cbranch_scc1 .LBB15_6
; %bb.7:
	v_mov_b32_e32 v1, v2
	s_branch .LBB15_10
.LBB15_8:
                                        ; implicit-def: $vgpr2
                                        ; implicit-def: $vgpr0
	s_branch .LBB15_15
.LBB15_9:
	s_mov_b32 s55, s54
	v_pk_mov_b32 v[0:1], s[54:55], s[54:55] op_sel:[0,1]
                                        ; implicit-def: $vgpr2
	v_mov_b32_e32 v3, v8
.LBB15_10:
	s_and_b32 s8, s64, 3
	s_cmp_eq_u32 s8, 0
	s_cbranch_scc1 .LBB15_14
; %bb.11:
	s_lshl_b32 s0, s54, 3
	s_add_u32 s0, s0, s34
	s_addc_u32 s1, s35, 0
	s_add_u32 s0, s0, 0xc4
	s_addc_u32 s1, s1, 0
	s_mul_i32 s2, s54, 12
	s_add_u32 s2, s34, s2
	s_addc_u32 s3, s35, 0
.LBB15_12:                              ; =>This Inner Loop Header: Depth=1
	s_load_dwordx2 s[10:11], s[2:3], 0x4
	s_load_dword s9, s[2:3], 0xc
	s_load_dwordx2 s[12:13], s[0:1], 0x0
	v_mov_b32_e32 v2, v1
	s_add_u32 s2, s2, 12
	s_waitcnt lgkmcnt(0)
	v_mul_hi_u32 v1, s11, v3
	v_add_u32_e32 v1, v3, v1
	v_lshrrev_b32_e32 v1, s9, v1
	s_addc_u32 s3, s3, 0
	v_mul_lo_u32 v5, v1, s10
	s_add_u32 s0, s0, 8
	v_sub_u32_e32 v5, v3, v5
	v_mov_b32_e32 v3, v1
	s_addc_u32 s1, s1, 0
	s_add_i32 s8, s8, -1
	v_mad_u64_u32 v[6:7], s[10:11], v5, s13, v[2:3]
	v_mad_u64_u32 v[0:1], s[10:11], v5, s12, v[0:1]
	s_cmp_lg_u32 s8, 0
	v_mov_b32_e32 v1, v6
	s_cbranch_scc1 .LBB15_12
; %bb.13:
	v_mov_b32_e32 v2, v1
.LBB15_14:
	s_cbranch_execnz .LBB15_17
.LBB15_15:
	v_mul_hi_u32 v0, s29, v8
	v_add_u32_e32 v0, v8, v0
	v_lshrrev_b32_e32 v1, s30, v0
	v_mul_lo_u32 v0, v1, s28
	v_sub_u32_e32 v0, v8, v0
	v_mul_lo_u32 v2, v0, s37
	s_andn2_b64 vcc, exec, s[48:49]
	v_mul_lo_u32 v0, v0, s36
	s_cbranch_vccnz .LBB15_17
; %bb.16:
	v_mul_hi_u32 v3, s46, v1
	v_add_u32_e32 v3, v1, v3
	v_lshrrev_b32_e32 v3, s47, v3
	v_mul_lo_u32 v3, v3, s31
	v_sub_u32_e32 v3, v1, v3
	v_mad_u64_u32 v[0:1], s[0:1], v3, s38, v[0:1]
	v_mad_u64_u32 v[2:3], s[0:1], v3, s39, v[2:3]
.LBB15_17:
	v_mov_b32_e32 v1, s27
	v_add_co_u32_e32 v2, vcc, s26, v2
	v_addc_co_u32_e32 v3, vcc, 0, v1, vcc
	v_cmp_gt_i16_e32 vcc, 11, v4
	s_cbranch_vccnz .LBB15_24
; %bb.18:
	v_cmp_lt_i16_e32 vcc, 25, v4
	s_cbranch_vccz .LBB15_33
; %bb.19:
	v_cmp_lt_i16_e32 vcc, 28, v4
	s_cbranch_vccz .LBB15_36
	;; [unrolled: 3-line block ×4, first 2 shown]
; %bb.22:
	v_cmp_eq_u16_e32 vcc, 46, v4
	s_mov_b64 s[2:3], 0
	s_cbranch_vccz .LBB15_42
; %bb.23:
	global_load_dword v1, v[2:3], off
	s_mov_b64 s[0:1], -1
	s_mov_b64 s[8:9], 0
	s_waitcnt vmcnt(0)
	v_lshlrev_b32_e32 v5, 16, v1
	s_branch .LBB15_44
.LBB15_24:
	s_mov_b64 s[8:9], 0
                                        ; implicit-def: $vgpr5
	s_mov_b64 s[0:1], 0
	s_cbranch_execnz .LBB15_217
.LBB15_25:
	s_andn2_b64 vcc, exec, s[0:1]
	s_cbranch_vccnz .LBB15_264
.LBB15_26:
	s_waitcnt vmcnt(0)
	v_cmp_nge_f32_e64 s[0:1], v5, -s44
	v_cmp_nge_f32_e32 vcc, s44, v5
	s_or_b64 s[0:1], s[0:1], vcc
	v_mov_b32_e32 v1, s25
	v_add_co_u32_e32 v0, vcc, s24, v0
	v_mov_b32_e32 v3, 11
	v_addc_co_u32_e32 v1, vcc, 0, v1, vcc
	v_cmp_lt_i16_sdwa s[2:3], s45, v3 src0_sel:BYTE_0 src1_sel:DWORD
	v_cndmask_b32_e64 v2, 0, v5, s[0:1]
	s_and_b64 vcc, exec, s[2:3]
	s_cbranch_vccnz .LBB15_34
; %bb.27:
	v_mov_b32_e32 v3, 25
	v_cmp_gt_i16_sdwa s[2:3], s45, v3 src0_sel:BYTE_0 src1_sel:DWORD
	s_and_b64 vcc, exec, s[2:3]
	s_cbranch_vccz .LBB15_37
; %bb.28:
	v_mov_b32_e32 v3, 28
	v_cmp_gt_i16_sdwa s[2:3], s45, v3 src0_sel:BYTE_0 src1_sel:DWORD
	s_and_b64 vcc, exec, s[2:3]
	s_cbranch_vccz .LBB15_39
	;; [unrolled: 5-line block ×4, first 2 shown]
; %bb.31:
	v_mov_b32_e32 v3, 46
	v_cmp_eq_u16_sdwa s[10:11], s45, v3 src0_sel:BYTE_0 src1_sel:DWORD
	s_mov_b64 s[12:13], 0
	s_mov_b64 s[2:3], -1
	s_and_b64 vcc, exec, s[10:11]
	s_mov_b64 s[10:11], 0
	s_cbranch_vccz .LBB15_48
; %bb.32:
	v_bfe_u32 v3, v2, 16, 1
	s_movk_i32 s2, 0x7fff
	v_add3_u32 v3, v2, v3, s2
	v_lshrrev_b32_e32 v3, 16, v3
	v_mov_b32_e32 v6, 0x7fc0
	v_cmp_o_f32_e32 vcc, v2, v2
	v_cndmask_b32_e32 v3, v6, v3, vcc
	global_store_dword v[0:1], v3, off
	s_mov_b64 s[10:11], -1
	s_mov_b64 s[2:3], 0
	s_branch .LBB15_48
.LBB15_33:
	s_mov_b64 s[8:9], 0
	s_mov_b64 s[0:1], 0
                                        ; implicit-def: $vgpr5
	s_cbranch_execnz .LBB15_182
	s_branch .LBB15_216
.LBB15_34:
	s_mov_b64 s[2:3], 0
	s_mov_b64 s[10:11], 0
	s_cbranch_execnz .LBB15_117
.LBB15_35:
	s_andn2_b64 vcc, exec, s[10:11]
	s_cbranch_vccnz .LBB15_265
	s_branch .LBB15_155
.LBB15_36:
	s_mov_b64 s[2:3], -1
	s_mov_b64 s[8:9], 0
	s_mov_b64 s[0:1], 0
                                        ; implicit-def: $vgpr5
	s_branch .LBB15_163
.LBB15_37:
	s_mov_b64 s[12:13], -1
	s_mov_b64 s[2:3], 0
	s_mov_b64 s[10:11], 0
	s_branch .LBB15_75
.LBB15_38:
	s_mov_b64 s[2:3], -1
	s_mov_b64 s[8:9], 0
	s_mov_b64 s[0:1], 0
                                        ; implicit-def: $vgpr5
	s_branch .LBB15_158
.LBB15_39:
	s_mov_b64 s[12:13], -1
	s_mov_b64 s[2:3], 0
	s_mov_b64 s[10:11], 0
	s_branch .LBB15_58
.LBB15_40:
	s_mov_b64 s[2:3], -1
	s_mov_b64 s[8:9], 0
	s_branch .LBB15_43
.LBB15_41:
	s_mov_b64 s[12:13], -1
	s_mov_b64 s[2:3], 0
	s_mov_b64 s[10:11], 0
	s_branch .LBB15_54
.LBB15_42:
	s_mov_b64 s[8:9], -1
.LBB15_43:
	s_mov_b64 s[0:1], 0
                                        ; implicit-def: $vgpr5
.LBB15_44:
	s_and_b64 vcc, exec, s[2:3]
	s_cbranch_vccz .LBB15_157
; %bb.45:
	v_cmp_eq_u16_e32 vcc, 44, v4
	s_cbranch_vccz .LBB15_156
; %bb.46:
	global_load_ubyte v1, v[2:3], off
	s_movk_i32 s2, 0xff
	v_mov_b32_e32 v5, 0x7f800001
	v_mov_b32_e32 v6, 0x400000
	s_mov_b64 s[0:1], -1
	s_mov_b64 s[8:9], 0
	s_waitcnt vmcnt(0)
	v_lshlrev_b32_e32 v7, 23, v1
	v_cmp_ne_u32_e32 vcc, s2, v1
	v_cndmask_b32_e32 v5, v5, v7, vcc
	v_cmp_ne_u32_e32 vcc, 0, v1
	v_cndmask_b32_e32 v5, v6, v5, vcc
	s_branch .LBB15_157
.LBB15_47:
	s_mov_b64 s[12:13], -1
	s_mov_b64 s[2:3], 0
	s_mov_b64 s[10:11], 0
.LBB15_48:
	s_and_b64 vcc, exec, s[12:13]
	s_cbranch_vccz .LBB15_53
; %bb.49:
	v_mov_b32_e32 v3, 44
	v_cmp_eq_u16_sdwa s[12:13], s45, v3 src0_sel:BYTE_0 src1_sel:DWORD
	s_mov_b64 s[2:3], -1
	s_and_b64 vcc, exec, s[12:13]
	s_cbranch_vccz .LBB15_53
; %bb.50:
	v_bfe_u32 v3, v2, 23, 8
	s_movk_i32 s2, 0xff
	v_cmp_ne_u32_e32 vcc, s2, v3
	v_mov_b32_e32 v6, 0xff
	s_and_saveexec_b64 s[10:11], vcc
; %bb.51:
	s_mov_b32 s2, 0x3fffff
	v_and_b32_e32 v7, 0x400000, v2
	v_and_or_b32 v3, v2, s2, v3
	v_cmp_ne_u32_e32 vcc, 0, v7
	v_cmp_ne_u32_e64 s[2:3], 0, v3
	s_and_b64 s[2:3], vcc, s[2:3]
	v_lshrrev_b32_e32 v6, 23, v2
	v_cndmask_b32_e64 v3, 0, 1, s[2:3]
	v_add_u32_e32 v6, v6, v3
; %bb.52:
	s_or_b64 exec, exec, s[10:11]
	s_mov_b64 s[10:11], -1
	s_mov_b64 s[2:3], 0
	global_store_byte v[0:1], v6, off
.LBB15_53:
	s_mov_b64 s[12:13], 0
.LBB15_54:
	s_and_b64 vcc, exec, s[12:13]
	s_cbranch_vccz .LBB15_57
; %bb.55:
	v_mov_b32_e32 v3, 29
	v_cmp_eq_u16_sdwa s[12:13], s45, v3 src0_sel:BYTE_0 src1_sel:DWORD
	s_mov_b64 s[2:3], -1
	s_and_b64 vcc, exec, s[12:13]
	s_cbranch_vccz .LBB15_57
; %bb.56:
	v_trunc_f32_e32 v3, v2
	v_mul_f32_e32 v6, 0x2f800000, v3
	v_floor_f32_e32 v6, v6
	v_fmac_f32_e32 v3, 0xcf800000, v6
	v_cvt_u32_f32_e32 v7, v6
	v_cvt_u32_f32_e32 v6, v3
	s_mov_b64 s[10:11], -1
	s_mov_b64 s[2:3], 0
	s_mov_b64 s[12:13], 0
	global_store_dwordx2 v[0:1], v[6:7], off
	s_branch .LBB15_58
.LBB15_57:
	s_mov_b64 s[12:13], 0
.LBB15_58:
	s_and_b64 vcc, exec, s[12:13]
	s_cbranch_vccz .LBB15_74
; %bb.59:
	v_mov_b32_e32 v3, 27
	v_cmp_lt_i16_sdwa s[12:13], s45, v3 src0_sel:BYTE_0 src1_sel:DWORD
	s_mov_b64 s[10:11], -1
	s_and_b64 vcc, exec, s[12:13]
	s_cbranch_vccnz .LBB15_65
; %bb.60:
	v_cmp_gt_i16_sdwa s[12:13], s45, v3 src0_sel:BYTE_0 src1_sel:DWORD
	v_cvt_u32_f32_e32 v3, v2
	s_and_b64 vcc, exec, s[12:13]
	s_cbranch_vccz .LBB15_62
; %bb.61:
	s_mov_b64 s[10:11], 0
	global_store_dword v[0:1], v3, off
.LBB15_62:
	s_andn2_b64 vcc, exec, s[10:11]
	s_cbranch_vccnz .LBB15_64
; %bb.63:
	global_store_short v[0:1], v3, off
.LBB15_64:
	s_mov_b64 s[10:11], 0
.LBB15_65:
	s_andn2_b64 vcc, exec, s[10:11]
	s_cbranch_vccnz .LBB15_73
; %bb.66:
	v_cndmask_b32_e64 v6, 0, |v5|, s[0:1]
	s_mov_b32 s10, 0x43800000
	v_cmp_gt_u32_e32 vcc, s10, v6
	v_mov_b32_e32 v7, 0x80
	s_and_saveexec_b64 s[10:11], vcc
	s_cbranch_execz .LBB15_72
; %bb.67:
	s_mov_b32 s12, 0x3bffffff
	v_cmp_lt_u32_e32 vcc, s12, v6
	s_mov_b64 s[12:13], 0
                                        ; implicit-def: $vgpr3
	s_and_saveexec_b64 s[14:15], vcc
	s_xor_b64 s[14:15], exec, s[14:15]
	s_cbranch_execz .LBB15_309
; %bb.68:
	v_bfe_u32 v3, v2, 20, 1
	s_mov_b32 s16, 0x487ffff
	v_add3_u32 v3, v2, v3, s16
	s_mov_b64 s[12:13], exec
	v_lshrrev_b32_e32 v3, 20, v3
                                        ; implicit-def: $vgpr6
	s_or_saveexec_b64 s[14:15], s[14:15]
                                        ; implicit-def: $sgpr16
	s_xor_b64 exec, exec, s[14:15]
	s_cbranch_execnz .LBB15_310
.LBB15_69:
	s_or_b64 exec, exec, s[14:15]
	v_mov_b32_e32 v7, s16
	s_and_saveexec_b64 s[14:15], s[12:13]
.LBB15_70:
	v_lshrrev_b32_e32 v6, 24, v2
	s_movk_i32 s12, 0x80
	v_and_or_b32 v7, v6, s12, v3
.LBB15_71:
	s_or_b64 exec, exec, s[14:15]
.LBB15_72:
	s_or_b64 exec, exec, s[10:11]
	global_store_byte v[0:1], v7, off
.LBB15_73:
	s_mov_b64 s[10:11], -1
.LBB15_74:
	s_mov_b64 s[12:13], 0
.LBB15_75:
	s_and_b64 vcc, exec, s[12:13]
	s_cbranch_vccz .LBB15_116
; %bb.76:
	v_mov_b32_e32 v3, 22
	v_cmp_gt_i16_sdwa s[14:15], s45, v3 src0_sel:BYTE_0 src1_sel:DWORD
	s_mov_b64 s[12:13], -1
	s_and_b64 vcc, exec, s[14:15]
	s_cbranch_vccz .LBB15_108
; %bb.77:
	v_mov_b32_e32 v3, 24
	v_cmp_lt_i16_sdwa s[12:13], s45, v3 src0_sel:BYTE_0 src1_sel:DWORD
	s_mov_b64 s[10:11], -1
	s_and_b64 vcc, exec, s[12:13]
	s_cbranch_vccnz .LBB15_97
; %bb.78:
	v_cmp_gt_i16_sdwa s[12:13], s45, v3 src0_sel:BYTE_0 src1_sel:DWORD
	s_and_b64 vcc, exec, s[12:13]
	s_cbranch_vccz .LBB15_86
; %bb.79:
	v_cndmask_b32_e64 v6, 0, |v5|, s[0:1]
	s_mov_b32 s10, 0x47800000
	v_cmp_gt_u32_e32 vcc, s10, v6
	v_mov_b32_e32 v7, 0x80
	s_and_saveexec_b64 s[10:11], vcc
	s_cbranch_execz .LBB15_85
; %bb.80:
	s_mov_b32 s12, 0x37ffffff
	v_cmp_lt_u32_e32 vcc, s12, v6
	s_mov_b64 s[12:13], 0
                                        ; implicit-def: $vgpr3
	s_and_saveexec_b64 s[14:15], vcc
	s_xor_b64 s[14:15], exec, s[14:15]
	s_cbranch_execz .LBB15_313
; %bb.81:
	v_bfe_u32 v3, v2, 21, 1
	s_mov_b32 s16, 0x88fffff
	v_add3_u32 v3, v2, v3, s16
	s_mov_b64 s[12:13], exec
	v_lshrrev_b32_e32 v3, 21, v3
                                        ; implicit-def: $vgpr6
	s_or_saveexec_b64 s[14:15], s[14:15]
                                        ; implicit-def: $sgpr16
	s_xor_b64 exec, exec, s[14:15]
	s_cbranch_execnz .LBB15_314
.LBB15_82:
	s_or_b64 exec, exec, s[14:15]
	v_mov_b32_e32 v7, s16
	s_and_saveexec_b64 s[14:15], s[12:13]
.LBB15_83:
	v_lshrrev_b32_e32 v6, 24, v2
	s_movk_i32 s12, 0x80
	v_and_or_b32 v7, v6, s12, v3
.LBB15_84:
	s_or_b64 exec, exec, s[14:15]
.LBB15_85:
	s_or_b64 exec, exec, s[10:11]
	s_mov_b64 s[10:11], 0
	global_store_byte v[0:1], v7, off
.LBB15_86:
	s_and_b64 vcc, exec, s[10:11]
	s_cbranch_vccz .LBB15_96
; %bb.87:
	v_cndmask_b32_e64 v6, 0, |v5|, s[0:1]
	s_mov_b32 s10, 0x43f00000
	v_cmp_gt_u32_e32 vcc, s10, v6
                                        ; implicit-def: $vgpr3
	s_and_saveexec_b64 s[10:11], vcc
	s_xor_b64 s[10:11], exec, s[10:11]
	s_cbranch_execz .LBB15_93
; %bb.88:
	s_mov_b32 s12, 0x3c7fffff
	v_cmp_lt_u32_e32 vcc, s12, v6
                                        ; implicit-def: $vgpr3
	s_and_saveexec_b64 s[12:13], vcc
	s_xor_b64 s[12:13], exec, s[12:13]
; %bb.89:
	v_bfe_u32 v3, v2, 20, 1
	s_mov_b32 s14, 0x407ffff
	v_add3_u32 v3, v2, v3, s14
	v_lshrrev_b32_e32 v6, 20, v3
	v_and_b32_e32 v3, 0xff00000, v3
	s_mov_b32 s14, 0x7f00000
	v_mov_b32_e32 v7, 0x7e
	v_cmp_ne_u32_e32 vcc, s14, v3
	v_cndmask_b32_e32 v3, v7, v6, vcc
                                        ; implicit-def: $vgpr6
; %bb.90:
	s_andn2_saveexec_b64 s[12:13], s[12:13]
; %bb.91:
	v_add_f32_e32 v3, 0x46800000, v6
; %bb.92:
	s_or_b64 exec, exec, s[12:13]
                                        ; implicit-def: $vgpr6
.LBB15_93:
	s_andn2_saveexec_b64 s[10:11], s[10:11]
; %bb.94:
	s_mov_b32 s12, 0x7f800000
	v_mov_b32_e32 v3, 0x7e
	v_mov_b32_e32 v7, 0x7f
	v_cmp_lt_u32_e32 vcc, s12, v6
	v_cndmask_b32_e32 v3, v3, v7, vcc
; %bb.95:
	s_or_b64 exec, exec, s[10:11]
	v_lshrrev_b32_e32 v6, 24, v2
	s_movk_i32 s10, 0x80
	v_and_or_b32 v3, v6, s10, v3
	global_store_byte v[0:1], v3, off
.LBB15_96:
	s_mov_b64 s[10:11], 0
.LBB15_97:
	s_andn2_b64 vcc, exec, s[10:11]
	s_cbranch_vccnz .LBB15_107
; %bb.98:
	v_cndmask_b32_e64 v5, 0, |v5|, s[0:1]
	s_mov_b32 s0, 0x47800000
	v_cmp_gt_u32_e32 vcc, s0, v5
                                        ; implicit-def: $vgpr3
	s_and_saveexec_b64 s[0:1], vcc
	s_xor_b64 s[0:1], exec, s[0:1]
	s_cbranch_execz .LBB15_104
; %bb.99:
	s_mov_b32 s10, 0x387fffff
	v_cmp_lt_u32_e32 vcc, s10, v5
                                        ; implicit-def: $vgpr3
	s_and_saveexec_b64 s[10:11], vcc
	s_xor_b64 s[10:11], exec, s[10:11]
; %bb.100:
	v_bfe_u32 v3, v2, 21, 1
	s_mov_b32 s12, 0x80fffff
	v_add3_u32 v3, v2, v3, s12
	v_lshrrev_b32_e32 v3, 21, v3
                                        ; implicit-def: $vgpr5
; %bb.101:
	s_andn2_saveexec_b64 s[10:11], s[10:11]
; %bb.102:
	v_add_f32_e32 v3, 0x43000000, v5
; %bb.103:
	s_or_b64 exec, exec, s[10:11]
                                        ; implicit-def: $vgpr5
.LBB15_104:
	s_andn2_saveexec_b64 s[0:1], s[0:1]
; %bb.105:
	s_mov_b32 s10, 0x7f800000
	v_mov_b32_e32 v3, 0x7c
	v_mov_b32_e32 v6, 0x7f
	v_cmp_lt_u32_e32 vcc, s10, v5
	v_cndmask_b32_e32 v3, v3, v6, vcc
; %bb.106:
	s_or_b64 exec, exec, s[0:1]
	v_lshrrev_b32_e32 v5, 24, v2
	s_movk_i32 s0, 0x80
	v_and_or_b32 v3, v5, s0, v3
	global_store_byte v[0:1], v3, off
.LBB15_107:
	s_mov_b64 s[12:13], 0
	s_mov_b64 s[10:11], -1
.LBB15_108:
	s_andn2_b64 vcc, exec, s[12:13]
	s_cbranch_vccnz .LBB15_116
; %bb.109:
	v_mov_b32_e32 v3, 14
	v_cmp_gt_i16_sdwa s[12:13], s45, v3 src0_sel:BYTE_0 src1_sel:DWORD
	s_mov_b64 s[0:1], -1
	s_and_b64 vcc, exec, s[12:13]
	s_cbranch_vccz .LBB15_113
; %bb.110:
	v_mov_b32_e32 v3, 15
	v_cmp_eq_u16_sdwa s[0:1], s45, v3 src0_sel:BYTE_0 src1_sel:DWORD
	s_mov_b64 s[2:3], -1
	s_and_b64 vcc, exec, s[0:1]
	s_cbranch_vccz .LBB15_112
; %bb.111:
	v_bfe_u32 v3, v2, 16, 1
	s_movk_i32 s0, 0x7fff
	v_add3_u32 v3, v2, v3, s0
	v_lshrrev_b32_e32 v3, 16, v3
	v_mov_b32_e32 v5, 0x7fc0
	v_cmp_o_f32_e32 vcc, v2, v2
	v_cndmask_b32_e32 v3, v5, v3, vcc
	global_store_short v[0:1], v3, off
	s_mov_b64 s[10:11], -1
	s_mov_b64 s[2:3], 0
.LBB15_112:
	s_mov_b64 s[0:1], 0
.LBB15_113:
	s_and_b64 vcc, exec, s[0:1]
	s_cbranch_vccz .LBB15_116
; %bb.114:
	v_mov_b32_e32 v3, 11
	v_cmp_eq_u16_sdwa s[0:1], s45, v3 src0_sel:BYTE_0 src1_sel:DWORD
	s_mov_b64 s[2:3], -1
	s_and_b64 vcc, exec, s[0:1]
	s_cbranch_vccz .LBB15_116
; %bb.115:
	v_cmp_neq_f32_e32 vcc, 0, v2
	v_cndmask_b32_e64 v3, 0, 1, vcc
	s_mov_b64 s[10:11], -1
	s_mov_b64 s[2:3], 0
	global_store_byte v[0:1], v3, off
.LBB15_116:
	s_branch .LBB15_35
.LBB15_117:
	v_mov_b32_e32 v3, 5
	v_cmp_lt_i16_sdwa s[10:11], s45, v3 src0_sel:BYTE_0 src1_sel:DWORD
	s_mov_b64 s[0:1], -1
	s_and_b64 vcc, exec, s[10:11]
	s_cbranch_vccnz .LBB15_138
; %bb.118:
	v_mov_b32_e32 v3, 8
	v_cmp_lt_i16_sdwa s[10:11], s45, v3 src0_sel:BYTE_0 src1_sel:DWORD
	s_and_b64 vcc, exec, s[10:11]
	s_cbranch_vccnz .LBB15_128
; %bb.119:
	v_mov_b32_e32 v3, 9
	v_cmp_lt_i16_sdwa s[10:11], s45, v3 src0_sel:BYTE_0 src1_sel:DWORD
	s_and_b64 vcc, exec, s[10:11]
	s_cbranch_vccnz .LBB15_125
; %bb.120:
	v_cmp_gt_i16_sdwa s[10:11], s45, v3 src0_sel:BYTE_0 src1_sel:DWORD
	s_and_b64 vcc, exec, s[10:11]
	s_cbranch_vccz .LBB15_122
; %bb.121:
	v_mov_b32_e32 v12, 0
	v_cvt_f64_f32_e32 v[10:11], v2
	v_mov_b32_e32 v13, v12
	global_store_dwordx4 v[0:1], v[10:13], off
	s_mov_b64 s[0:1], 0
.LBB15_122:
	s_andn2_b64 vcc, exec, s[0:1]
	s_cbranch_vccnz .LBB15_124
; %bb.123:
	v_mov_b32_e32 v3, 0
	global_store_dwordx2 v[0:1], v[2:3], off
.LBB15_124:
	s_mov_b64 s[0:1], 0
.LBB15_125:
	s_andn2_b64 vcc, exec, s[0:1]
	s_cbranch_vccnz .LBB15_127
; %bb.126:
	v_cvt_f16_f32_e32 v3, v2
	global_store_dword v[0:1], v3, off
.LBB15_127:
	s_mov_b64 s[0:1], 0
.LBB15_128:
	s_andn2_b64 vcc, exec, s[0:1]
	s_cbranch_vccnz .LBB15_137
; %bb.129:
	v_mov_b32_e32 v3, 6
	v_cmp_lt_i16_sdwa s[10:11], s45, v3 src0_sel:BYTE_0 src1_sel:DWORD
	s_mov_b64 s[0:1], -1
	s_and_b64 vcc, exec, s[10:11]
	s_cbranch_vccnz .LBB15_135
; %bb.130:
	v_cmp_gt_i16_sdwa s[10:11], s45, v3 src0_sel:BYTE_0 src1_sel:DWORD
	s_and_b64 vcc, exec, s[10:11]
	s_cbranch_vccz .LBB15_132
; %bb.131:
	v_cvt_f64_f32_e32 v[6:7], v2
	global_store_dwordx2 v[0:1], v[6:7], off
	s_mov_b64 s[0:1], 0
.LBB15_132:
	s_andn2_b64 vcc, exec, s[0:1]
	s_cbranch_vccnz .LBB15_134
; %bb.133:
	global_store_dword v[0:1], v2, off
.LBB15_134:
	s_mov_b64 s[0:1], 0
.LBB15_135:
	s_andn2_b64 vcc, exec, s[0:1]
	s_cbranch_vccnz .LBB15_137
; %bb.136:
	v_cvt_f16_f32_e32 v3, v2
	global_store_short v[0:1], v3, off
.LBB15_137:
	s_mov_b64 s[0:1], 0
.LBB15_138:
	s_andn2_b64 vcc, exec, s[0:1]
	s_cbranch_vccnz .LBB15_154
; %bb.139:
	v_mov_b32_e32 v3, 2
	v_cmp_lt_i16_sdwa s[10:11], s45, v3 src0_sel:BYTE_0 src1_sel:DWORD
	s_mov_b64 s[0:1], -1
	s_and_b64 vcc, exec, s[10:11]
	s_cbranch_vccnz .LBB15_149
; %bb.140:
	v_mov_b32_e32 v3, 3
	v_cmp_lt_i16_sdwa s[10:11], s45, v3 src0_sel:BYTE_0 src1_sel:DWORD
	s_and_b64 vcc, exec, s[10:11]
	s_cbranch_vccnz .LBB15_146
; %bb.141:
	v_cmp_gt_i16_sdwa s[10:11], s45, v3 src0_sel:BYTE_0 src1_sel:DWORD
	s_and_b64 vcc, exec, s[10:11]
	s_cbranch_vccz .LBB15_143
; %bb.142:
	v_trunc_f32_e32 v3, v2
	s_mov_b32 s0, 0x2f800000
	v_mul_f32_e64 v5, |v3|, s0
	v_floor_f32_e32 v5, v5
	s_mov_b32 s0, 0xcf800000
	v_cvt_u32_f32_e32 v6, v5
	v_fma_f32 v5, v5, s0, |v3|
	v_cvt_u32_f32_e32 v5, v5
	v_ashrrev_i32_e32 v3, 31, v3
	v_xor_b32_e32 v7, v6, v3
	s_mov_b64 s[0:1], 0
	v_xor_b32_e32 v5, v5, v3
	v_sub_co_u32_e32 v6, vcc, v5, v3
	v_subb_co_u32_e32 v7, vcc, v7, v3, vcc
	global_store_dwordx2 v[0:1], v[6:7], off
.LBB15_143:
	s_andn2_b64 vcc, exec, s[0:1]
	s_cbranch_vccnz .LBB15_145
; %bb.144:
	v_cvt_i32_f32_e32 v3, v2
	global_store_dword v[0:1], v3, off
.LBB15_145:
	s_mov_b64 s[0:1], 0
.LBB15_146:
	s_andn2_b64 vcc, exec, s[0:1]
	s_cbranch_vccnz .LBB15_148
; %bb.147:
	v_cvt_i32_f32_e32 v3, v2
	global_store_short v[0:1], v3, off
.LBB15_148:
	s_mov_b64 s[0:1], 0
.LBB15_149:
	s_andn2_b64 vcc, exec, s[0:1]
	s_cbranch_vccnz .LBB15_154
; %bb.150:
	v_mov_b32_e32 v3, 0
	v_cmp_gt_i16_sdwa s[10:11], s45, v3 src0_sel:BYTE_0 src1_sel:DWORD
	s_mov_b64 s[0:1], -1
	s_and_b64 vcc, exec, s[10:11]
	s_cbranch_vccz .LBB15_152
; %bb.151:
	v_cvt_i32_f32_e32 v3, v2
	s_mov_b64 s[0:1], 0
	global_store_byte v[0:1], v3, off
.LBB15_152:
	s_andn2_b64 vcc, exec, s[0:1]
	s_cbranch_vccnz .LBB15_154
; %bb.153:
	v_trunc_f32_e32 v2, v2
	s_mov_b32 s0, 0x2f800000
	v_mul_f32_e64 v3, |v2|, s0
	v_floor_f32_e32 v3, v3
	s_mov_b32 s0, 0xcf800000
	v_fma_f32 v3, v3, s0, |v2|
	v_cvt_u32_f32_e32 v3, v3
	v_ashrrev_i32_e32 v2, 31, v2
	v_xor_b32_e32 v3, v3, v2
	v_sub_u32_e32 v2, v3, v2
	global_store_byte v[0:1], v2, off
.LBB15_154:
.LBB15_155:
	v_add_u32_e32 v8, 0x80, v8
	s_mov_b64 s[0:1], -1
	s_branch .LBB15_266
.LBB15_156:
	s_mov_b64 s[8:9], -1
                                        ; implicit-def: $vgpr5
.LBB15_157:
	s_mov_b64 s[2:3], 0
.LBB15_158:
	s_and_b64 vcc, exec, s[2:3]
	s_cbranch_vccz .LBB15_162
; %bb.159:
	v_cmp_eq_u16_e32 vcc, 29, v4
	s_cbranch_vccz .LBB15_161
; %bb.160:
	global_load_dwordx2 v[6:7], v[2:3], off
	s_mov_b64 s[0:1], -1
	s_mov_b64 s[8:9], 0
	s_mov_b64 s[2:3], 0
	s_waitcnt vmcnt(0)
	v_ffbh_u32_e32 v1, v7
	v_min_u32_e32 v1, 32, v1
	v_lshlrev_b64 v[6:7], v1, v[6:7]
	v_min_u32_e32 v5, 1, v6
	v_or_b32_e32 v5, v7, v5
	v_cvt_f32_u32_e32 v5, v5
	v_sub_u32_e32 v1, 32, v1
	v_ldexp_f32 v5, v5, v1
	s_branch .LBB15_163
.LBB15_161:
	s_mov_b64 s[8:9], -1
                                        ; implicit-def: $vgpr5
.LBB15_162:
	s_mov_b64 s[2:3], 0
.LBB15_163:
	s_and_b64 vcc, exec, s[2:3]
	s_cbranch_vccz .LBB15_181
; %bb.164:
	v_cmp_gt_i16_e32 vcc, 27, v4
	s_cbranch_vccnz .LBB15_167
; %bb.165:
	v_cmp_lt_i16_e32 vcc, 27, v4
	s_cbranch_vccz .LBB15_168
; %bb.166:
	global_load_dword v1, v[2:3], off
	s_mov_b64 s[0:1], 0
	s_waitcnt vmcnt(0)
	v_cvt_f32_u32_e32 v5, v1
	s_branch .LBB15_169
.LBB15_167:
	s_mov_b64 s[0:1], -1
                                        ; implicit-def: $vgpr5
	s_branch .LBB15_172
.LBB15_168:
	s_mov_b64 s[0:1], -1
                                        ; implicit-def: $vgpr5
.LBB15_169:
	s_andn2_b64 vcc, exec, s[0:1]
	s_cbranch_vccnz .LBB15_171
; %bb.170:
	global_load_ushort v1, v[2:3], off
	s_waitcnt vmcnt(0)
	v_cvt_f32_u32_e32 v5, v1
.LBB15_171:
	s_mov_b64 s[0:1], 0
.LBB15_172:
	s_andn2_b64 vcc, exec, s[0:1]
	s_cbranch_vccnz .LBB15_180
; %bb.173:
	global_load_ubyte v1, v[2:3], off
	s_movk_i32 s0, 0x7f
                                        ; implicit-def: $sgpr12
	s_waitcnt vmcnt(0)
	v_cmp_lt_i16_e32 vcc, s0, v1
	s_mov_b64 s[0:1], 0
	s_and_saveexec_b64 s[2:3], vcc
	s_xor_b64 s[2:3], exec, s[2:3]
	s_cbranch_execz .LBB15_193
; %bb.174:
	s_movk_i32 s0, 0x80
	v_cmp_eq_u16_e32 vcc, s0, v1
	s_mov_b64 s[0:1], -1
                                        ; implicit-def: $sgpr12
	s_and_saveexec_b64 s[10:11], vcc
; %bb.175:
	s_mov_b32 s12, 0x7f800001
	s_xor_b64 s[0:1], exec, -1
; %bb.176:
	s_or_b64 exec, exec, s[10:11]
	s_and_b64 s[0:1], s[0:1], exec
	s_or_saveexec_b64 s[2:3], s[2:3]
	v_mov_b32_e32 v5, s12
	s_xor_b64 exec, exec, s[2:3]
	s_cbranch_execnz .LBB15_194
.LBB15_177:
	s_or_b64 exec, exec, s[2:3]
	s_and_saveexec_b64 s[2:3], s[0:1]
	s_cbranch_execz .LBB15_179
.LBB15_178:
	v_lshlrev_b32_e32 v5, 24, v1
	v_and_b32_e32 v1, 0xffff, v1
	v_and_b32_e32 v6, 7, v1
	v_ffbh_u32_e32 v9, v6
	v_min_u32_e32 v9, 32, v9
	v_subrev_u32_e32 v10, 28, v9
	v_bfe_u32 v7, v1, 3, 4
	v_lshlrev_b32_e32 v1, v10, v1
	v_sub_u32_e32 v9, 29, v9
	v_and_b32_e32 v1, 7, v1
	v_cmp_eq_u32_e32 vcc, 0, v7
	v_cndmask_b32_e32 v7, v7, v9, vcc
	v_cndmask_b32_e32 v1, v6, v1, vcc
	v_mov_b32_e32 v6, 0x3b800000
	v_lshlrev_b32_e32 v1, 20, v1
	v_and_b32_e32 v5, 0x80000000, v5
	v_lshl_add_u32 v6, v7, 23, v6
	v_or3_b32 v5, v5, v6, v1
.LBB15_179:
	s_or_b64 exec, exec, s[2:3]
.LBB15_180:
	s_mov_b64 s[0:1], -1
.LBB15_181:
	s_branch .LBB15_216
.LBB15_182:
	v_cmp_lt_i16_e32 vcc, 22, v4
	s_cbranch_vccz .LBB15_192
; %bb.183:
	v_cmp_gt_i16_e32 vcc, 24, v4
	s_cbranch_vccnz .LBB15_195
; %bb.184:
	v_cmp_lt_i16_e32 vcc, 24, v4
	s_cbranch_vccz .LBB15_196
; %bb.185:
	global_load_ubyte v1, v[2:3], off
	s_movk_i32 s0, 0x7f
                                        ; implicit-def: $sgpr12
	s_waitcnt vmcnt(0)
	v_cmp_lt_i16_e32 vcc, s0, v1
	s_mov_b64 s[0:1], 0
	s_and_saveexec_b64 s[2:3], vcc
	s_xor_b64 s[2:3], exec, s[2:3]
	s_cbranch_execz .LBB15_208
; %bb.186:
	s_movk_i32 s0, 0x80
	v_cmp_eq_u16_e32 vcc, s0, v1
	s_mov_b64 s[0:1], -1
                                        ; implicit-def: $sgpr12
	s_and_saveexec_b64 s[10:11], vcc
; %bb.187:
	s_mov_b32 s12, 0x7f800001
	s_xor_b64 s[0:1], exec, -1
; %bb.188:
	s_or_b64 exec, exec, s[10:11]
	s_and_b64 s[0:1], s[0:1], exec
	s_or_saveexec_b64 s[2:3], s[2:3]
	v_mov_b32_e32 v5, s12
	s_xor_b64 exec, exec, s[2:3]
	s_cbranch_execnz .LBB15_209
.LBB15_189:
	s_or_b64 exec, exec, s[2:3]
	s_and_saveexec_b64 s[2:3], s[0:1]
	s_cbranch_execz .LBB15_191
.LBB15_190:
	v_lshlrev_b32_e32 v5, 24, v1
	v_and_b32_e32 v1, 0xffff, v1
	v_and_b32_e32 v6, 3, v1
	v_ffbh_u32_e32 v9, v6
	v_min_u32_e32 v9, 32, v9
	v_subrev_u32_e32 v10, 29, v9
	v_bfe_u32 v7, v1, 2, 5
	v_lshlrev_b32_e32 v1, v10, v1
	v_sub_u32_e32 v9, 30, v9
	v_and_b32_e32 v1, 3, v1
	v_cmp_eq_u32_e32 vcc, 0, v7
	v_cndmask_b32_e32 v7, v7, v9, vcc
	v_cndmask_b32_e32 v1, v6, v1, vcc
	v_mov_b32_e32 v6, 0x37800000
	v_lshlrev_b32_e32 v1, 21, v1
	v_and_b32_e32 v5, 0x80000000, v5
	v_lshl_add_u32 v6, v7, 23, v6
	v_or3_b32 v5, v5, v6, v1
.LBB15_191:
	s_or_b64 exec, exec, s[2:3]
	s_mov_b64 s[0:1], 0
	s_branch .LBB15_197
.LBB15_192:
	s_mov_b64 s[2:3], -1
                                        ; implicit-def: $vgpr5
	s_branch .LBB15_203
.LBB15_193:
	s_or_saveexec_b64 s[2:3], s[2:3]
	v_mov_b32_e32 v5, s12
	s_xor_b64 exec, exec, s[2:3]
	s_cbranch_execz .LBB15_177
.LBB15_194:
	v_cmp_ne_u16_e32 vcc, 0, v1
	s_andn2_b64 s[0:1], s[0:1], exec
	s_and_b64 s[10:11], vcc, exec
	v_mov_b32_e32 v5, 0
	s_or_b64 s[0:1], s[0:1], s[10:11]
	s_or_b64 exec, exec, s[2:3]
	s_and_saveexec_b64 s[2:3], s[0:1]
	s_cbranch_execnz .LBB15_178
	s_branch .LBB15_179
.LBB15_195:
	s_mov_b64 s[0:1], -1
                                        ; implicit-def: $vgpr5
	s_branch .LBB15_200
.LBB15_196:
	s_mov_b64 s[0:1], -1
                                        ; implicit-def: $vgpr5
.LBB15_197:
	s_and_b64 vcc, exec, s[0:1]
	s_cbranch_vccz .LBB15_199
; %bb.198:
	global_load_ubyte v1, v[2:3], off
	s_mov_b32 s0, 0x7f800000
	s_waitcnt vmcnt(0)
	v_lshlrev_b32_e32 v1, 24, v1
	v_and_b32_e32 v5, 0x7f000000, v1
	v_ffbh_u32_e32 v6, v5
	v_min_u32_e32 v6, 32, v6
	v_sub_u32_e64 v6, v6, 4 clamp
	v_lshlrev_b32_e32 v9, v6, v5
	v_lshlrev_b32_e32 v6, 23, v6
	v_lshrrev_b32_e32 v9, 4, v9
	v_add_u32_e32 v7, 0x1000000, v5
	v_sub_u32_e32 v6, v9, v6
	v_ashrrev_i32_e32 v7, 8, v7
	v_add_u32_e32 v6, 0x3c000000, v6
	v_and_or_b32 v6, v7, s0, v6
	v_cmp_ne_u32_e32 vcc, 0, v5
	v_cndmask_b32_e32 v5, 0, v6, vcc
	s_brev_b32 s0, 1
	v_and_or_b32 v5, v1, s0, v5
.LBB15_199:
	s_mov_b64 s[0:1], 0
.LBB15_200:
	s_andn2_b64 vcc, exec, s[0:1]
	s_cbranch_vccnz .LBB15_202
; %bb.201:
	global_load_ubyte v1, v[2:3], off
	s_movk_i32 s0, 0x7f00
	s_brev_b32 s1, 16
	s_waitcnt vmcnt(0)
	v_lshlrev_b16_e32 v5, 8, v1
	v_lshlrev_b32_e32 v1, 25, v1
	v_lshrrev_b32_e32 v6, 4, v1
	v_and_or_b32 v7, v5, s0, 0.5
	v_or_b32_e32 v6, 0x70000000, v6
	v_add_f32_e32 v7, -0.5, v7
	v_mul_f32_e32 v6, 0x7800000, v6
	v_cmp_gt_u32_e32 vcc, s1, v1
	v_bfe_i32 v5, v5, 0, 16
	v_cndmask_b32_e32 v1, v6, v7, vcc
	s_brev_b32 s0, 1
	v_and_or_b32 v5, v5, s0, v1
.LBB15_202:
	s_mov_b64 s[2:3], 0
	s_mov_b64 s[0:1], -1
.LBB15_203:
	s_andn2_b64 vcc, exec, s[2:3]
	s_cbranch_vccnz .LBB15_216
; %bb.204:
	v_cmp_lt_i16_e32 vcc, 14, v4
	s_cbranch_vccz .LBB15_207
; %bb.205:
	v_cmp_eq_u16_e32 vcc, 15, v4
	s_cbranch_vccz .LBB15_210
; %bb.206:
	global_load_ushort v1, v[2:3], off
	s_mov_b64 s[0:1], -1
	s_mov_b64 s[8:9], 0
	s_waitcnt vmcnt(0)
	v_lshlrev_b32_e32 v5, 16, v1
	s_branch .LBB15_211
.LBB15_207:
	s_mov_b64 s[2:3], -1
                                        ; implicit-def: $vgpr5
	s_branch .LBB15_212
.LBB15_208:
	s_or_saveexec_b64 s[2:3], s[2:3]
	v_mov_b32_e32 v5, s12
	s_xor_b64 exec, exec, s[2:3]
	s_cbranch_execz .LBB15_189
.LBB15_209:
	v_cmp_ne_u16_e32 vcc, 0, v1
	s_andn2_b64 s[0:1], s[0:1], exec
	s_and_b64 s[10:11], vcc, exec
	v_mov_b32_e32 v5, 0
	s_or_b64 s[0:1], s[0:1], s[10:11]
	s_or_b64 exec, exec, s[2:3]
	s_and_saveexec_b64 s[2:3], s[0:1]
	s_cbranch_execnz .LBB15_190
	s_branch .LBB15_191
.LBB15_210:
	s_mov_b64 s[8:9], -1
                                        ; implicit-def: $vgpr5
.LBB15_211:
	s_mov_b64 s[2:3], 0
.LBB15_212:
	s_and_b64 vcc, exec, s[2:3]
	s_cbranch_vccz .LBB15_216
; %bb.213:
	v_cmp_eq_u16_e32 vcc, 11, v4
	s_cbranch_vccz .LBB15_215
; %bb.214:
	global_load_ubyte v1, v[2:3], off
	s_mov_b64 s[0:1], -1
	s_mov_b64 s[8:9], 0
	s_waitcnt vmcnt(0)
	v_cmp_ne_u16_e32 vcc, 0, v1
	v_cndmask_b32_e64 v5, 0, 1.0, vcc
	s_branch .LBB15_216
.LBB15_215:
	s_mov_b64 s[8:9], -1
                                        ; implicit-def: $vgpr5
.LBB15_216:
	s_branch .LBB15_25
.LBB15_217:
	v_cmp_gt_i16_e32 vcc, 5, v4
	s_cbranch_vccnz .LBB15_222
; %bb.218:
	v_cmp_gt_i16_e32 vcc, 8, v4
	s_cbranch_vccnz .LBB15_223
; %bb.219:
	;; [unrolled: 3-line block ×3, first 2 shown]
	v_cmp_lt_i16_e32 vcc, 9, v4
	s_cbranch_vccz .LBB15_225
; %bb.221:
	global_load_dwordx2 v[6:7], v[2:3], off
	s_mov_b64 s[0:1], 0
	s_waitcnt vmcnt(0)
	v_cvt_f32_f64_e32 v5, v[6:7]
	s_branch .LBB15_226
.LBB15_222:
                                        ; implicit-def: $vgpr5
	s_branch .LBB15_244
.LBB15_223:
	s_mov_b64 s[0:1], -1
                                        ; implicit-def: $vgpr5
	s_branch .LBB15_232
.LBB15_224:
	s_mov_b64 s[0:1], -1
                                        ; implicit-def: $vgpr5
	s_branch .LBB15_229
.LBB15_225:
	s_mov_b64 s[0:1], -1
                                        ; implicit-def: $vgpr5
.LBB15_226:
	s_andn2_b64 vcc, exec, s[0:1]
	s_cbranch_vccnz .LBB15_228
; %bb.227:
	global_load_dword v5, v[2:3], off
.LBB15_228:
	s_mov_b64 s[0:1], 0
.LBB15_229:
	s_andn2_b64 vcc, exec, s[0:1]
	s_cbranch_vccnz .LBB15_231
; %bb.230:
	global_load_dword v1, v[2:3], off
	s_waitcnt vmcnt(0)
	v_cvt_f32_f16_e32 v5, v1
.LBB15_231:
	s_mov_b64 s[0:1], 0
.LBB15_232:
	s_andn2_b64 vcc, exec, s[0:1]
	s_cbranch_vccnz .LBB15_243
; %bb.233:
	v_cmp_gt_i16_e32 vcc, 6, v4
	s_cbranch_vccnz .LBB15_236
; %bb.234:
	v_cmp_lt_i16_e32 vcc, 6, v4
	s_cbranch_vccz .LBB15_237
; %bb.235:
	global_load_dwordx2 v[6:7], v[2:3], off
	s_mov_b64 s[0:1], 0
	s_waitcnt vmcnt(0)
	v_cvt_f32_f64_e32 v5, v[6:7]
	s_branch .LBB15_238
.LBB15_236:
	s_mov_b64 s[0:1], -1
                                        ; implicit-def: $vgpr5
	s_branch .LBB15_241
.LBB15_237:
	s_mov_b64 s[0:1], -1
                                        ; implicit-def: $vgpr5
.LBB15_238:
	s_andn2_b64 vcc, exec, s[0:1]
	s_cbranch_vccnz .LBB15_240
; %bb.239:
	global_load_dword v5, v[2:3], off
.LBB15_240:
	s_mov_b64 s[0:1], 0
.LBB15_241:
	s_andn2_b64 vcc, exec, s[0:1]
	s_cbranch_vccnz .LBB15_243
; %bb.242:
	global_load_ushort v1, v[2:3], off
	s_waitcnt vmcnt(0)
	v_cvt_f32_f16_e32 v5, v1
.LBB15_243:
	s_cbranch_execnz .LBB15_263
.LBB15_244:
	v_cmp_gt_i16_e32 vcc, 2, v4
	s_cbranch_vccnz .LBB15_248
; %bb.245:
	v_cmp_gt_i16_e32 vcc, 3, v4
	s_cbranch_vccnz .LBB15_249
; %bb.246:
	v_cmp_lt_i16_e32 vcc, 3, v4
	s_cbranch_vccz .LBB15_250
; %bb.247:
	global_load_dwordx2 v[6:7], v[2:3], off
	s_mov_b64 s[0:1], 0
	s_waitcnt vmcnt(0)
	v_xor_b32_e32 v5, v6, v7
	v_ffbh_i32_e32 v1, v7
	v_ashrrev_i32_e32 v5, 31, v5
	v_add_u32_e32 v1, -1, v1
	v_add_u32_e32 v5, 32, v5
	v_min_u32_e32 v1, v1, v5
	v_lshlrev_b64 v[6:7], v1, v[6:7]
	v_min_u32_e32 v5, 1, v6
	v_or_b32_e32 v5, v7, v5
	v_cvt_f32_i32_e32 v5, v5
	v_sub_u32_e32 v1, 32, v1
	v_ldexp_f32 v5, v5, v1
	s_branch .LBB15_251
.LBB15_248:
	s_mov_b64 s[0:1], -1
                                        ; implicit-def: $vgpr5
	s_branch .LBB15_257
.LBB15_249:
	s_mov_b64 s[0:1], -1
                                        ; implicit-def: $vgpr5
	s_branch .LBB15_254
.LBB15_250:
	s_mov_b64 s[0:1], -1
                                        ; implicit-def: $vgpr5
.LBB15_251:
	s_andn2_b64 vcc, exec, s[0:1]
	s_cbranch_vccnz .LBB15_253
; %bb.252:
	global_load_dword v1, v[2:3], off
	s_waitcnt vmcnt(0)
	v_cvt_f32_i32_e32 v5, v1
.LBB15_253:
	s_mov_b64 s[0:1], 0
.LBB15_254:
	s_andn2_b64 vcc, exec, s[0:1]
	s_cbranch_vccnz .LBB15_256
; %bb.255:
	global_load_sshort v1, v[2:3], off
	s_waitcnt vmcnt(0)
	v_cvt_f32_i32_e32 v5, v1
.LBB15_256:
	s_mov_b64 s[0:1], 0
.LBB15_257:
	s_andn2_b64 vcc, exec, s[0:1]
	s_cbranch_vccnz .LBB15_263
; %bb.258:
	v_cmp_lt_i16_e32 vcc, 0, v4
	s_cbranch_vccz .LBB15_260
; %bb.259:
	global_load_sbyte v1, v[2:3], off
	s_mov_b64 s[0:1], 0
	s_waitcnt vmcnt(0)
	v_cvt_f32_i32_e32 v5, v1
	s_branch .LBB15_261
.LBB15_260:
	s_mov_b64 s[0:1], -1
                                        ; implicit-def: $vgpr5
.LBB15_261:
	s_andn2_b64 vcc, exec, s[0:1]
	s_cbranch_vccnz .LBB15_263
; %bb.262:
	global_load_ubyte v1, v[2:3], off
	s_waitcnt vmcnt(0)
	v_cvt_f32_ubyte0_e32 v5, v1
.LBB15_263:
	s_branch .LBB15_26
.LBB15_264:
	s_mov_b64 s[2:3], 0
.LBB15_265:
	s_mov_b64 s[0:1], 0
                                        ; implicit-def: $vgpr8
.LBB15_266:
	s_and_b64 s[54:55], s[2:3], exec
	s_and_b64 s[56:57], s[8:9], exec
	s_orn2_b64 s[2:3], s[0:1], exec
.LBB15_267:
	s_or_b64 exec, exec, s[58:59]
	s_mov_b64 s[10:11], 0
	s_mov_b64 s[0:1], 0
                                        ; implicit-def: $vgpr2_vgpr3
                                        ; implicit-def: $vgpr0
                                        ; implicit-def: $vgpr1
	s_and_saveexec_b64 s[58:59], s[2:3]
	s_cbranch_execz .LBB15_275
; %bb.268:
	v_cmp_gt_i32_e32 vcc, s74, v8
	s_mov_b64 s[0:1], -1
	s_mov_b64 s[60:61], s[56:57]
	s_mov_b64 s[62:63], s[54:55]
	s_and_saveexec_b64 s[64:65], vcc
	s_cbranch_execz .LBB15_544
; %bb.269:
	s_andn2_b64 vcc, exec, s[40:41]
	s_cbranch_vccnz .LBB15_278
; %bb.270:
	s_mov_b32 s60, 0
	s_andn2_b64 vcc, exec, s[52:53]
	v_mov_b32_e32 v2, 0
	v_mov_b32_e32 v0, 0
	s_cbranch_vccnz .LBB15_284
; %bb.271:
	s_add_i32 s68, s75, 1
	s_cmp_eq_u32 s76, 2
	s_cbranch_scc1 .LBB15_279
; %bb.272:
	s_and_b32 s60, s68, 28
	s_mov_b32 s61, 0
	v_mov_b32_e32 v0, 0
	s_mov_b64 s[62:63], s[34:35]
	s_mov_b64 s[66:67], s[50:51]
	v_mov_b32_e32 v3, v8
	v_mov_b32_e32 v2, 0
.LBB15_273:                             ; =>This Inner Loop Header: Depth=1
	s_load_dwordx8 s[16:23], s[62:63], 0x4
	s_load_dwordx4 s[0:3], s[62:63], 0x24
	s_load_dwordx8 s[8:15], s[66:67], 0x0
	s_add_u32 s62, s62, 48
	s_addc_u32 s63, s63, 0
	s_waitcnt lgkmcnt(0)
	v_mul_hi_u32 v1, s17, v3
	v_add_u32_e32 v1, v3, v1
	v_lshrrev_b32_e32 v1, s18, v1
	s_waitcnt vmcnt(0)
	v_mul_lo_u32 v5, v1, s16
	v_mul_hi_u32 v6, s20, v1
	v_sub_u32_e32 v3, v3, v5
	v_add_u32_e32 v5, v1, v6
	v_lshrrev_b32_e32 v5, s21, v5
	v_mul_lo_u32 v7, v5, s19
	v_mul_hi_u32 v9, s23, v5
	v_sub_u32_e32 v1, v1, v7
	v_add_u32_e32 v7, v5, v9
	v_mul_lo_u32 v6, v3, s9
	v_mul_lo_u32 v3, v3, s8
	;; [unrolled: 1-line block ×4, first 2 shown]
	v_lshrrev_b32_e32 v7, s0, v7
	v_add3_u32 v0, v3, v0, v1
	v_mul_hi_u32 v3, s2, v7
	v_add_u32_e32 v3, v7, v3
	v_lshrrev_b32_e32 v3, s3, v3
	s_add_i32 s61, s61, 4
	v_add3_u32 v1, v6, v2, v9
	v_mul_lo_u32 v2, v7, s22
	v_mul_lo_u32 v6, v3, s1
	s_add_u32 s66, s66, 32
	v_sub_u32_e32 v2, v5, v2
	v_sub_u32_e32 v6, v7, v6
	s_addc_u32 s67, s67, 0
	v_mul_lo_u32 v5, v2, s12
	v_mul_lo_u32 v2, v2, s13
	;; [unrolled: 1-line block ×4, first 2 shown]
	s_cmp_eq_u32 s60, s61
	v_add3_u32 v2, v2, v1, v6
	v_add3_u32 v0, v5, v0, v7
	s_cbranch_scc0 .LBB15_273
; %bb.274:
	v_mov_b32_e32 v1, v2
	s_branch .LBB15_280
.LBB15_275:
	s_or_b64 exec, exec, s[58:59]
	s_mov_b64 s[8:9], 0
	s_and_saveexec_b64 s[2:3], s[56:57]
	s_cbranch_execnz .LBB15_922
.LBB15_276:
	s_or_b64 exec, exec, s[2:3]
	s_and_saveexec_b64 s[2:3], s[62:63]
	s_xor_b64 s[2:3], exec, s[2:3]
	s_cbranch_execz .LBB15_923
.LBB15_277:
	global_load_ubyte v1, v[2:3], off
	s_or_b64 s[0:1], s[0:1], exec
	s_waitcnt vmcnt(0)
	v_cmp_ne_u16_e32 vcc, 0, v1
	v_cndmask_b32_e64 v1, 0, 1.0, vcc
	s_or_b64 exec, exec, s[2:3]
	s_and_saveexec_b64 s[2:3], s[10:11]
	s_cbranch_execz .LBB15_969
	s_branch .LBB15_924
.LBB15_278:
                                        ; implicit-def: $vgpr2
                                        ; implicit-def: $vgpr0
	s_andn2_b64 vcc, exec, s[0:1]
	s_cbranch_vccz .LBB15_285
	s_branch .LBB15_287
.LBB15_279:
	s_mov_b32 s61, s60
	v_pk_mov_b32 v[0:1], s[60:61], s[60:61] op_sel:[0,1]
                                        ; implicit-def: $vgpr2
	v_mov_b32_e32 v3, v8
.LBB15_280:
	s_and_b32 s8, s68, 3
	s_cmp_eq_u32 s8, 0
	s_cbranch_scc1 .LBB15_284
; %bb.281:
	s_lshl_b32 s0, s60, 3
	s_add_u32 s0, s0, s34
	s_addc_u32 s1, s35, 0
	s_add_u32 s0, s0, 0xc4
	s_addc_u32 s1, s1, 0
	s_mul_i32 s2, s60, 12
	s_add_u32 s2, s34, s2
	s_addc_u32 s3, s35, 0
.LBB15_282:                             ; =>This Inner Loop Header: Depth=1
	s_load_dwordx2 s[10:11], s[2:3], 0x4
	s_load_dword s9, s[2:3], 0xc
	s_load_dwordx2 s[12:13], s[0:1], 0x0
	v_mov_b32_e32 v2, v1
	s_add_u32 s2, s2, 12
	s_waitcnt lgkmcnt(0)
	v_mul_hi_u32 v1, s11, v3
	v_add_u32_e32 v1, v3, v1
	v_lshrrev_b32_e32 v1, s9, v1
	s_addc_u32 s3, s3, 0
	s_waitcnt vmcnt(0)
	v_mul_lo_u32 v5, v1, s10
	s_add_u32 s0, s0, 8
	v_sub_u32_e32 v5, v3, v5
	v_mov_b32_e32 v3, v1
	s_addc_u32 s1, s1, 0
	s_add_i32 s8, s8, -1
	v_mad_u64_u32 v[6:7], s[10:11], v5, s13, v[2:3]
	v_mad_u64_u32 v[0:1], s[10:11], v5, s12, v[0:1]
	s_cmp_lg_u32 s8, 0
	v_mov_b32_e32 v1, v6
	s_cbranch_scc1 .LBB15_282
; %bb.283:
	v_mov_b32_e32 v2, v1
.LBB15_284:
	s_cbranch_execnz .LBB15_287
.LBB15_285:
	v_mul_hi_u32 v0, s29, v8
	v_add_u32_e32 v0, v8, v0
	v_lshrrev_b32_e32 v1, s30, v0
	v_mul_lo_u32 v0, v1, s28
	v_sub_u32_e32 v0, v8, v0
	v_mul_lo_u32 v2, v0, s37
	s_andn2_b64 vcc, exec, s[48:49]
	v_mul_lo_u32 v0, v0, s36
	s_cbranch_vccnz .LBB15_287
; %bb.286:
	v_mul_hi_u32 v3, s46, v1
	v_add_u32_e32 v3, v1, v3
	v_lshrrev_b32_e32 v3, s47, v3
	v_mul_lo_u32 v3, v3, s31
	v_sub_u32_e32 v3, v1, v3
	v_mad_u64_u32 v[0:1], s[0:1], v3, s38, v[0:1]
	v_mad_u64_u32 v[2:3], s[0:1], v3, s39, v[2:3]
.LBB15_287:
	v_mov_b32_e32 v1, s27
	v_add_co_u32_e32 v2, vcc, s26, v2
	v_addc_co_u32_e32 v3, vcc, 0, v1, vcc
	v_cmp_gt_i16_e32 vcc, 11, v4
	s_cbranch_vccnz .LBB15_294
; %bb.288:
	v_cmp_lt_i16_e32 vcc, 25, v4
	s_cbranch_vccz .LBB15_303
; %bb.289:
	v_cmp_lt_i16_e32 vcc, 28, v4
	s_cbranch_vccz .LBB15_305
	;; [unrolled: 3-line block ×4, first 2 shown]
; %bb.292:
	v_cmp_eq_u16_e32 vcc, 46, v4
	s_mov_b64 s[2:3], 0
	s_cbranch_vccz .LBB15_315
; %bb.293:
	global_load_dword v1, v[2:3], off
	s_mov_b64 s[0:1], -1
	s_mov_b64 s[8:9], 0
	s_waitcnt vmcnt(0)
	v_lshlrev_b32_e32 v5, 16, v1
	s_branch .LBB15_316
.LBB15_294:
	s_mov_b64 s[0:1], 0
                                        ; implicit-def: $vgpr5
	s_mov_b64 s[8:9], s[56:57]
	s_cbranch_execnz .LBB15_493
.LBB15_295:
	s_andn2_b64 vcc, exec, s[0:1]
	s_cbranch_vccnz .LBB15_541
.LBB15_296:
	s_waitcnt vmcnt(0)
	v_cmp_nge_f32_e64 s[0:1], v5, -s44
	v_cmp_nge_f32_e32 vcc, s44, v5
	s_or_b64 s[0:1], s[0:1], vcc
	v_mov_b32_e32 v1, s25
	v_add_co_u32_e32 v0, vcc, s24, v0
	v_mov_b32_e32 v3, 11
	v_addc_co_u32_e32 v1, vcc, 0, v1, vcc
	v_cmp_lt_i16_sdwa s[2:3], s45, v3 src0_sel:BYTE_0 src1_sel:DWORD
	v_cndmask_b32_e64 v2, 0, v5, s[0:1]
	s_and_b64 vcc, exec, s[2:3]
	s_cbranch_vccnz .LBB15_304
; %bb.297:
	v_mov_b32_e32 v3, 25
	v_cmp_gt_i16_sdwa s[2:3], s45, v3 src0_sel:BYTE_0 src1_sel:DWORD
	s_and_b64 vcc, exec, s[2:3]
	s_cbranch_vccz .LBB15_306
; %bb.298:
	v_mov_b32_e32 v3, 28
	v_cmp_gt_i16_sdwa s[2:3], s45, v3 src0_sel:BYTE_0 src1_sel:DWORD
	s_and_b64 vcc, exec, s[2:3]
	s_cbranch_vccz .LBB15_308
	;; [unrolled: 5-line block ×4, first 2 shown]
; %bb.301:
	v_mov_b32_e32 v3, 46
	v_cmp_eq_u16_sdwa s[10:11], s45, v3 src0_sel:BYTE_0 src1_sel:DWORD
	s_mov_b64 s[12:13], 0
	s_mov_b64 s[2:3], -1
	s_and_b64 vcc, exec, s[10:11]
	s_mov_b64 s[10:11], 0
	s_cbranch_vccz .LBB15_320
; %bb.302:
	v_bfe_u32 v3, v2, 16, 1
	s_movk_i32 s2, 0x7fff
	v_add3_u32 v3, v2, v3, s2
	v_lshrrev_b32_e32 v3, 16, v3
	v_mov_b32_e32 v6, 0x7fc0
	v_cmp_o_f32_e32 vcc, v2, v2
	v_cndmask_b32_e32 v3, v6, v3, vcc
	global_store_dword v[0:1], v3, off
	s_mov_b64 s[10:11], -1
	s_mov_b64 s[2:3], 0
	s_branch .LBB15_320
.LBB15_303:
	s_mov_b64 s[2:3], -1
	s_mov_b64 s[0:1], 0
	s_mov_b64 s[8:9], s[56:57]
                                        ; implicit-def: $vgpr5
	s_branch .LBB15_457
.LBB15_304:
	s_mov_b64 s[0:1], -1
	s_mov_b64 s[10:11], 0
	s_mov_b64 s[2:3], s[54:55]
	s_branch .LBB15_389
.LBB15_305:
	s_mov_b64 s[2:3], -1
	s_mov_b64 s[0:1], 0
	s_mov_b64 s[8:9], s[56:57]
                                        ; implicit-def: $vgpr5
	s_branch .LBB15_438
.LBB15_306:
	s_mov_b64 s[12:13], -1
	s_mov_b64 s[10:11], 0
	s_mov_b64 s[2:3], s[54:55]
	s_branch .LBB15_347
.LBB15_307:
	s_mov_b64 s[2:3], -1
	s_mov_b64 s[0:1], 0
	s_mov_b64 s[8:9], s[56:57]
                                        ; implicit-def: $vgpr5
	s_branch .LBB15_433
.LBB15_308:
	s_mov_b64 s[12:13], -1
	s_mov_b64 s[10:11], 0
	s_mov_b64 s[2:3], s[54:55]
	s_branch .LBB15_330
.LBB15_309:
	s_or_saveexec_b64 s[14:15], s[14:15]
                                        ; implicit-def: $sgpr16
	s_xor_b64 exec, exec, s[14:15]
	s_cbranch_execz .LBB15_69
.LBB15_310:
	v_add_f32_e32 v3, 0x46000000, v6
	v_and_b32_e32 v3, 0xff, v3
	v_cmp_ne_u32_e32 vcc, 0, v3
	s_andn2_b64 s[12:13], s[12:13], exec
	s_and_b64 s[18:19], vcc, exec
	s_mov_b32 s16, 0
	s_or_b64 s[12:13], s[12:13], s[18:19]
	s_or_b64 exec, exec, s[14:15]
	v_mov_b32_e32 v7, s16
	s_and_saveexec_b64 s[14:15], s[12:13]
	s_cbranch_execnz .LBB15_70
	s_branch .LBB15_71
.LBB15_311:
	s_mov_b64 s[2:3], -1
	s_mov_b64 s[0:1], 0
	s_mov_b64 s[8:9], s[56:57]
                                        ; implicit-def: $vgpr5
	s_branch .LBB15_316
.LBB15_312:
	s_mov_b64 s[12:13], -1
	s_mov_b64 s[10:11], 0
	s_mov_b64 s[2:3], s[54:55]
	s_branch .LBB15_326
.LBB15_313:
	s_or_saveexec_b64 s[14:15], s[14:15]
                                        ; implicit-def: $sgpr16
	s_xor_b64 exec, exec, s[14:15]
	s_cbranch_execz .LBB15_82
.LBB15_314:
	v_add_f32_e32 v3, 0x42800000, v6
	v_and_b32_e32 v3, 0xff, v3
	v_cmp_ne_u32_e32 vcc, 0, v3
	s_andn2_b64 s[12:13], s[12:13], exec
	s_and_b64 s[18:19], vcc, exec
	s_mov_b32 s16, 0
	s_or_b64 s[12:13], s[12:13], s[18:19]
	s_or_b64 exec, exec, s[14:15]
	v_mov_b32_e32 v7, s16
	s_and_saveexec_b64 s[14:15], s[12:13]
	s_cbranch_execnz .LBB15_83
	s_branch .LBB15_84
.LBB15_315:
	s_mov_b64 s[8:9], -1
                                        ; implicit-def: $vgpr5
	s_mov_b64 s[0:1], 0
.LBB15_316:
	s_and_b64 vcc, exec, s[2:3]
	s_cbranch_vccz .LBB15_432
; %bb.317:
	v_cmp_eq_u16_e32 vcc, 44, v4
	s_cbranch_vccz .LBB15_431
; %bb.318:
	global_load_ubyte v1, v[2:3], off
	s_movk_i32 s2, 0xff
	s_waitcnt vmcnt(1)
	v_mov_b32_e32 v5, 0x7f800001
	v_mov_b32_e32 v6, 0x400000
	s_mov_b64 s[0:1], -1
	s_mov_b64 s[8:9], 0
	s_waitcnt vmcnt(0)
	v_lshlrev_b32_e32 v7, 23, v1
	v_cmp_ne_u32_e32 vcc, s2, v1
	v_cndmask_b32_e32 v5, v5, v7, vcc
	v_cmp_ne_u32_e32 vcc, 0, v1
	v_cndmask_b32_e32 v5, v6, v5, vcc
	s_branch .LBB15_432
.LBB15_319:
	s_mov_b64 s[12:13], -1
	s_mov_b64 s[10:11], 0
	s_mov_b64 s[2:3], s[54:55]
.LBB15_320:
	s_and_b64 vcc, exec, s[12:13]
	s_cbranch_vccz .LBB15_325
; %bb.321:
	v_mov_b32_e32 v3, 44
	v_cmp_eq_u16_sdwa s[12:13], s45, v3 src0_sel:BYTE_0 src1_sel:DWORD
	s_mov_b64 s[2:3], -1
	s_and_b64 vcc, exec, s[12:13]
	s_cbranch_vccz .LBB15_325
; %bb.322:
	v_bfe_u32 v3, v2, 23, 8
	s_movk_i32 s2, 0xff
	v_cmp_ne_u32_e32 vcc, s2, v3
	v_mov_b32_e32 v6, 0xff
	s_and_saveexec_b64 s[10:11], vcc
; %bb.323:
	s_mov_b32 s2, 0x3fffff
	v_and_b32_e32 v7, 0x400000, v2
	v_and_or_b32 v3, v2, s2, v3
	v_cmp_ne_u32_e32 vcc, 0, v7
	v_cmp_ne_u32_e64 s[2:3], 0, v3
	s_and_b64 s[2:3], vcc, s[2:3]
	v_lshrrev_b32_e32 v6, 23, v2
	v_cndmask_b32_e64 v3, 0, 1, s[2:3]
	v_add_u32_e32 v6, v6, v3
; %bb.324:
	s_or_b64 exec, exec, s[10:11]
	s_mov_b64 s[10:11], -1
	s_mov_b64 s[2:3], 0
	global_store_byte v[0:1], v6, off
.LBB15_325:
	s_mov_b64 s[12:13], 0
.LBB15_326:
	s_and_b64 vcc, exec, s[12:13]
	s_cbranch_vccz .LBB15_329
; %bb.327:
	v_mov_b32_e32 v3, 29
	v_cmp_eq_u16_sdwa s[12:13], s45, v3 src0_sel:BYTE_0 src1_sel:DWORD
	s_mov_b64 s[2:3], -1
	s_and_b64 vcc, exec, s[12:13]
	s_cbranch_vccz .LBB15_329
; %bb.328:
	v_trunc_f32_e32 v3, v2
	v_mul_f32_e32 v6, 0x2f800000, v3
	v_floor_f32_e32 v6, v6
	v_fmac_f32_e32 v3, 0xcf800000, v6
	v_cvt_u32_f32_e32 v7, v6
	v_cvt_u32_f32_e32 v6, v3
	s_mov_b64 s[10:11], -1
	s_mov_b64 s[2:3], 0
	s_mov_b64 s[12:13], 0
	global_store_dwordx2 v[0:1], v[6:7], off
	s_branch .LBB15_330
.LBB15_329:
	s_mov_b64 s[12:13], 0
.LBB15_330:
	s_and_b64 vcc, exec, s[12:13]
	s_cbranch_vccz .LBB15_346
; %bb.331:
	v_mov_b32_e32 v3, 27
	v_cmp_lt_i16_sdwa s[12:13], s45, v3 src0_sel:BYTE_0 src1_sel:DWORD
	s_mov_b64 s[10:11], -1
	s_and_b64 vcc, exec, s[12:13]
	s_cbranch_vccnz .LBB15_337
; %bb.332:
	v_cmp_gt_i16_sdwa s[12:13], s45, v3 src0_sel:BYTE_0 src1_sel:DWORD
	v_cvt_u32_f32_e32 v3, v2
	s_and_b64 vcc, exec, s[12:13]
	s_cbranch_vccz .LBB15_334
; %bb.333:
	s_mov_b64 s[10:11], 0
	global_store_dword v[0:1], v3, off
.LBB15_334:
	s_andn2_b64 vcc, exec, s[10:11]
	s_cbranch_vccnz .LBB15_336
; %bb.335:
	global_store_short v[0:1], v3, off
.LBB15_336:
	s_mov_b64 s[10:11], 0
.LBB15_337:
	s_andn2_b64 vcc, exec, s[10:11]
	s_cbranch_vccnz .LBB15_345
; %bb.338:
	v_cndmask_b32_e64 v6, 0, |v5|, s[0:1]
	s_mov_b32 s10, 0x43800000
	v_cmp_gt_u32_e32 vcc, s10, v6
	v_mov_b32_e32 v7, 0x80
	s_and_saveexec_b64 s[10:11], vcc
	s_cbranch_execz .LBB15_344
; %bb.339:
	s_mov_b32 s12, 0x3bffffff
	v_cmp_lt_u32_e32 vcc, s12, v6
	s_mov_b64 s[12:13], 0
                                        ; implicit-def: $vgpr3
	s_and_saveexec_b64 s[14:15], vcc
	s_xor_b64 s[14:15], exec, s[14:15]
	s_cbranch_execz .LBB15_573
; %bb.340:
	v_bfe_u32 v3, v2, 20, 1
	s_mov_b32 s16, 0x487ffff
	v_add3_u32 v3, v2, v3, s16
	s_mov_b64 s[12:13], exec
	v_lshrrev_b32_e32 v3, 20, v3
                                        ; implicit-def: $vgpr6
	s_or_saveexec_b64 s[14:15], s[14:15]
                                        ; implicit-def: $sgpr16
	s_xor_b64 exec, exec, s[14:15]
	s_cbranch_execnz .LBB15_574
.LBB15_341:
	s_or_b64 exec, exec, s[14:15]
	v_mov_b32_e32 v7, s16
	s_and_saveexec_b64 s[14:15], s[12:13]
.LBB15_342:
	v_lshrrev_b32_e32 v6, 24, v2
	s_movk_i32 s12, 0x80
	v_and_or_b32 v7, v6, s12, v3
.LBB15_343:
	s_or_b64 exec, exec, s[14:15]
.LBB15_344:
	s_or_b64 exec, exec, s[10:11]
	global_store_byte v[0:1], v7, off
.LBB15_345:
	s_mov_b64 s[10:11], -1
.LBB15_346:
	s_mov_b64 s[12:13], 0
.LBB15_347:
	s_and_b64 vcc, exec, s[12:13]
	s_cbranch_vccz .LBB15_388
; %bb.348:
	v_mov_b32_e32 v3, 22
	v_cmp_gt_i16_sdwa s[14:15], s45, v3 src0_sel:BYTE_0 src1_sel:DWORD
	s_mov_b64 s[12:13], -1
	s_and_b64 vcc, exec, s[14:15]
	s_cbranch_vccz .LBB15_380
; %bb.349:
	v_mov_b32_e32 v3, 24
	v_cmp_lt_i16_sdwa s[12:13], s45, v3 src0_sel:BYTE_0 src1_sel:DWORD
	s_mov_b64 s[10:11], -1
	s_and_b64 vcc, exec, s[12:13]
	s_cbranch_vccnz .LBB15_369
; %bb.350:
	v_cmp_gt_i16_sdwa s[12:13], s45, v3 src0_sel:BYTE_0 src1_sel:DWORD
	s_and_b64 vcc, exec, s[12:13]
	s_cbranch_vccz .LBB15_358
; %bb.351:
	v_cndmask_b32_e64 v6, 0, |v5|, s[0:1]
	s_mov_b32 s10, 0x47800000
	v_cmp_gt_u32_e32 vcc, s10, v6
	v_mov_b32_e32 v7, 0x80
	s_and_saveexec_b64 s[10:11], vcc
	s_cbranch_execz .LBB15_357
; %bb.352:
	s_mov_b32 s12, 0x37ffffff
	v_cmp_lt_u32_e32 vcc, s12, v6
	s_mov_b64 s[12:13], 0
                                        ; implicit-def: $vgpr3
	s_and_saveexec_b64 s[14:15], vcc
	s_xor_b64 s[14:15], exec, s[14:15]
	s_cbranch_execz .LBB15_576
; %bb.353:
	v_bfe_u32 v3, v2, 21, 1
	s_mov_b32 s16, 0x88fffff
	v_add3_u32 v3, v2, v3, s16
	s_mov_b64 s[12:13], exec
	v_lshrrev_b32_e32 v3, 21, v3
                                        ; implicit-def: $vgpr6
	s_or_saveexec_b64 s[14:15], s[14:15]
                                        ; implicit-def: $sgpr16
	s_xor_b64 exec, exec, s[14:15]
	s_cbranch_execnz .LBB15_577
.LBB15_354:
	s_or_b64 exec, exec, s[14:15]
	v_mov_b32_e32 v7, s16
	s_and_saveexec_b64 s[14:15], s[12:13]
.LBB15_355:
	v_lshrrev_b32_e32 v6, 24, v2
	s_movk_i32 s12, 0x80
	v_and_or_b32 v7, v6, s12, v3
.LBB15_356:
	s_or_b64 exec, exec, s[14:15]
.LBB15_357:
	s_or_b64 exec, exec, s[10:11]
	s_mov_b64 s[10:11], 0
	global_store_byte v[0:1], v7, off
.LBB15_358:
	s_and_b64 vcc, exec, s[10:11]
	s_cbranch_vccz .LBB15_368
; %bb.359:
	v_cndmask_b32_e64 v6, 0, |v5|, s[0:1]
	s_mov_b32 s10, 0x43f00000
	v_cmp_gt_u32_e32 vcc, s10, v6
                                        ; implicit-def: $vgpr3
	s_and_saveexec_b64 s[10:11], vcc
	s_xor_b64 s[10:11], exec, s[10:11]
	s_cbranch_execz .LBB15_365
; %bb.360:
	s_mov_b32 s12, 0x3c7fffff
	v_cmp_lt_u32_e32 vcc, s12, v6
                                        ; implicit-def: $vgpr3
	s_and_saveexec_b64 s[12:13], vcc
	s_xor_b64 s[12:13], exec, s[12:13]
; %bb.361:
	v_bfe_u32 v3, v2, 20, 1
	s_mov_b32 s14, 0x407ffff
	v_add3_u32 v3, v2, v3, s14
	v_lshrrev_b32_e32 v6, 20, v3
	v_and_b32_e32 v3, 0xff00000, v3
	s_mov_b32 s14, 0x7f00000
	v_mov_b32_e32 v7, 0x7e
	v_cmp_ne_u32_e32 vcc, s14, v3
	v_cndmask_b32_e32 v3, v7, v6, vcc
                                        ; implicit-def: $vgpr6
; %bb.362:
	s_andn2_saveexec_b64 s[12:13], s[12:13]
; %bb.363:
	v_add_f32_e32 v3, 0x46800000, v6
; %bb.364:
	s_or_b64 exec, exec, s[12:13]
                                        ; implicit-def: $vgpr6
.LBB15_365:
	s_andn2_saveexec_b64 s[10:11], s[10:11]
; %bb.366:
	s_mov_b32 s12, 0x7f800000
	v_mov_b32_e32 v3, 0x7e
	v_mov_b32_e32 v7, 0x7f
	v_cmp_lt_u32_e32 vcc, s12, v6
	v_cndmask_b32_e32 v3, v3, v7, vcc
; %bb.367:
	s_or_b64 exec, exec, s[10:11]
	v_lshrrev_b32_e32 v6, 24, v2
	s_movk_i32 s10, 0x80
	v_and_or_b32 v3, v6, s10, v3
	global_store_byte v[0:1], v3, off
.LBB15_368:
	s_mov_b64 s[10:11], 0
.LBB15_369:
	s_andn2_b64 vcc, exec, s[10:11]
	s_cbranch_vccnz .LBB15_379
; %bb.370:
	v_cndmask_b32_e64 v5, 0, |v5|, s[0:1]
	s_mov_b32 s0, 0x47800000
	v_cmp_gt_u32_e32 vcc, s0, v5
                                        ; implicit-def: $vgpr3
	s_and_saveexec_b64 s[0:1], vcc
	s_xor_b64 s[0:1], exec, s[0:1]
	s_cbranch_execz .LBB15_376
; %bb.371:
	s_mov_b32 s10, 0x387fffff
	v_cmp_lt_u32_e32 vcc, s10, v5
                                        ; implicit-def: $vgpr3
	s_and_saveexec_b64 s[10:11], vcc
	s_xor_b64 s[10:11], exec, s[10:11]
; %bb.372:
	v_bfe_u32 v3, v2, 21, 1
	s_mov_b32 s12, 0x80fffff
	v_add3_u32 v3, v2, v3, s12
	v_lshrrev_b32_e32 v3, 21, v3
                                        ; implicit-def: $vgpr5
; %bb.373:
	s_andn2_saveexec_b64 s[10:11], s[10:11]
; %bb.374:
	v_add_f32_e32 v3, 0x43000000, v5
; %bb.375:
	s_or_b64 exec, exec, s[10:11]
                                        ; implicit-def: $vgpr5
.LBB15_376:
	s_andn2_saveexec_b64 s[0:1], s[0:1]
; %bb.377:
	s_mov_b32 s10, 0x7f800000
	v_mov_b32_e32 v3, 0x7c
	v_mov_b32_e32 v6, 0x7f
	v_cmp_lt_u32_e32 vcc, s10, v5
	v_cndmask_b32_e32 v3, v3, v6, vcc
; %bb.378:
	s_or_b64 exec, exec, s[0:1]
	v_lshrrev_b32_e32 v5, 24, v2
	s_movk_i32 s0, 0x80
	v_and_or_b32 v3, v5, s0, v3
	global_store_byte v[0:1], v3, off
.LBB15_379:
	s_mov_b64 s[12:13], 0
	s_mov_b64 s[10:11], -1
.LBB15_380:
	s_andn2_b64 vcc, exec, s[12:13]
	s_cbranch_vccnz .LBB15_388
; %bb.381:
	v_mov_b32_e32 v3, 14
	v_cmp_gt_i16_sdwa s[12:13], s45, v3 src0_sel:BYTE_0 src1_sel:DWORD
	s_mov_b64 s[0:1], -1
	s_and_b64 vcc, exec, s[12:13]
	s_cbranch_vccz .LBB15_385
; %bb.382:
	v_mov_b32_e32 v3, 15
	v_cmp_eq_u16_sdwa s[0:1], s45, v3 src0_sel:BYTE_0 src1_sel:DWORD
	s_mov_b64 s[2:3], -1
	s_and_b64 vcc, exec, s[0:1]
	s_cbranch_vccz .LBB15_384
; %bb.383:
	v_bfe_u32 v3, v2, 16, 1
	s_movk_i32 s0, 0x7fff
	v_add3_u32 v3, v2, v3, s0
	v_lshrrev_b32_e32 v3, 16, v3
	v_mov_b32_e32 v5, 0x7fc0
	v_cmp_o_f32_e32 vcc, v2, v2
	v_cndmask_b32_e32 v3, v5, v3, vcc
	global_store_short v[0:1], v3, off
	s_mov_b64 s[10:11], -1
	s_mov_b64 s[2:3], 0
.LBB15_384:
	s_mov_b64 s[0:1], 0
.LBB15_385:
	s_and_b64 vcc, exec, s[0:1]
	s_cbranch_vccz .LBB15_388
; %bb.386:
	v_mov_b32_e32 v3, 11
	v_cmp_eq_u16_sdwa s[0:1], s45, v3 src0_sel:BYTE_0 src1_sel:DWORD
	s_mov_b64 s[2:3], -1
	s_and_b64 vcc, exec, s[0:1]
	s_cbranch_vccz .LBB15_388
; %bb.387:
	v_cmp_neq_f32_e32 vcc, 0, v2
	v_cndmask_b32_e64 v3, 0, 1, vcc
	s_mov_b64 s[10:11], -1
	s_mov_b64 s[2:3], 0
	global_store_byte v[0:1], v3, off
.LBB15_388:
	s_mov_b64 s[0:1], 0
.LBB15_389:
	s_and_b64 vcc, exec, s[0:1]
	s_cbranch_vccz .LBB15_428
; %bb.390:
	v_mov_b32_e32 v3, 5
	v_cmp_lt_i16_sdwa s[10:11], s45, v3 src0_sel:BYTE_0 src1_sel:DWORD
	s_mov_b64 s[0:1], -1
	s_and_b64 vcc, exec, s[10:11]
	s_cbranch_vccnz .LBB15_411
; %bb.391:
	v_mov_b32_e32 v3, 8
	v_cmp_lt_i16_sdwa s[10:11], s45, v3 src0_sel:BYTE_0 src1_sel:DWORD
	s_and_b64 vcc, exec, s[10:11]
	s_cbranch_vccnz .LBB15_401
; %bb.392:
	v_mov_b32_e32 v3, 9
	v_cmp_lt_i16_sdwa s[10:11], s45, v3 src0_sel:BYTE_0 src1_sel:DWORD
	s_and_b64 vcc, exec, s[10:11]
	s_cbranch_vccnz .LBB15_398
; %bb.393:
	v_cmp_gt_i16_sdwa s[10:11], s45, v3 src0_sel:BYTE_0 src1_sel:DWORD
	s_and_b64 vcc, exec, s[10:11]
	s_cbranch_vccz .LBB15_395
; %bb.394:
	v_mov_b32_e32 v12, 0
	v_cvt_f64_f32_e32 v[10:11], v2
	v_mov_b32_e32 v13, v12
	s_mov_b64 s[0:1], 0
	global_store_dwordx4 v[0:1], v[10:13], off
.LBB15_395:
	s_andn2_b64 vcc, exec, s[0:1]
	s_cbranch_vccnz .LBB15_397
; %bb.396:
	v_mov_b32_e32 v3, 0
	global_store_dwordx2 v[0:1], v[2:3], off
.LBB15_397:
	s_mov_b64 s[0:1], 0
.LBB15_398:
	s_andn2_b64 vcc, exec, s[0:1]
	s_cbranch_vccnz .LBB15_400
; %bb.399:
	v_cvt_f16_f32_e32 v3, v2
	global_store_dword v[0:1], v3, off
.LBB15_400:
	s_mov_b64 s[0:1], 0
.LBB15_401:
	s_andn2_b64 vcc, exec, s[0:1]
	s_cbranch_vccnz .LBB15_410
; %bb.402:
	v_mov_b32_e32 v3, 6
	v_cmp_lt_i16_sdwa s[10:11], s45, v3 src0_sel:BYTE_0 src1_sel:DWORD
	s_mov_b64 s[0:1], -1
	s_and_b64 vcc, exec, s[10:11]
	s_cbranch_vccnz .LBB15_408
; %bb.403:
	v_cmp_gt_i16_sdwa s[10:11], s45, v3 src0_sel:BYTE_0 src1_sel:DWORD
	s_and_b64 vcc, exec, s[10:11]
	s_cbranch_vccz .LBB15_405
; %bb.404:
	v_cvt_f64_f32_e32 v[6:7], v2
	s_mov_b64 s[0:1], 0
	global_store_dwordx2 v[0:1], v[6:7], off
.LBB15_405:
	s_andn2_b64 vcc, exec, s[0:1]
	s_cbranch_vccnz .LBB15_407
; %bb.406:
	global_store_dword v[0:1], v2, off
.LBB15_407:
	s_mov_b64 s[0:1], 0
.LBB15_408:
	s_andn2_b64 vcc, exec, s[0:1]
	s_cbranch_vccnz .LBB15_410
; %bb.409:
	v_cvt_f16_f32_e32 v3, v2
	global_store_short v[0:1], v3, off
.LBB15_410:
	s_mov_b64 s[0:1], 0
.LBB15_411:
	s_andn2_b64 vcc, exec, s[0:1]
	s_cbranch_vccnz .LBB15_427
; %bb.412:
	v_mov_b32_e32 v3, 2
	v_cmp_lt_i16_sdwa s[10:11], s45, v3 src0_sel:BYTE_0 src1_sel:DWORD
	s_mov_b64 s[0:1], -1
	s_and_b64 vcc, exec, s[10:11]
	s_cbranch_vccnz .LBB15_422
; %bb.413:
	v_mov_b32_e32 v3, 3
	v_cmp_lt_i16_sdwa s[10:11], s45, v3 src0_sel:BYTE_0 src1_sel:DWORD
	s_and_b64 vcc, exec, s[10:11]
	s_cbranch_vccnz .LBB15_419
; %bb.414:
	v_cmp_gt_i16_sdwa s[10:11], s45, v3 src0_sel:BYTE_0 src1_sel:DWORD
	s_and_b64 vcc, exec, s[10:11]
	s_cbranch_vccz .LBB15_416
; %bb.415:
	v_trunc_f32_e32 v3, v2
	s_mov_b32 s0, 0x2f800000
	v_mul_f32_e64 v5, |v3|, s0
	v_floor_f32_e32 v5, v5
	s_mov_b32 s0, 0xcf800000
	v_cvt_u32_f32_e32 v6, v5
	v_fma_f32 v5, v5, s0, |v3|
	v_cvt_u32_f32_e32 v5, v5
	v_ashrrev_i32_e32 v3, 31, v3
	v_xor_b32_e32 v7, v6, v3
	s_mov_b64 s[0:1], 0
	v_xor_b32_e32 v5, v5, v3
	v_sub_co_u32_e32 v6, vcc, v5, v3
	v_subb_co_u32_e32 v7, vcc, v7, v3, vcc
	global_store_dwordx2 v[0:1], v[6:7], off
.LBB15_416:
	s_andn2_b64 vcc, exec, s[0:1]
	s_cbranch_vccnz .LBB15_418
; %bb.417:
	v_cvt_i32_f32_e32 v3, v2
	global_store_dword v[0:1], v3, off
.LBB15_418:
	s_mov_b64 s[0:1], 0
.LBB15_419:
	s_andn2_b64 vcc, exec, s[0:1]
	s_cbranch_vccnz .LBB15_421
; %bb.420:
	v_cvt_i32_f32_e32 v3, v2
	global_store_short v[0:1], v3, off
.LBB15_421:
	s_mov_b64 s[0:1], 0
.LBB15_422:
	s_andn2_b64 vcc, exec, s[0:1]
	s_cbranch_vccnz .LBB15_427
; %bb.423:
	v_mov_b32_e32 v3, 0
	v_cmp_gt_i16_sdwa s[10:11], s45, v3 src0_sel:BYTE_0 src1_sel:DWORD
	s_mov_b64 s[0:1], -1
	s_and_b64 vcc, exec, s[10:11]
	s_cbranch_vccz .LBB15_425
; %bb.424:
	v_cvt_i32_f32_e32 v3, v2
	s_mov_b64 s[0:1], 0
	global_store_byte v[0:1], v3, off
.LBB15_425:
	s_andn2_b64 vcc, exec, s[0:1]
	s_cbranch_vccnz .LBB15_427
; %bb.426:
	v_trunc_f32_e32 v2, v2
	s_mov_b32 s0, 0x2f800000
	v_mul_f32_e64 v3, |v2|, s0
	v_floor_f32_e32 v3, v3
	s_mov_b32 s0, 0xcf800000
	v_fma_f32 v3, v3, s0, |v2|
	v_cvt_u32_f32_e32 v3, v3
	v_ashrrev_i32_e32 v2, 31, v2
	v_xor_b32_e32 v3, v3, v2
	v_sub_u32_e32 v2, v3, v2
	global_store_byte v[0:1], v2, off
.LBB15_427:
	s_mov_b64 s[10:11], -1
.LBB15_428:
	s_andn2_b64 vcc, exec, s[10:11]
	s_cbranch_vccnz .LBB15_430
; %bb.429:
	v_add_u32_e32 v8, 0x80, v8
	s_mov_b64 s[0:1], -1
	s_branch .LBB15_543
.LBB15_430:
	s_mov_b64 s[0:1], 0
	s_branch .LBB15_542
.LBB15_431:
	s_mov_b64 s[8:9], -1
                                        ; implicit-def: $vgpr5
.LBB15_432:
	s_mov_b64 s[2:3], 0
.LBB15_433:
	s_and_b64 vcc, exec, s[2:3]
	s_cbranch_vccz .LBB15_437
; %bb.434:
	v_cmp_eq_u16_e32 vcc, 29, v4
	s_cbranch_vccz .LBB15_436
; %bb.435:
	global_load_dwordx2 v[6:7], v[2:3], off
	s_mov_b64 s[0:1], -1
	s_mov_b64 s[8:9], 0
	s_mov_b64 s[2:3], 0
	s_waitcnt vmcnt(0)
	v_ffbh_u32_e32 v1, v7
	v_min_u32_e32 v1, 32, v1
	v_lshlrev_b64 v[6:7], v1, v[6:7]
	v_min_u32_e32 v5, 1, v6
	v_or_b32_e32 v5, v7, v5
	v_cvt_f32_u32_e32 v5, v5
	v_sub_u32_e32 v1, 32, v1
	v_ldexp_f32 v5, v5, v1
	s_branch .LBB15_438
.LBB15_436:
	s_mov_b64 s[8:9], -1
                                        ; implicit-def: $vgpr5
.LBB15_437:
	s_mov_b64 s[2:3], 0
.LBB15_438:
	s_and_b64 vcc, exec, s[2:3]
	s_cbranch_vccz .LBB15_456
; %bb.439:
	v_cmp_gt_i16_e32 vcc, 27, v4
	s_cbranch_vccnz .LBB15_442
; %bb.440:
	v_cmp_lt_i16_e32 vcc, 27, v4
	s_cbranch_vccz .LBB15_443
; %bb.441:
	global_load_dword v1, v[2:3], off
	s_mov_b64 s[0:1], 0
	s_waitcnt vmcnt(0)
	v_cvt_f32_u32_e32 v5, v1
	s_branch .LBB15_444
.LBB15_442:
	s_mov_b64 s[0:1], -1
                                        ; implicit-def: $vgpr5
	s_branch .LBB15_447
.LBB15_443:
	s_mov_b64 s[0:1], -1
                                        ; implicit-def: $vgpr5
.LBB15_444:
	s_andn2_b64 vcc, exec, s[0:1]
	s_cbranch_vccnz .LBB15_446
; %bb.445:
	global_load_ushort v1, v[2:3], off
	s_waitcnt vmcnt(0)
	v_cvt_f32_u32_e32 v5, v1
.LBB15_446:
	s_mov_b64 s[0:1], 0
.LBB15_447:
	s_andn2_b64 vcc, exec, s[0:1]
	s_cbranch_vccnz .LBB15_455
; %bb.448:
	global_load_ubyte v1, v[2:3], off
	s_movk_i32 s0, 0x7f
                                        ; implicit-def: $sgpr12
	s_waitcnt vmcnt(0)
	v_cmp_lt_i16_e32 vcc, s0, v1
	s_mov_b64 s[0:1], 0
	s_and_saveexec_b64 s[2:3], vcc
	s_xor_b64 s[2:3], exec, s[2:3]
	s_cbranch_execz .LBB15_469
; %bb.449:
	s_movk_i32 s0, 0x80
	v_cmp_eq_u16_e32 vcc, s0, v1
	s_mov_b64 s[0:1], -1
                                        ; implicit-def: $sgpr12
	s_and_saveexec_b64 s[10:11], vcc
; %bb.450:
	s_mov_b32 s12, 0x7f800001
	s_xor_b64 s[0:1], exec, -1
; %bb.451:
	s_or_b64 exec, exec, s[10:11]
	s_and_b64 s[0:1], s[0:1], exec
	s_or_saveexec_b64 s[2:3], s[2:3]
	v_mov_b32_e32 v5, s12
	s_xor_b64 exec, exec, s[2:3]
	s_cbranch_execnz .LBB15_470
.LBB15_452:
	s_or_b64 exec, exec, s[2:3]
	s_and_saveexec_b64 s[2:3], s[0:1]
	s_cbranch_execz .LBB15_454
.LBB15_453:
	v_lshlrev_b32_e32 v5, 24, v1
	v_and_b32_e32 v1, 0xffff, v1
	v_and_b32_e32 v6, 7, v1
	v_ffbh_u32_e32 v9, v6
	v_min_u32_e32 v9, 32, v9
	v_subrev_u32_e32 v10, 28, v9
	v_bfe_u32 v7, v1, 3, 4
	v_lshlrev_b32_e32 v1, v10, v1
	v_sub_u32_e32 v9, 29, v9
	v_and_b32_e32 v1, 7, v1
	v_cmp_eq_u32_e32 vcc, 0, v7
	v_cndmask_b32_e32 v7, v7, v9, vcc
	v_cndmask_b32_e32 v1, v6, v1, vcc
	v_mov_b32_e32 v6, 0x3b800000
	v_lshlrev_b32_e32 v1, 20, v1
	v_and_b32_e32 v5, 0x80000000, v5
	v_lshl_add_u32 v6, v7, 23, v6
	v_or3_b32 v5, v5, v6, v1
.LBB15_454:
	s_or_b64 exec, exec, s[2:3]
.LBB15_455:
	s_mov_b64 s[0:1], -1
.LBB15_456:
	s_mov_b64 s[2:3], 0
.LBB15_457:
	s_and_b64 vcc, exec, s[2:3]
	s_cbranch_vccz .LBB15_492
; %bb.458:
	v_cmp_lt_i16_e32 vcc, 22, v4
	s_cbranch_vccz .LBB15_468
; %bb.459:
	v_cmp_gt_i16_e32 vcc, 24, v4
	s_cbranch_vccnz .LBB15_471
; %bb.460:
	v_cmp_lt_i16_e32 vcc, 24, v4
	s_cbranch_vccz .LBB15_472
; %bb.461:
	global_load_ubyte v1, v[2:3], off
	s_movk_i32 s0, 0x7f
                                        ; implicit-def: $sgpr12
	s_waitcnt vmcnt(0)
	v_cmp_lt_i16_e32 vcc, s0, v1
	s_mov_b64 s[0:1], 0
	s_and_saveexec_b64 s[2:3], vcc
	s_xor_b64 s[2:3], exec, s[2:3]
	s_cbranch_execz .LBB15_484
; %bb.462:
	s_movk_i32 s0, 0x80
	v_cmp_eq_u16_e32 vcc, s0, v1
	s_mov_b64 s[0:1], -1
                                        ; implicit-def: $sgpr12
	s_and_saveexec_b64 s[10:11], vcc
; %bb.463:
	s_mov_b32 s12, 0x7f800001
	s_xor_b64 s[0:1], exec, -1
; %bb.464:
	s_or_b64 exec, exec, s[10:11]
	s_and_b64 s[0:1], s[0:1], exec
	s_or_saveexec_b64 s[2:3], s[2:3]
	v_mov_b32_e32 v5, s12
	s_xor_b64 exec, exec, s[2:3]
	s_cbranch_execnz .LBB15_485
.LBB15_465:
	s_or_b64 exec, exec, s[2:3]
	s_and_saveexec_b64 s[2:3], s[0:1]
	s_cbranch_execz .LBB15_467
.LBB15_466:
	v_lshlrev_b32_e32 v5, 24, v1
	v_and_b32_e32 v1, 0xffff, v1
	v_and_b32_e32 v6, 3, v1
	v_ffbh_u32_e32 v9, v6
	v_min_u32_e32 v9, 32, v9
	v_subrev_u32_e32 v10, 29, v9
	v_bfe_u32 v7, v1, 2, 5
	v_lshlrev_b32_e32 v1, v10, v1
	v_sub_u32_e32 v9, 30, v9
	v_and_b32_e32 v1, 3, v1
	v_cmp_eq_u32_e32 vcc, 0, v7
	v_cndmask_b32_e32 v7, v7, v9, vcc
	v_cndmask_b32_e32 v1, v6, v1, vcc
	v_mov_b32_e32 v6, 0x37800000
	v_lshlrev_b32_e32 v1, 21, v1
	v_and_b32_e32 v5, 0x80000000, v5
	v_lshl_add_u32 v6, v7, 23, v6
	v_or3_b32 v5, v5, v6, v1
.LBB15_467:
	s_or_b64 exec, exec, s[2:3]
	s_mov_b64 s[0:1], 0
	s_branch .LBB15_473
.LBB15_468:
	s_mov_b64 s[2:3], -1
                                        ; implicit-def: $vgpr5
	s_branch .LBB15_479
.LBB15_469:
	s_or_saveexec_b64 s[2:3], s[2:3]
	v_mov_b32_e32 v5, s12
	s_xor_b64 exec, exec, s[2:3]
	s_cbranch_execz .LBB15_452
.LBB15_470:
	v_cmp_ne_u16_e32 vcc, 0, v1
	s_andn2_b64 s[0:1], s[0:1], exec
	s_and_b64 s[10:11], vcc, exec
	v_mov_b32_e32 v5, 0
	s_or_b64 s[0:1], s[0:1], s[10:11]
	s_or_b64 exec, exec, s[2:3]
	s_and_saveexec_b64 s[2:3], s[0:1]
	s_cbranch_execnz .LBB15_453
	s_branch .LBB15_454
.LBB15_471:
	s_mov_b64 s[0:1], -1
                                        ; implicit-def: $vgpr5
	s_branch .LBB15_476
.LBB15_472:
	s_mov_b64 s[0:1], -1
                                        ; implicit-def: $vgpr5
.LBB15_473:
	s_and_b64 vcc, exec, s[0:1]
	s_cbranch_vccz .LBB15_475
; %bb.474:
	global_load_ubyte v1, v[2:3], off
	s_mov_b32 s0, 0x7f800000
	s_waitcnt vmcnt(0)
	v_lshlrev_b32_e32 v1, 24, v1
	v_and_b32_e32 v5, 0x7f000000, v1
	v_ffbh_u32_e32 v6, v5
	v_min_u32_e32 v6, 32, v6
	v_sub_u32_e64 v6, v6, 4 clamp
	v_lshlrev_b32_e32 v9, v6, v5
	v_lshlrev_b32_e32 v6, 23, v6
	v_lshrrev_b32_e32 v9, 4, v9
	v_add_u32_e32 v7, 0x1000000, v5
	v_sub_u32_e32 v6, v9, v6
	v_ashrrev_i32_e32 v7, 8, v7
	v_add_u32_e32 v6, 0x3c000000, v6
	v_and_or_b32 v6, v7, s0, v6
	v_cmp_ne_u32_e32 vcc, 0, v5
	v_cndmask_b32_e32 v5, 0, v6, vcc
	s_brev_b32 s0, 1
	v_and_or_b32 v5, v1, s0, v5
.LBB15_475:
	s_mov_b64 s[0:1], 0
.LBB15_476:
	s_andn2_b64 vcc, exec, s[0:1]
	s_cbranch_vccnz .LBB15_478
; %bb.477:
	global_load_ubyte v1, v[2:3], off
	s_movk_i32 s0, 0x7f00
	s_brev_b32 s1, 16
	s_waitcnt vmcnt(0)
	v_lshlrev_b16_e32 v5, 8, v1
	v_lshlrev_b32_e32 v1, 25, v1
	v_lshrrev_b32_e32 v6, 4, v1
	v_and_or_b32 v7, v5, s0, 0.5
	v_or_b32_e32 v6, 0x70000000, v6
	v_add_f32_e32 v7, -0.5, v7
	v_mul_f32_e32 v6, 0x7800000, v6
	v_cmp_gt_u32_e32 vcc, s1, v1
	v_bfe_i32 v5, v5, 0, 16
	v_cndmask_b32_e32 v1, v6, v7, vcc
	s_brev_b32 s0, 1
	v_and_or_b32 v5, v5, s0, v1
.LBB15_478:
	s_mov_b64 s[2:3], 0
	s_mov_b64 s[0:1], -1
.LBB15_479:
	s_andn2_b64 vcc, exec, s[2:3]
	s_cbranch_vccnz .LBB15_492
; %bb.480:
	v_cmp_lt_i16_e32 vcc, 14, v4
	s_cbranch_vccz .LBB15_483
; %bb.481:
	v_cmp_eq_u16_e32 vcc, 15, v4
	s_cbranch_vccz .LBB15_486
; %bb.482:
	global_load_ushort v1, v[2:3], off
	s_mov_b64 s[0:1], -1
	s_mov_b64 s[8:9], 0
	s_waitcnt vmcnt(0)
	v_lshlrev_b32_e32 v5, 16, v1
	s_branch .LBB15_487
.LBB15_483:
	s_mov_b64 s[2:3], -1
                                        ; implicit-def: $vgpr5
	s_branch .LBB15_488
.LBB15_484:
	s_or_saveexec_b64 s[2:3], s[2:3]
	v_mov_b32_e32 v5, s12
	s_xor_b64 exec, exec, s[2:3]
	s_cbranch_execz .LBB15_465
.LBB15_485:
	v_cmp_ne_u16_e32 vcc, 0, v1
	s_andn2_b64 s[0:1], s[0:1], exec
	s_and_b64 s[10:11], vcc, exec
	v_mov_b32_e32 v5, 0
	s_or_b64 s[0:1], s[0:1], s[10:11]
	s_or_b64 exec, exec, s[2:3]
	s_and_saveexec_b64 s[2:3], s[0:1]
	s_cbranch_execnz .LBB15_466
	s_branch .LBB15_467
.LBB15_486:
	s_mov_b64 s[8:9], -1
                                        ; implicit-def: $vgpr5
.LBB15_487:
	s_mov_b64 s[2:3], 0
.LBB15_488:
	s_and_b64 vcc, exec, s[2:3]
	s_cbranch_vccz .LBB15_492
; %bb.489:
	v_cmp_eq_u16_e32 vcc, 11, v4
	s_cbranch_vccz .LBB15_491
; %bb.490:
	global_load_ubyte v1, v[2:3], off
	s_mov_b64 s[0:1], -1
	s_mov_b64 s[8:9], 0
	s_waitcnt vmcnt(0)
	v_cmp_ne_u16_e32 vcc, 0, v1
	v_cndmask_b32_e64 v5, 0, 1.0, vcc
	s_branch .LBB15_492
.LBB15_491:
	s_mov_b64 s[8:9], -1
                                        ; implicit-def: $vgpr5
.LBB15_492:
	s_branch .LBB15_295
.LBB15_493:
	v_cmp_gt_i16_e32 vcc, 5, v4
	s_cbranch_vccnz .LBB15_498
; %bb.494:
	v_cmp_gt_i16_e32 vcc, 8, v4
	s_cbranch_vccnz .LBB15_499
; %bb.495:
	;; [unrolled: 3-line block ×3, first 2 shown]
	v_cmp_lt_i16_e32 vcc, 9, v4
	s_cbranch_vccz .LBB15_501
; %bb.497:
	global_load_dwordx2 v[6:7], v[2:3], off
	s_mov_b64 s[0:1], 0
	s_waitcnt vmcnt(0)
	v_cvt_f32_f64_e32 v5, v[6:7]
	s_branch .LBB15_502
.LBB15_498:
	s_mov_b64 s[0:1], -1
                                        ; implicit-def: $vgpr5
	s_branch .LBB15_520
.LBB15_499:
	s_mov_b64 s[0:1], -1
                                        ; implicit-def: $vgpr5
	s_branch .LBB15_508
.LBB15_500:
	s_mov_b64 s[0:1], -1
                                        ; implicit-def: $vgpr5
	s_branch .LBB15_505
.LBB15_501:
	s_mov_b64 s[0:1], -1
                                        ; implicit-def: $vgpr5
.LBB15_502:
	s_andn2_b64 vcc, exec, s[0:1]
	s_cbranch_vccnz .LBB15_504
; %bb.503:
	global_load_dword v5, v[2:3], off
.LBB15_504:
	s_mov_b64 s[0:1], 0
.LBB15_505:
	s_andn2_b64 vcc, exec, s[0:1]
	s_cbranch_vccnz .LBB15_507
; %bb.506:
	global_load_dword v1, v[2:3], off
	s_waitcnt vmcnt(0)
	v_cvt_f32_f16_e32 v5, v1
.LBB15_507:
	s_mov_b64 s[0:1], 0
.LBB15_508:
	s_andn2_b64 vcc, exec, s[0:1]
	s_cbranch_vccnz .LBB15_519
; %bb.509:
	v_cmp_gt_i16_e32 vcc, 6, v4
	s_cbranch_vccnz .LBB15_512
; %bb.510:
	v_cmp_lt_i16_e32 vcc, 6, v4
	s_cbranch_vccz .LBB15_513
; %bb.511:
	global_load_dwordx2 v[6:7], v[2:3], off
	s_mov_b64 s[0:1], 0
	s_waitcnt vmcnt(0)
	v_cvt_f32_f64_e32 v5, v[6:7]
	s_branch .LBB15_514
.LBB15_512:
	s_mov_b64 s[0:1], -1
                                        ; implicit-def: $vgpr5
	s_branch .LBB15_517
.LBB15_513:
	s_mov_b64 s[0:1], -1
                                        ; implicit-def: $vgpr5
.LBB15_514:
	s_andn2_b64 vcc, exec, s[0:1]
	s_cbranch_vccnz .LBB15_516
; %bb.515:
	global_load_dword v5, v[2:3], off
.LBB15_516:
	s_mov_b64 s[0:1], 0
.LBB15_517:
	s_andn2_b64 vcc, exec, s[0:1]
	s_cbranch_vccnz .LBB15_519
; %bb.518:
	global_load_ushort v1, v[2:3], off
	s_waitcnt vmcnt(0)
	v_cvt_f32_f16_e32 v5, v1
.LBB15_519:
	s_mov_b64 s[0:1], 0
.LBB15_520:
	s_andn2_b64 vcc, exec, s[0:1]
	s_cbranch_vccnz .LBB15_540
; %bb.521:
	v_cmp_gt_i16_e32 vcc, 2, v4
	s_cbranch_vccnz .LBB15_525
; %bb.522:
	v_cmp_gt_i16_e32 vcc, 3, v4
	s_cbranch_vccnz .LBB15_526
; %bb.523:
	v_cmp_lt_i16_e32 vcc, 3, v4
	s_cbranch_vccz .LBB15_527
; %bb.524:
	global_load_dwordx2 v[6:7], v[2:3], off
	s_mov_b64 s[0:1], 0
	s_waitcnt vmcnt(0)
	v_xor_b32_e32 v5, v6, v7
	v_ffbh_i32_e32 v1, v7
	v_ashrrev_i32_e32 v5, 31, v5
	v_add_u32_e32 v1, -1, v1
	v_add_u32_e32 v5, 32, v5
	v_min_u32_e32 v1, v1, v5
	v_lshlrev_b64 v[6:7], v1, v[6:7]
	v_min_u32_e32 v5, 1, v6
	v_or_b32_e32 v5, v7, v5
	v_cvt_f32_i32_e32 v5, v5
	v_sub_u32_e32 v1, 32, v1
	v_ldexp_f32 v5, v5, v1
	s_branch .LBB15_528
.LBB15_525:
	s_mov_b64 s[0:1], -1
                                        ; implicit-def: $vgpr5
	s_branch .LBB15_534
.LBB15_526:
	s_mov_b64 s[0:1], -1
                                        ; implicit-def: $vgpr5
	s_branch .LBB15_531
.LBB15_527:
	s_mov_b64 s[0:1], -1
                                        ; implicit-def: $vgpr5
.LBB15_528:
	s_andn2_b64 vcc, exec, s[0:1]
	s_cbranch_vccnz .LBB15_530
; %bb.529:
	global_load_dword v1, v[2:3], off
	s_waitcnt vmcnt(0)
	v_cvt_f32_i32_e32 v5, v1
.LBB15_530:
	s_mov_b64 s[0:1], 0
.LBB15_531:
	s_andn2_b64 vcc, exec, s[0:1]
	s_cbranch_vccnz .LBB15_533
; %bb.532:
	global_load_sshort v1, v[2:3], off
	s_waitcnt vmcnt(0)
	v_cvt_f32_i32_e32 v5, v1
.LBB15_533:
	s_mov_b64 s[0:1], 0
.LBB15_534:
	s_andn2_b64 vcc, exec, s[0:1]
	s_cbranch_vccnz .LBB15_540
; %bb.535:
	v_cmp_lt_i16_e32 vcc, 0, v4
	s_cbranch_vccz .LBB15_537
; %bb.536:
	global_load_sbyte v1, v[2:3], off
	s_mov_b64 s[0:1], 0
	s_waitcnt vmcnt(0)
	v_cvt_f32_i32_e32 v5, v1
	s_branch .LBB15_538
.LBB15_537:
	s_mov_b64 s[0:1], -1
                                        ; implicit-def: $vgpr5
.LBB15_538:
	s_andn2_b64 vcc, exec, s[0:1]
	s_cbranch_vccnz .LBB15_540
; %bb.539:
	global_load_ubyte v1, v[2:3], off
	s_waitcnt vmcnt(0)
	v_cvt_f32_ubyte0_e32 v5, v1
.LBB15_540:
	s_branch .LBB15_296
.LBB15_541:
	s_mov_b64 s[0:1], 0
	s_mov_b64 s[2:3], s[54:55]
.LBB15_542:
                                        ; implicit-def: $vgpr8
.LBB15_543:
	s_andn2_b64 s[10:11], s[54:55], exec
	s_and_b64 s[2:3], s[2:3], exec
	s_or_b64 s[62:63], s[10:11], s[2:3]
	s_andn2_b64 s[2:3], s[56:57], exec
	s_and_b64 s[8:9], s[8:9], exec
	s_or_b64 s[60:61], s[2:3], s[8:9]
	s_orn2_b64 s[0:1], s[0:1], exec
.LBB15_544:
	s_or_b64 exec, exec, s[64:65]
	s_mov_b64 s[2:3], 0
	s_mov_b64 s[8:9], 0
	;; [unrolled: 1-line block ×3, first 2 shown]
                                        ; implicit-def: $vgpr2_vgpr3
                                        ; implicit-def: $vgpr0
                                        ; implicit-def: $vgpr1
	s_and_saveexec_b64 s[64:65], s[0:1]
	s_cbranch_execz .LBB15_921
; %bb.545:
	v_cmp_gt_i32_e32 vcc, s74, v8
	s_mov_b64 s[2:3], -1
	s_mov_b64 s[68:69], s[60:61]
	s_mov_b64 s[70:71], s[62:63]
	s_and_saveexec_b64 s[66:67], vcc
	s_cbranch_execz .LBB15_820
; %bb.546:
	s_andn2_b64 vcc, exec, s[40:41]
	s_cbranch_vccnz .LBB15_552
; %bb.547:
	s_mov_b32 s68, 0
	s_andn2_b64 vcc, exec, s[52:53]
	v_mov_b32_e32 v2, 0
	v_mov_b32_e32 v0, 0
	s_cbranch_vccnz .LBB15_558
; %bb.548:
	s_add_i32 s77, s75, 1
	s_cmp_eq_u32 s76, 2
	s_cbranch_scc1 .LBB15_553
; %bb.549:
	s_and_b32 s68, s77, 28
	s_mov_b32 s69, 0
	v_mov_b32_e32 v0, 0
	s_mov_b64 s[70:71], s[34:35]
	s_mov_b64 s[72:73], s[50:51]
	v_mov_b32_e32 v3, v8
	v_mov_b32_e32 v2, 0
.LBB15_550:                             ; =>This Inner Loop Header: Depth=1
	s_load_dwordx8 s[16:23], s[70:71], 0x4
	s_load_dwordx4 s[0:3], s[70:71], 0x24
	s_load_dwordx8 s[8:15], s[72:73], 0x0
	s_add_u32 s70, s70, 48
	s_addc_u32 s71, s71, 0
	s_waitcnt lgkmcnt(0)
	v_mul_hi_u32 v1, s17, v3
	v_add_u32_e32 v1, v3, v1
	v_lshrrev_b32_e32 v1, s18, v1
	s_waitcnt vmcnt(0)
	v_mul_lo_u32 v5, v1, s16
	v_mul_hi_u32 v6, s20, v1
	v_sub_u32_e32 v3, v3, v5
	v_add_u32_e32 v5, v1, v6
	v_lshrrev_b32_e32 v5, s21, v5
	v_mul_lo_u32 v7, v5, s19
	v_mul_hi_u32 v9, s23, v5
	v_sub_u32_e32 v1, v1, v7
	v_add_u32_e32 v7, v5, v9
	v_mul_lo_u32 v6, v3, s9
	v_mul_lo_u32 v3, v3, s8
	;; [unrolled: 1-line block ×4, first 2 shown]
	v_lshrrev_b32_e32 v7, s0, v7
	v_add3_u32 v0, v3, v0, v1
	v_mul_hi_u32 v3, s2, v7
	v_add_u32_e32 v3, v7, v3
	v_lshrrev_b32_e32 v3, s3, v3
	s_add_i32 s69, s69, 4
	v_add3_u32 v1, v6, v2, v9
	v_mul_lo_u32 v2, v7, s22
	v_mul_lo_u32 v6, v3, s1
	s_add_u32 s72, s72, 32
	v_sub_u32_e32 v2, v5, v2
	v_sub_u32_e32 v6, v7, v6
	s_addc_u32 s73, s73, 0
	v_mul_lo_u32 v5, v2, s12
	v_mul_lo_u32 v2, v2, s13
	;; [unrolled: 1-line block ×4, first 2 shown]
	s_cmp_eq_u32 s68, s69
	v_add3_u32 v2, v2, v1, v6
	v_add3_u32 v0, v5, v0, v7
	s_cbranch_scc0 .LBB15_550
; %bb.551:
	v_mov_b32_e32 v1, v2
	s_branch .LBB15_554
.LBB15_552:
	s_mov_b64 s[0:1], -1
                                        ; implicit-def: $vgpr2
                                        ; implicit-def: $vgpr0
	s_branch .LBB15_559
.LBB15_553:
	s_mov_b32 s69, s68
	v_pk_mov_b32 v[0:1], s[68:69], s[68:69] op_sel:[0,1]
                                        ; implicit-def: $vgpr2
	v_mov_b32_e32 v3, v8
.LBB15_554:
	s_and_b32 s8, s77, 3
	s_cmp_eq_u32 s8, 0
	s_cbranch_scc1 .LBB15_558
; %bb.555:
	s_lshl_b32 s0, s68, 3
	s_add_u32 s0, s0, s34
	s_addc_u32 s1, s35, 0
	s_add_u32 s0, s0, 0xc4
	s_addc_u32 s1, s1, 0
	s_mul_i32 s2, s68, 12
	s_add_u32 s2, s34, s2
	s_addc_u32 s3, s35, 0
.LBB15_556:                             ; =>This Inner Loop Header: Depth=1
	s_load_dwordx2 s[10:11], s[2:3], 0x4
	s_load_dword s9, s[2:3], 0xc
	s_load_dwordx2 s[12:13], s[0:1], 0x0
	v_mov_b32_e32 v2, v1
	s_add_u32 s2, s2, 12
	s_waitcnt lgkmcnt(0)
	v_mul_hi_u32 v1, s11, v3
	v_add_u32_e32 v1, v3, v1
	v_lshrrev_b32_e32 v1, s9, v1
	s_addc_u32 s3, s3, 0
	s_waitcnt vmcnt(0)
	v_mul_lo_u32 v5, v1, s10
	s_add_u32 s0, s0, 8
	v_sub_u32_e32 v5, v3, v5
	v_mov_b32_e32 v3, v1
	s_addc_u32 s1, s1, 0
	s_add_i32 s8, s8, -1
	v_mad_u64_u32 v[6:7], s[10:11], v5, s13, v[2:3]
	v_mad_u64_u32 v[0:1], s[10:11], v5, s12, v[0:1]
	s_cmp_lg_u32 s8, 0
	v_mov_b32_e32 v1, v6
	s_cbranch_scc1 .LBB15_556
; %bb.557:
	v_mov_b32_e32 v2, v1
.LBB15_558:
	s_mov_b64 s[0:1], 0
.LBB15_559:
	s_andn2_b64 vcc, exec, s[0:1]
	s_cbranch_vccnz .LBB15_562
; %bb.560:
	v_mul_hi_u32 v0, s29, v8
	v_add_u32_e32 v0, v8, v0
	v_lshrrev_b32_e32 v1, s30, v0
	v_mul_lo_u32 v0, v1, s28
	v_sub_u32_e32 v0, v8, v0
	v_mul_lo_u32 v2, v0, s37
	s_andn2_b64 vcc, exec, s[48:49]
	v_mul_lo_u32 v0, v0, s36
	s_cbranch_vccnz .LBB15_562
; %bb.561:
	v_mul_hi_u32 v3, s46, v1
	v_add_u32_e32 v3, v1, v3
	v_lshrrev_b32_e32 v3, s47, v3
	v_mul_lo_u32 v3, v3, s31
	v_sub_u32_e32 v3, v1, v3
	v_mad_u64_u32 v[0:1], s[0:1], v3, s38, v[0:1]
	v_mad_u64_u32 v[2:3], s[0:1], v3, s39, v[2:3]
.LBB15_562:
	v_mov_b32_e32 v1, s27
	v_add_co_u32_e32 v2, vcc, s26, v2
	v_addc_co_u32_e32 v3, vcc, 0, v1, vcc
	v_cmp_gt_i16_e32 vcc, 11, v4
	s_cbranch_vccnz .LBB15_569
; %bb.563:
	v_cmp_lt_i16_e32 vcc, 25, v4
	s_cbranch_vccz .LBB15_570
; %bb.564:
	v_cmp_lt_i16_e32 vcc, 28, v4
	s_cbranch_vccz .LBB15_571
	;; [unrolled: 3-line block ×4, first 2 shown]
; %bb.567:
	v_cmp_eq_u16_e32 vcc, 46, v4
	s_mov_b64 s[2:3], 0
	s_cbranch_vccz .LBB15_578
; %bb.568:
	global_load_dword v1, v[2:3], off
	s_mov_b64 s[0:1], -1
	s_mov_b64 s[8:9], 0
	s_waitcnt vmcnt(0)
	v_lshlrev_b32_e32 v5, 16, v1
	s_branch .LBB15_579
.LBB15_569:
	s_mov_b64 s[2:3], -1
	s_mov_b64 s[0:1], 0
                                        ; implicit-def: $vgpr5
	s_mov_b64 s[8:9], s[60:61]
	s_branch .LBB15_644
.LBB15_570:
	s_mov_b64 s[2:3], -1
	s_mov_b64 s[0:1], 0
	s_mov_b64 s[8:9], s[60:61]
                                        ; implicit-def: $vgpr5
	s_branch .LBB15_608
.LBB15_571:
	s_mov_b64 s[2:3], -1
	s_mov_b64 s[0:1], 0
	s_mov_b64 s[8:9], s[60:61]
                                        ; implicit-def: $vgpr5
	s_branch .LBB15_589
.LBB15_572:
	s_mov_b64 s[2:3], -1
	s_mov_b64 s[0:1], 0
	s_mov_b64 s[8:9], s[60:61]
                                        ; implicit-def: $vgpr5
	s_branch .LBB15_584
.LBB15_573:
	s_or_saveexec_b64 s[14:15], s[14:15]
                                        ; implicit-def: $sgpr16
	s_xor_b64 exec, exec, s[14:15]
	s_cbranch_execz .LBB15_341
.LBB15_574:
	v_add_f32_e32 v3, 0x46000000, v6
	v_and_b32_e32 v3, 0xff, v3
	v_cmp_ne_u32_e32 vcc, 0, v3
	s_andn2_b64 s[12:13], s[12:13], exec
	s_and_b64 s[18:19], vcc, exec
	s_mov_b32 s16, 0
	s_or_b64 s[12:13], s[12:13], s[18:19]
	s_or_b64 exec, exec, s[14:15]
	v_mov_b32_e32 v7, s16
	s_and_saveexec_b64 s[14:15], s[12:13]
	s_cbranch_execnz .LBB15_342
	s_branch .LBB15_343
.LBB15_575:
	s_mov_b64 s[2:3], -1
	s_mov_b64 s[0:1], 0
	s_mov_b64 s[8:9], s[60:61]
                                        ; implicit-def: $vgpr5
	s_branch .LBB15_579
.LBB15_576:
	s_or_saveexec_b64 s[14:15], s[14:15]
                                        ; implicit-def: $sgpr16
	s_xor_b64 exec, exec, s[14:15]
	s_cbranch_execz .LBB15_354
.LBB15_577:
	v_add_f32_e32 v3, 0x42800000, v6
	v_and_b32_e32 v3, 0xff, v3
	v_cmp_ne_u32_e32 vcc, 0, v3
	s_andn2_b64 s[12:13], s[12:13], exec
	s_and_b64 s[18:19], vcc, exec
	s_mov_b32 s16, 0
	s_or_b64 s[12:13], s[12:13], s[18:19]
	s_or_b64 exec, exec, s[14:15]
	v_mov_b32_e32 v7, s16
	s_and_saveexec_b64 s[14:15], s[12:13]
	s_cbranch_execnz .LBB15_355
	s_branch .LBB15_356
.LBB15_578:
	s_mov_b64 s[8:9], -1
                                        ; implicit-def: $vgpr5
	s_mov_b64 s[0:1], 0
.LBB15_579:
	s_and_b64 vcc, exec, s[2:3]
	s_cbranch_vccz .LBB15_583
; %bb.580:
	v_cmp_eq_u16_e32 vcc, 44, v4
	s_cbranch_vccz .LBB15_582
; %bb.581:
	global_load_ubyte v1, v[2:3], off
	s_movk_i32 s2, 0xff
	s_waitcnt vmcnt(1)
	v_mov_b32_e32 v5, 0x7f800001
	v_mov_b32_e32 v6, 0x400000
	s_mov_b64 s[0:1], -1
	s_mov_b64 s[8:9], 0
	s_waitcnt vmcnt(0)
	v_lshlrev_b32_e32 v7, 23, v1
	v_cmp_ne_u32_e32 vcc, s2, v1
	v_cndmask_b32_e32 v5, v5, v7, vcc
	v_cmp_ne_u32_e32 vcc, 0, v1
	v_cndmask_b32_e32 v5, v6, v5, vcc
	s_branch .LBB15_583
.LBB15_582:
	s_mov_b64 s[8:9], -1
                                        ; implicit-def: $vgpr5
.LBB15_583:
	s_mov_b64 s[2:3], 0
.LBB15_584:
	s_and_b64 vcc, exec, s[2:3]
	s_cbranch_vccz .LBB15_588
; %bb.585:
	v_cmp_eq_u16_e32 vcc, 29, v4
	s_cbranch_vccz .LBB15_587
; %bb.586:
	global_load_dwordx2 v[6:7], v[2:3], off
	s_mov_b64 s[0:1], -1
	s_mov_b64 s[8:9], 0
	s_mov_b64 s[2:3], 0
	s_waitcnt vmcnt(0)
	v_ffbh_u32_e32 v1, v7
	v_min_u32_e32 v1, 32, v1
	v_lshlrev_b64 v[6:7], v1, v[6:7]
	v_min_u32_e32 v5, 1, v6
	v_or_b32_e32 v5, v7, v5
	v_cvt_f32_u32_e32 v5, v5
	v_sub_u32_e32 v1, 32, v1
	v_ldexp_f32 v5, v5, v1
	s_branch .LBB15_589
.LBB15_587:
	s_mov_b64 s[8:9], -1
                                        ; implicit-def: $vgpr5
.LBB15_588:
	s_mov_b64 s[2:3], 0
.LBB15_589:
	s_and_b64 vcc, exec, s[2:3]
	s_cbranch_vccz .LBB15_607
; %bb.590:
	v_cmp_gt_i16_e32 vcc, 27, v4
	s_cbranch_vccnz .LBB15_593
; %bb.591:
	v_cmp_lt_i16_e32 vcc, 27, v4
	s_cbranch_vccz .LBB15_594
; %bb.592:
	global_load_dword v1, v[2:3], off
	s_mov_b64 s[0:1], 0
	s_waitcnt vmcnt(0)
	v_cvt_f32_u32_e32 v5, v1
	s_branch .LBB15_595
.LBB15_593:
	s_mov_b64 s[0:1], -1
                                        ; implicit-def: $vgpr5
	s_branch .LBB15_598
.LBB15_594:
	s_mov_b64 s[0:1], -1
                                        ; implicit-def: $vgpr5
.LBB15_595:
	s_andn2_b64 vcc, exec, s[0:1]
	s_cbranch_vccnz .LBB15_597
; %bb.596:
	global_load_ushort v1, v[2:3], off
	s_waitcnt vmcnt(0)
	v_cvt_f32_u32_e32 v5, v1
.LBB15_597:
	s_mov_b64 s[0:1], 0
.LBB15_598:
	s_andn2_b64 vcc, exec, s[0:1]
	s_cbranch_vccnz .LBB15_606
; %bb.599:
	global_load_ubyte v1, v[2:3], off
	s_movk_i32 s0, 0x7f
                                        ; implicit-def: $sgpr12
	s_waitcnt vmcnt(0)
	v_cmp_lt_i16_e32 vcc, s0, v1
	s_mov_b64 s[0:1], 0
	s_and_saveexec_b64 s[2:3], vcc
	s_xor_b64 s[2:3], exec, s[2:3]
	s_cbranch_execz .LBB15_620
; %bb.600:
	s_movk_i32 s0, 0x80
	v_cmp_eq_u16_e32 vcc, s0, v1
	s_mov_b64 s[0:1], -1
                                        ; implicit-def: $sgpr12
	s_and_saveexec_b64 s[10:11], vcc
; %bb.601:
	s_mov_b32 s12, 0x7f800001
	s_xor_b64 s[0:1], exec, -1
; %bb.602:
	s_or_b64 exec, exec, s[10:11]
	s_and_b64 s[0:1], s[0:1], exec
	s_or_saveexec_b64 s[2:3], s[2:3]
	v_mov_b32_e32 v5, s12
	s_xor_b64 exec, exec, s[2:3]
	s_cbranch_execnz .LBB15_621
.LBB15_603:
	s_or_b64 exec, exec, s[2:3]
	s_and_saveexec_b64 s[2:3], s[0:1]
	s_cbranch_execz .LBB15_605
.LBB15_604:
	v_lshlrev_b32_e32 v5, 24, v1
	v_and_b32_e32 v1, 0xffff, v1
	v_and_b32_e32 v6, 7, v1
	v_ffbh_u32_e32 v9, v6
	v_min_u32_e32 v9, 32, v9
	v_subrev_u32_e32 v10, 28, v9
	v_bfe_u32 v7, v1, 3, 4
	v_lshlrev_b32_e32 v1, v10, v1
	v_sub_u32_e32 v9, 29, v9
	v_and_b32_e32 v1, 7, v1
	v_cmp_eq_u32_e32 vcc, 0, v7
	v_cndmask_b32_e32 v7, v7, v9, vcc
	v_cndmask_b32_e32 v1, v6, v1, vcc
	v_mov_b32_e32 v6, 0x3b800000
	v_lshlrev_b32_e32 v1, 20, v1
	v_and_b32_e32 v5, 0x80000000, v5
	v_lshl_add_u32 v6, v7, 23, v6
	v_or3_b32 v5, v5, v6, v1
.LBB15_605:
	s_or_b64 exec, exec, s[2:3]
.LBB15_606:
	s_mov_b64 s[0:1], -1
.LBB15_607:
	s_mov_b64 s[2:3], 0
.LBB15_608:
	s_and_b64 vcc, exec, s[2:3]
	s_cbranch_vccz .LBB15_643
; %bb.609:
	v_cmp_lt_i16_e32 vcc, 22, v4
	s_cbranch_vccz .LBB15_619
; %bb.610:
	v_cmp_gt_i16_e32 vcc, 24, v4
	s_cbranch_vccnz .LBB15_622
; %bb.611:
	v_cmp_lt_i16_e32 vcc, 24, v4
	s_cbranch_vccz .LBB15_623
; %bb.612:
	global_load_ubyte v1, v[2:3], off
	s_movk_i32 s0, 0x7f
                                        ; implicit-def: $sgpr12
	s_waitcnt vmcnt(0)
	v_cmp_lt_i16_e32 vcc, s0, v1
	s_mov_b64 s[0:1], 0
	s_and_saveexec_b64 s[2:3], vcc
	s_xor_b64 s[2:3], exec, s[2:3]
	s_cbranch_execz .LBB15_635
; %bb.613:
	s_movk_i32 s0, 0x80
	v_cmp_eq_u16_e32 vcc, s0, v1
	s_mov_b64 s[0:1], -1
                                        ; implicit-def: $sgpr12
	s_and_saveexec_b64 s[10:11], vcc
; %bb.614:
	s_mov_b32 s12, 0x7f800001
	s_xor_b64 s[0:1], exec, -1
; %bb.615:
	s_or_b64 exec, exec, s[10:11]
	s_and_b64 s[0:1], s[0:1], exec
	s_or_saveexec_b64 s[2:3], s[2:3]
	v_mov_b32_e32 v5, s12
	s_xor_b64 exec, exec, s[2:3]
	s_cbranch_execnz .LBB15_636
.LBB15_616:
	s_or_b64 exec, exec, s[2:3]
	s_and_saveexec_b64 s[2:3], s[0:1]
	s_cbranch_execz .LBB15_618
.LBB15_617:
	v_lshlrev_b32_e32 v5, 24, v1
	v_and_b32_e32 v1, 0xffff, v1
	v_and_b32_e32 v6, 3, v1
	v_ffbh_u32_e32 v9, v6
	v_min_u32_e32 v9, 32, v9
	v_subrev_u32_e32 v10, 29, v9
	v_bfe_u32 v7, v1, 2, 5
	v_lshlrev_b32_e32 v1, v10, v1
	v_sub_u32_e32 v9, 30, v9
	v_and_b32_e32 v1, 3, v1
	v_cmp_eq_u32_e32 vcc, 0, v7
	v_cndmask_b32_e32 v7, v7, v9, vcc
	v_cndmask_b32_e32 v1, v6, v1, vcc
	v_mov_b32_e32 v6, 0x37800000
	v_lshlrev_b32_e32 v1, 21, v1
	v_and_b32_e32 v5, 0x80000000, v5
	v_lshl_add_u32 v6, v7, 23, v6
	v_or3_b32 v5, v5, v6, v1
.LBB15_618:
	s_or_b64 exec, exec, s[2:3]
	s_mov_b64 s[0:1], 0
	s_branch .LBB15_624
.LBB15_619:
	s_mov_b64 s[2:3], -1
                                        ; implicit-def: $vgpr5
	s_branch .LBB15_630
.LBB15_620:
	s_or_saveexec_b64 s[2:3], s[2:3]
	v_mov_b32_e32 v5, s12
	s_xor_b64 exec, exec, s[2:3]
	s_cbranch_execz .LBB15_603
.LBB15_621:
	v_cmp_ne_u16_e32 vcc, 0, v1
	s_andn2_b64 s[0:1], s[0:1], exec
	s_and_b64 s[10:11], vcc, exec
	v_mov_b32_e32 v5, 0
	s_or_b64 s[0:1], s[0:1], s[10:11]
	s_or_b64 exec, exec, s[2:3]
	s_and_saveexec_b64 s[2:3], s[0:1]
	s_cbranch_execnz .LBB15_604
	s_branch .LBB15_605
.LBB15_622:
	s_mov_b64 s[0:1], -1
                                        ; implicit-def: $vgpr5
	s_branch .LBB15_627
.LBB15_623:
	s_mov_b64 s[0:1], -1
                                        ; implicit-def: $vgpr5
.LBB15_624:
	s_and_b64 vcc, exec, s[0:1]
	s_cbranch_vccz .LBB15_626
; %bb.625:
	global_load_ubyte v1, v[2:3], off
	s_mov_b32 s0, 0x7f800000
	s_waitcnt vmcnt(0)
	v_lshlrev_b32_e32 v1, 24, v1
	v_and_b32_e32 v5, 0x7f000000, v1
	v_ffbh_u32_e32 v6, v5
	v_min_u32_e32 v6, 32, v6
	v_sub_u32_e64 v6, v6, 4 clamp
	v_lshlrev_b32_e32 v9, v6, v5
	v_lshlrev_b32_e32 v6, 23, v6
	v_lshrrev_b32_e32 v9, 4, v9
	v_add_u32_e32 v7, 0x1000000, v5
	v_sub_u32_e32 v6, v9, v6
	v_ashrrev_i32_e32 v7, 8, v7
	v_add_u32_e32 v6, 0x3c000000, v6
	v_and_or_b32 v6, v7, s0, v6
	v_cmp_ne_u32_e32 vcc, 0, v5
	v_cndmask_b32_e32 v5, 0, v6, vcc
	s_brev_b32 s0, 1
	v_and_or_b32 v5, v1, s0, v5
.LBB15_626:
	s_mov_b64 s[0:1], 0
.LBB15_627:
	s_andn2_b64 vcc, exec, s[0:1]
	s_cbranch_vccnz .LBB15_629
; %bb.628:
	global_load_ubyte v1, v[2:3], off
	s_movk_i32 s0, 0x7f00
	s_brev_b32 s1, 16
	s_waitcnt vmcnt(0)
	v_lshlrev_b16_e32 v5, 8, v1
	v_lshlrev_b32_e32 v1, 25, v1
	v_lshrrev_b32_e32 v6, 4, v1
	v_and_or_b32 v7, v5, s0, 0.5
	v_or_b32_e32 v6, 0x70000000, v6
	v_add_f32_e32 v7, -0.5, v7
	v_mul_f32_e32 v6, 0x7800000, v6
	v_cmp_gt_u32_e32 vcc, s1, v1
	v_bfe_i32 v5, v5, 0, 16
	v_cndmask_b32_e32 v1, v6, v7, vcc
	s_brev_b32 s0, 1
	v_and_or_b32 v5, v5, s0, v1
.LBB15_629:
	s_mov_b64 s[2:3], 0
	s_mov_b64 s[0:1], -1
.LBB15_630:
	s_andn2_b64 vcc, exec, s[2:3]
	s_cbranch_vccnz .LBB15_643
; %bb.631:
	v_cmp_lt_i16_e32 vcc, 14, v4
	s_cbranch_vccz .LBB15_634
; %bb.632:
	v_cmp_eq_u16_e32 vcc, 15, v4
	s_cbranch_vccz .LBB15_637
; %bb.633:
	global_load_ushort v1, v[2:3], off
	s_mov_b64 s[0:1], -1
	s_mov_b64 s[8:9], 0
	s_waitcnt vmcnt(0)
	v_lshlrev_b32_e32 v5, 16, v1
	s_branch .LBB15_638
.LBB15_634:
	s_mov_b64 s[2:3], -1
                                        ; implicit-def: $vgpr5
	s_branch .LBB15_639
.LBB15_635:
	s_or_saveexec_b64 s[2:3], s[2:3]
	v_mov_b32_e32 v5, s12
	s_xor_b64 exec, exec, s[2:3]
	s_cbranch_execz .LBB15_616
.LBB15_636:
	v_cmp_ne_u16_e32 vcc, 0, v1
	s_andn2_b64 s[0:1], s[0:1], exec
	s_and_b64 s[10:11], vcc, exec
	v_mov_b32_e32 v5, 0
	s_or_b64 s[0:1], s[0:1], s[10:11]
	s_or_b64 exec, exec, s[2:3]
	s_and_saveexec_b64 s[2:3], s[0:1]
	s_cbranch_execnz .LBB15_617
	s_branch .LBB15_618
.LBB15_637:
	s_mov_b64 s[8:9], -1
                                        ; implicit-def: $vgpr5
.LBB15_638:
	s_mov_b64 s[2:3], 0
.LBB15_639:
	s_and_b64 vcc, exec, s[2:3]
	s_cbranch_vccz .LBB15_643
; %bb.640:
	v_cmp_eq_u16_e32 vcc, 11, v4
	s_cbranch_vccz .LBB15_642
; %bb.641:
	global_load_ubyte v1, v[2:3], off
	s_mov_b64 s[0:1], -1
	s_mov_b64 s[8:9], 0
	s_waitcnt vmcnt(0)
	v_cmp_ne_u16_e32 vcc, 0, v1
	v_cndmask_b32_e64 v5, 0, 1.0, vcc
	s_branch .LBB15_643
.LBB15_642:
	s_mov_b64 s[8:9], -1
                                        ; implicit-def: $vgpr5
.LBB15_643:
	s_mov_b64 s[2:3], 0
.LBB15_644:
	s_and_b64 vcc, exec, s[2:3]
	s_cbranch_vccz .LBB15_693
; %bb.645:
	v_cmp_gt_i16_e32 vcc, 5, v4
	s_cbranch_vccnz .LBB15_650
; %bb.646:
	v_cmp_gt_i16_e32 vcc, 8, v4
	s_cbranch_vccnz .LBB15_651
	;; [unrolled: 3-line block ×3, first 2 shown]
; %bb.648:
	v_cmp_lt_i16_e32 vcc, 9, v4
	s_cbranch_vccz .LBB15_653
; %bb.649:
	global_load_dwordx2 v[6:7], v[2:3], off
	s_mov_b64 s[0:1], 0
	s_waitcnt vmcnt(0)
	v_cvt_f32_f64_e32 v5, v[6:7]
	s_branch .LBB15_654
.LBB15_650:
	s_mov_b64 s[0:1], -1
                                        ; implicit-def: $vgpr5
	s_branch .LBB15_672
.LBB15_651:
	s_mov_b64 s[0:1], -1
                                        ; implicit-def: $vgpr5
	s_branch .LBB15_660
.LBB15_652:
	s_mov_b64 s[0:1], -1
                                        ; implicit-def: $vgpr5
	s_branch .LBB15_657
.LBB15_653:
	s_mov_b64 s[0:1], -1
                                        ; implicit-def: $vgpr5
.LBB15_654:
	s_andn2_b64 vcc, exec, s[0:1]
	s_cbranch_vccnz .LBB15_656
; %bb.655:
	global_load_dword v5, v[2:3], off
.LBB15_656:
	s_mov_b64 s[0:1], 0
.LBB15_657:
	s_andn2_b64 vcc, exec, s[0:1]
	s_cbranch_vccnz .LBB15_659
; %bb.658:
	global_load_dword v1, v[2:3], off
	s_waitcnt vmcnt(0)
	v_cvt_f32_f16_e32 v5, v1
.LBB15_659:
	s_mov_b64 s[0:1], 0
.LBB15_660:
	s_andn2_b64 vcc, exec, s[0:1]
	s_cbranch_vccnz .LBB15_671
; %bb.661:
	v_cmp_gt_i16_e32 vcc, 6, v4
	s_cbranch_vccnz .LBB15_664
; %bb.662:
	v_cmp_lt_i16_e32 vcc, 6, v4
	s_cbranch_vccz .LBB15_665
; %bb.663:
	global_load_dwordx2 v[6:7], v[2:3], off
	s_mov_b64 s[0:1], 0
	s_waitcnt vmcnt(0)
	v_cvt_f32_f64_e32 v5, v[6:7]
	s_branch .LBB15_666
.LBB15_664:
	s_mov_b64 s[0:1], -1
                                        ; implicit-def: $vgpr5
	s_branch .LBB15_669
.LBB15_665:
	s_mov_b64 s[0:1], -1
                                        ; implicit-def: $vgpr5
.LBB15_666:
	s_andn2_b64 vcc, exec, s[0:1]
	s_cbranch_vccnz .LBB15_668
; %bb.667:
	global_load_dword v5, v[2:3], off
.LBB15_668:
	s_mov_b64 s[0:1], 0
.LBB15_669:
	s_andn2_b64 vcc, exec, s[0:1]
	s_cbranch_vccnz .LBB15_671
; %bb.670:
	global_load_ushort v1, v[2:3], off
	s_waitcnt vmcnt(0)
	v_cvt_f32_f16_e32 v5, v1
.LBB15_671:
	s_mov_b64 s[0:1], 0
.LBB15_672:
	s_andn2_b64 vcc, exec, s[0:1]
	s_cbranch_vccnz .LBB15_692
; %bb.673:
	v_cmp_gt_i16_e32 vcc, 2, v4
	s_cbranch_vccnz .LBB15_677
; %bb.674:
	v_cmp_gt_i16_e32 vcc, 3, v4
	s_cbranch_vccnz .LBB15_678
; %bb.675:
	v_cmp_lt_i16_e32 vcc, 3, v4
	s_cbranch_vccz .LBB15_679
; %bb.676:
	global_load_dwordx2 v[6:7], v[2:3], off
	s_mov_b64 s[0:1], 0
	s_waitcnt vmcnt(0)
	v_xor_b32_e32 v5, v6, v7
	v_ffbh_i32_e32 v1, v7
	v_ashrrev_i32_e32 v5, 31, v5
	v_add_u32_e32 v1, -1, v1
	v_add_u32_e32 v5, 32, v5
	v_min_u32_e32 v1, v1, v5
	v_lshlrev_b64 v[6:7], v1, v[6:7]
	v_min_u32_e32 v5, 1, v6
	v_or_b32_e32 v5, v7, v5
	v_cvt_f32_i32_e32 v5, v5
	v_sub_u32_e32 v1, 32, v1
	v_ldexp_f32 v5, v5, v1
	s_branch .LBB15_680
.LBB15_677:
	s_mov_b64 s[0:1], -1
                                        ; implicit-def: $vgpr5
	s_branch .LBB15_686
.LBB15_678:
	s_mov_b64 s[0:1], -1
                                        ; implicit-def: $vgpr5
	s_branch .LBB15_683
.LBB15_679:
	s_mov_b64 s[0:1], -1
                                        ; implicit-def: $vgpr5
.LBB15_680:
	s_andn2_b64 vcc, exec, s[0:1]
	s_cbranch_vccnz .LBB15_682
; %bb.681:
	global_load_dword v1, v[2:3], off
	s_waitcnt vmcnt(0)
	v_cvt_f32_i32_e32 v5, v1
.LBB15_682:
	s_mov_b64 s[0:1], 0
.LBB15_683:
	s_andn2_b64 vcc, exec, s[0:1]
	s_cbranch_vccnz .LBB15_685
; %bb.684:
	global_load_sshort v1, v[2:3], off
	s_waitcnt vmcnt(0)
	v_cvt_f32_i32_e32 v5, v1
.LBB15_685:
	s_mov_b64 s[0:1], 0
.LBB15_686:
	s_andn2_b64 vcc, exec, s[0:1]
	s_cbranch_vccnz .LBB15_692
; %bb.687:
	v_cmp_lt_i16_e32 vcc, 0, v4
	s_cbranch_vccz .LBB15_689
; %bb.688:
	global_load_sbyte v1, v[2:3], off
	s_mov_b64 s[0:1], 0
	s_waitcnt vmcnt(0)
	v_cvt_f32_i32_e32 v5, v1
	s_branch .LBB15_690
.LBB15_689:
	s_mov_b64 s[0:1], -1
                                        ; implicit-def: $vgpr5
.LBB15_690:
	s_andn2_b64 vcc, exec, s[0:1]
	s_cbranch_vccnz .LBB15_692
; %bb.691:
	global_load_ubyte v1, v[2:3], off
	s_waitcnt vmcnt(0)
	v_cvt_f32_ubyte0_e32 v5, v1
.LBB15_692:
	s_mov_b64 s[0:1], -1
.LBB15_693:
	s_andn2_b64 vcc, exec, s[0:1]
	s_cbranch_vccnz .LBB15_701
; %bb.694:
	s_waitcnt vmcnt(0)
	v_cmp_nge_f32_e64 s[0:1], v5, -s44
	v_cmp_nge_f32_e32 vcc, s44, v5
	s_or_b64 s[0:1], s[0:1], vcc
	v_mov_b32_e32 v1, s25
	v_add_co_u32_e32 v0, vcc, s24, v0
	v_mov_b32_e32 v3, 11
	v_addc_co_u32_e32 v1, vcc, 0, v1, vcc
	v_cmp_lt_i16_sdwa s[2:3], s45, v3 src0_sel:BYTE_0 src1_sel:DWORD
	v_cndmask_b32_e64 v2, 0, v5, s[0:1]
	s_and_b64 vcc, exec, s[2:3]
	s_cbranch_vccnz .LBB15_702
; %bb.695:
	v_mov_b32_e32 v3, 25
	v_cmp_gt_i16_sdwa s[2:3], s45, v3 src0_sel:BYTE_0 src1_sel:DWORD
	s_and_b64 vcc, exec, s[2:3]
	s_cbranch_vccz .LBB15_703
; %bb.696:
	v_mov_b32_e32 v3, 28
	v_cmp_gt_i16_sdwa s[2:3], s45, v3 src0_sel:BYTE_0 src1_sel:DWORD
	s_and_b64 vcc, exec, s[2:3]
	s_cbranch_vccz .LBB15_704
	;; [unrolled: 5-line block ×4, first 2 shown]
; %bb.699:
	v_mov_b32_e32 v3, 46
	v_cmp_eq_u16_sdwa s[10:11], s45, v3 src0_sel:BYTE_0 src1_sel:DWORD
	s_mov_b64 s[12:13], 0
	s_mov_b64 s[2:3], -1
	s_and_b64 vcc, exec, s[10:11]
	s_mov_b64 s[10:11], 0
	s_cbranch_vccz .LBB15_707
; %bb.700:
	v_bfe_u32 v3, v2, 16, 1
	s_movk_i32 s2, 0x7fff
	v_add3_u32 v3, v2, v3, s2
	v_lshrrev_b32_e32 v3, 16, v3
	v_mov_b32_e32 v6, 0x7fc0
	v_cmp_o_f32_e32 vcc, v2, v2
	v_cndmask_b32_e32 v3, v6, v3, vcc
	global_store_dword v[0:1], v3, off
	s_mov_b64 s[10:11], -1
	s_mov_b64 s[2:3], 0
	s_branch .LBB15_707
.LBB15_701:
	s_mov_b64 s[0:1], 0
	s_mov_b64 s[2:3], s[62:63]
	s_branch .LBB15_818
.LBB15_702:
	s_mov_b64 s[0:1], -1
	s_mov_b64 s[10:11], 0
	s_mov_b64 s[2:3], s[62:63]
	s_branch .LBB15_776
.LBB15_703:
	s_mov_b64 s[12:13], -1
	s_mov_b64 s[10:11], 0
	s_mov_b64 s[2:3], s[62:63]
	s_branch .LBB15_734
.LBB15_704:
	s_mov_b64 s[12:13], -1
	s_mov_b64 s[10:11], 0
	s_mov_b64 s[2:3], s[62:63]
	s_branch .LBB15_717
.LBB15_705:
	s_mov_b64 s[12:13], -1
	s_mov_b64 s[10:11], 0
	s_mov_b64 s[2:3], s[62:63]
	s_branch .LBB15_713
.LBB15_706:
	s_mov_b64 s[12:13], -1
	s_mov_b64 s[10:11], 0
	s_mov_b64 s[2:3], s[62:63]
.LBB15_707:
	s_and_b64 vcc, exec, s[12:13]
	s_cbranch_vccz .LBB15_712
; %bb.708:
	v_mov_b32_e32 v3, 44
	v_cmp_eq_u16_sdwa s[12:13], s45, v3 src0_sel:BYTE_0 src1_sel:DWORD
	s_mov_b64 s[2:3], -1
	s_and_b64 vcc, exec, s[12:13]
	s_cbranch_vccz .LBB15_712
; %bb.709:
	v_bfe_u32 v3, v2, 23, 8
	s_movk_i32 s2, 0xff
	v_cmp_ne_u32_e32 vcc, s2, v3
	v_mov_b32_e32 v6, 0xff
	s_and_saveexec_b64 s[10:11], vcc
; %bb.710:
	s_mov_b32 s2, 0x3fffff
	v_and_b32_e32 v7, 0x400000, v2
	v_and_or_b32 v3, v2, s2, v3
	v_cmp_ne_u32_e32 vcc, 0, v7
	v_cmp_ne_u32_e64 s[2:3], 0, v3
	s_and_b64 s[2:3], vcc, s[2:3]
	v_lshrrev_b32_e32 v6, 23, v2
	v_cndmask_b32_e64 v3, 0, 1, s[2:3]
	v_add_u32_e32 v6, v6, v3
; %bb.711:
	s_or_b64 exec, exec, s[10:11]
	s_mov_b64 s[10:11], -1
	s_mov_b64 s[2:3], 0
	global_store_byte v[0:1], v6, off
.LBB15_712:
	s_mov_b64 s[12:13], 0
.LBB15_713:
	s_and_b64 vcc, exec, s[12:13]
	s_cbranch_vccz .LBB15_716
; %bb.714:
	v_mov_b32_e32 v3, 29
	v_cmp_eq_u16_sdwa s[12:13], s45, v3 src0_sel:BYTE_0 src1_sel:DWORD
	s_mov_b64 s[2:3], -1
	s_and_b64 vcc, exec, s[12:13]
	s_cbranch_vccz .LBB15_716
; %bb.715:
	v_trunc_f32_e32 v3, v2
	v_mul_f32_e32 v6, 0x2f800000, v3
	v_floor_f32_e32 v6, v6
	v_fmac_f32_e32 v3, 0xcf800000, v6
	v_cvt_u32_f32_e32 v7, v6
	v_cvt_u32_f32_e32 v6, v3
	s_mov_b64 s[10:11], -1
	s_mov_b64 s[2:3], 0
	s_mov_b64 s[12:13], 0
	global_store_dwordx2 v[0:1], v[6:7], off
	s_branch .LBB15_717
.LBB15_716:
	s_mov_b64 s[12:13], 0
.LBB15_717:
	s_and_b64 vcc, exec, s[12:13]
	s_cbranch_vccz .LBB15_733
; %bb.718:
	v_mov_b32_e32 v3, 27
	v_cmp_lt_i16_sdwa s[12:13], s45, v3 src0_sel:BYTE_0 src1_sel:DWORD
	s_mov_b64 s[10:11], -1
	s_and_b64 vcc, exec, s[12:13]
	s_cbranch_vccnz .LBB15_724
; %bb.719:
	v_cmp_gt_i16_sdwa s[12:13], s45, v3 src0_sel:BYTE_0 src1_sel:DWORD
	v_cvt_u32_f32_e32 v3, v2
	s_and_b64 vcc, exec, s[12:13]
	s_cbranch_vccz .LBB15_721
; %bb.720:
	s_mov_b64 s[10:11], 0
	global_store_dword v[0:1], v3, off
.LBB15_721:
	s_andn2_b64 vcc, exec, s[10:11]
	s_cbranch_vccnz .LBB15_723
; %bb.722:
	global_store_short v[0:1], v3, off
.LBB15_723:
	s_mov_b64 s[10:11], 0
.LBB15_724:
	s_andn2_b64 vcc, exec, s[10:11]
	s_cbranch_vccnz .LBB15_732
; %bb.725:
	v_cndmask_b32_e64 v6, 0, |v5|, s[0:1]
	s_mov_b32 s10, 0x43800000
	v_cmp_gt_u32_e32 vcc, s10, v6
	v_mov_b32_e32 v7, 0x80
	s_and_saveexec_b64 s[10:11], vcc
	s_cbranch_execz .LBB15_731
; %bb.726:
	s_mov_b32 s12, 0x3bffffff
	v_cmp_lt_u32_e32 vcc, s12, v6
	s_mov_b64 s[12:13], 0
                                        ; implicit-def: $vgpr3
	s_and_saveexec_b64 s[14:15], vcc
	s_xor_b64 s[14:15], exec, s[14:15]
	s_cbranch_execz .LBB15_849
; %bb.727:
	v_bfe_u32 v3, v2, 20, 1
	s_mov_b32 s16, 0x487ffff
	v_add3_u32 v3, v2, v3, s16
	s_mov_b64 s[12:13], exec
	v_lshrrev_b32_e32 v3, 20, v3
                                        ; implicit-def: $vgpr6
	s_or_saveexec_b64 s[14:15], s[14:15]
                                        ; implicit-def: $sgpr16
	s_xor_b64 exec, exec, s[14:15]
	s_cbranch_execnz .LBB15_850
.LBB15_728:
	s_or_b64 exec, exec, s[14:15]
	v_mov_b32_e32 v7, s16
	s_and_saveexec_b64 s[14:15], s[12:13]
.LBB15_729:
	v_lshrrev_b32_e32 v6, 24, v2
	s_movk_i32 s12, 0x80
	v_and_or_b32 v7, v6, s12, v3
.LBB15_730:
	s_or_b64 exec, exec, s[14:15]
.LBB15_731:
	s_or_b64 exec, exec, s[10:11]
	global_store_byte v[0:1], v7, off
.LBB15_732:
	s_mov_b64 s[10:11], -1
.LBB15_733:
	s_mov_b64 s[12:13], 0
.LBB15_734:
	s_and_b64 vcc, exec, s[12:13]
	s_cbranch_vccz .LBB15_775
; %bb.735:
	v_mov_b32_e32 v3, 22
	v_cmp_gt_i16_sdwa s[14:15], s45, v3 src0_sel:BYTE_0 src1_sel:DWORD
	s_mov_b64 s[12:13], -1
	s_and_b64 vcc, exec, s[14:15]
	s_cbranch_vccz .LBB15_767
; %bb.736:
	v_mov_b32_e32 v3, 24
	v_cmp_lt_i16_sdwa s[12:13], s45, v3 src0_sel:BYTE_0 src1_sel:DWORD
	s_mov_b64 s[10:11], -1
	s_and_b64 vcc, exec, s[12:13]
	s_cbranch_vccnz .LBB15_756
; %bb.737:
	v_cmp_gt_i16_sdwa s[12:13], s45, v3 src0_sel:BYTE_0 src1_sel:DWORD
	s_and_b64 vcc, exec, s[12:13]
	s_cbranch_vccz .LBB15_745
; %bb.738:
	v_cndmask_b32_e64 v6, 0, |v5|, s[0:1]
	s_mov_b32 s10, 0x47800000
	v_cmp_gt_u32_e32 vcc, s10, v6
	v_mov_b32_e32 v7, 0x80
	s_and_saveexec_b64 s[10:11], vcc
	s_cbranch_execz .LBB15_744
; %bb.739:
	s_mov_b32 s12, 0x37ffffff
	v_cmp_lt_u32_e32 vcc, s12, v6
	s_mov_b64 s[12:13], 0
                                        ; implicit-def: $vgpr3
	s_and_saveexec_b64 s[14:15], vcc
	s_xor_b64 s[14:15], exec, s[14:15]
	s_cbranch_execz .LBB15_852
; %bb.740:
	v_bfe_u32 v3, v2, 21, 1
	s_mov_b32 s16, 0x88fffff
	v_add3_u32 v3, v2, v3, s16
	s_mov_b64 s[12:13], exec
	v_lshrrev_b32_e32 v3, 21, v3
                                        ; implicit-def: $vgpr6
	s_or_saveexec_b64 s[14:15], s[14:15]
                                        ; implicit-def: $sgpr16
	s_xor_b64 exec, exec, s[14:15]
	s_cbranch_execnz .LBB15_853
.LBB15_741:
	s_or_b64 exec, exec, s[14:15]
	v_mov_b32_e32 v7, s16
	s_and_saveexec_b64 s[14:15], s[12:13]
.LBB15_742:
	v_lshrrev_b32_e32 v6, 24, v2
	s_movk_i32 s12, 0x80
	v_and_or_b32 v7, v6, s12, v3
.LBB15_743:
	s_or_b64 exec, exec, s[14:15]
.LBB15_744:
	s_or_b64 exec, exec, s[10:11]
	s_mov_b64 s[10:11], 0
	global_store_byte v[0:1], v7, off
.LBB15_745:
	s_and_b64 vcc, exec, s[10:11]
	s_cbranch_vccz .LBB15_755
; %bb.746:
	v_cndmask_b32_e64 v6, 0, |v5|, s[0:1]
	s_mov_b32 s10, 0x43f00000
	v_cmp_gt_u32_e32 vcc, s10, v6
                                        ; implicit-def: $vgpr3
	s_and_saveexec_b64 s[10:11], vcc
	s_xor_b64 s[10:11], exec, s[10:11]
	s_cbranch_execz .LBB15_752
; %bb.747:
	s_mov_b32 s12, 0x3c7fffff
	v_cmp_lt_u32_e32 vcc, s12, v6
                                        ; implicit-def: $vgpr3
	s_and_saveexec_b64 s[12:13], vcc
	s_xor_b64 s[12:13], exec, s[12:13]
; %bb.748:
	v_bfe_u32 v3, v2, 20, 1
	s_mov_b32 s14, 0x407ffff
	v_add3_u32 v3, v2, v3, s14
	v_lshrrev_b32_e32 v6, 20, v3
	v_and_b32_e32 v3, 0xff00000, v3
	s_mov_b32 s14, 0x7f00000
	v_mov_b32_e32 v7, 0x7e
	v_cmp_ne_u32_e32 vcc, s14, v3
	v_cndmask_b32_e32 v3, v7, v6, vcc
                                        ; implicit-def: $vgpr6
; %bb.749:
	s_andn2_saveexec_b64 s[12:13], s[12:13]
; %bb.750:
	v_add_f32_e32 v3, 0x46800000, v6
; %bb.751:
	s_or_b64 exec, exec, s[12:13]
                                        ; implicit-def: $vgpr6
.LBB15_752:
	s_andn2_saveexec_b64 s[10:11], s[10:11]
; %bb.753:
	s_mov_b32 s12, 0x7f800000
	v_mov_b32_e32 v3, 0x7e
	v_mov_b32_e32 v7, 0x7f
	v_cmp_lt_u32_e32 vcc, s12, v6
	v_cndmask_b32_e32 v3, v3, v7, vcc
; %bb.754:
	s_or_b64 exec, exec, s[10:11]
	v_lshrrev_b32_e32 v6, 24, v2
	s_movk_i32 s10, 0x80
	v_and_or_b32 v3, v6, s10, v3
	global_store_byte v[0:1], v3, off
.LBB15_755:
	s_mov_b64 s[10:11], 0
.LBB15_756:
	s_andn2_b64 vcc, exec, s[10:11]
	s_cbranch_vccnz .LBB15_766
; %bb.757:
	v_cndmask_b32_e64 v5, 0, |v5|, s[0:1]
	s_mov_b32 s0, 0x47800000
	v_cmp_gt_u32_e32 vcc, s0, v5
                                        ; implicit-def: $vgpr3
	s_and_saveexec_b64 s[0:1], vcc
	s_xor_b64 s[0:1], exec, s[0:1]
	s_cbranch_execz .LBB15_763
; %bb.758:
	s_mov_b32 s10, 0x387fffff
	v_cmp_lt_u32_e32 vcc, s10, v5
                                        ; implicit-def: $vgpr3
	s_and_saveexec_b64 s[10:11], vcc
	s_xor_b64 s[10:11], exec, s[10:11]
; %bb.759:
	v_bfe_u32 v3, v2, 21, 1
	s_mov_b32 s12, 0x80fffff
	v_add3_u32 v3, v2, v3, s12
	v_lshrrev_b32_e32 v3, 21, v3
                                        ; implicit-def: $vgpr5
; %bb.760:
	s_andn2_saveexec_b64 s[10:11], s[10:11]
; %bb.761:
	v_add_f32_e32 v3, 0x43000000, v5
; %bb.762:
	s_or_b64 exec, exec, s[10:11]
                                        ; implicit-def: $vgpr5
.LBB15_763:
	s_andn2_saveexec_b64 s[0:1], s[0:1]
; %bb.764:
	s_mov_b32 s10, 0x7f800000
	v_mov_b32_e32 v3, 0x7c
	v_mov_b32_e32 v6, 0x7f
	v_cmp_lt_u32_e32 vcc, s10, v5
	v_cndmask_b32_e32 v3, v3, v6, vcc
; %bb.765:
	s_or_b64 exec, exec, s[0:1]
	v_lshrrev_b32_e32 v5, 24, v2
	s_movk_i32 s0, 0x80
	v_and_or_b32 v3, v5, s0, v3
	global_store_byte v[0:1], v3, off
.LBB15_766:
	s_mov_b64 s[12:13], 0
	s_mov_b64 s[10:11], -1
.LBB15_767:
	s_andn2_b64 vcc, exec, s[12:13]
	s_cbranch_vccnz .LBB15_775
; %bb.768:
	v_mov_b32_e32 v3, 14
	v_cmp_gt_i16_sdwa s[12:13], s45, v3 src0_sel:BYTE_0 src1_sel:DWORD
	s_mov_b64 s[0:1], -1
	s_and_b64 vcc, exec, s[12:13]
	s_cbranch_vccz .LBB15_772
; %bb.769:
	v_mov_b32_e32 v3, 15
	v_cmp_eq_u16_sdwa s[0:1], s45, v3 src0_sel:BYTE_0 src1_sel:DWORD
	s_mov_b64 s[2:3], -1
	s_and_b64 vcc, exec, s[0:1]
	s_cbranch_vccz .LBB15_771
; %bb.770:
	v_bfe_u32 v3, v2, 16, 1
	s_movk_i32 s0, 0x7fff
	v_add3_u32 v3, v2, v3, s0
	v_lshrrev_b32_e32 v3, 16, v3
	v_mov_b32_e32 v5, 0x7fc0
	v_cmp_o_f32_e32 vcc, v2, v2
	v_cndmask_b32_e32 v3, v5, v3, vcc
	global_store_short v[0:1], v3, off
	s_mov_b64 s[10:11], -1
	s_mov_b64 s[2:3], 0
.LBB15_771:
	s_mov_b64 s[0:1], 0
.LBB15_772:
	s_and_b64 vcc, exec, s[0:1]
	s_cbranch_vccz .LBB15_775
; %bb.773:
	v_mov_b32_e32 v3, 11
	v_cmp_eq_u16_sdwa s[0:1], s45, v3 src0_sel:BYTE_0 src1_sel:DWORD
	s_mov_b64 s[2:3], -1
	s_and_b64 vcc, exec, s[0:1]
	s_cbranch_vccz .LBB15_775
; %bb.774:
	v_cmp_neq_f32_e32 vcc, 0, v2
	v_cndmask_b32_e64 v3, 0, 1, vcc
	s_mov_b64 s[10:11], -1
	s_mov_b64 s[2:3], 0
	global_store_byte v[0:1], v3, off
.LBB15_775:
	s_mov_b64 s[0:1], 0
.LBB15_776:
	s_and_b64 vcc, exec, s[0:1]
	s_cbranch_vccz .LBB15_815
; %bb.777:
	v_mov_b32_e32 v3, 5
	v_cmp_lt_i16_sdwa s[10:11], s45, v3 src0_sel:BYTE_0 src1_sel:DWORD
	s_mov_b64 s[0:1], -1
	s_and_b64 vcc, exec, s[10:11]
	s_cbranch_vccnz .LBB15_798
; %bb.778:
	v_mov_b32_e32 v3, 8
	v_cmp_lt_i16_sdwa s[10:11], s45, v3 src0_sel:BYTE_0 src1_sel:DWORD
	s_and_b64 vcc, exec, s[10:11]
	s_cbranch_vccnz .LBB15_788
; %bb.779:
	v_mov_b32_e32 v3, 9
	v_cmp_lt_i16_sdwa s[10:11], s45, v3 src0_sel:BYTE_0 src1_sel:DWORD
	s_and_b64 vcc, exec, s[10:11]
	s_cbranch_vccnz .LBB15_785
; %bb.780:
	v_cmp_gt_i16_sdwa s[10:11], s45, v3 src0_sel:BYTE_0 src1_sel:DWORD
	s_and_b64 vcc, exec, s[10:11]
	s_cbranch_vccz .LBB15_782
; %bb.781:
	v_mov_b32_e32 v12, 0
	v_cvt_f64_f32_e32 v[10:11], v2
	v_mov_b32_e32 v13, v12
	s_mov_b64 s[0:1], 0
	global_store_dwordx4 v[0:1], v[10:13], off
.LBB15_782:
	s_andn2_b64 vcc, exec, s[0:1]
	s_cbranch_vccnz .LBB15_784
; %bb.783:
	v_mov_b32_e32 v3, 0
	global_store_dwordx2 v[0:1], v[2:3], off
.LBB15_784:
	s_mov_b64 s[0:1], 0
.LBB15_785:
	s_andn2_b64 vcc, exec, s[0:1]
	s_cbranch_vccnz .LBB15_787
; %bb.786:
	v_cvt_f16_f32_e32 v3, v2
	global_store_dword v[0:1], v3, off
.LBB15_787:
	s_mov_b64 s[0:1], 0
.LBB15_788:
	s_andn2_b64 vcc, exec, s[0:1]
	s_cbranch_vccnz .LBB15_797
; %bb.789:
	v_mov_b32_e32 v3, 6
	v_cmp_lt_i16_sdwa s[10:11], s45, v3 src0_sel:BYTE_0 src1_sel:DWORD
	s_mov_b64 s[0:1], -1
	s_and_b64 vcc, exec, s[10:11]
	s_cbranch_vccnz .LBB15_795
; %bb.790:
	v_cmp_gt_i16_sdwa s[10:11], s45, v3 src0_sel:BYTE_0 src1_sel:DWORD
	s_and_b64 vcc, exec, s[10:11]
	s_cbranch_vccz .LBB15_792
; %bb.791:
	v_cvt_f64_f32_e32 v[6:7], v2
	s_mov_b64 s[0:1], 0
	global_store_dwordx2 v[0:1], v[6:7], off
.LBB15_792:
	s_andn2_b64 vcc, exec, s[0:1]
	s_cbranch_vccnz .LBB15_794
; %bb.793:
	global_store_dword v[0:1], v2, off
.LBB15_794:
	s_mov_b64 s[0:1], 0
.LBB15_795:
	s_andn2_b64 vcc, exec, s[0:1]
	s_cbranch_vccnz .LBB15_797
; %bb.796:
	v_cvt_f16_f32_e32 v3, v2
	global_store_short v[0:1], v3, off
.LBB15_797:
	s_mov_b64 s[0:1], 0
.LBB15_798:
	s_andn2_b64 vcc, exec, s[0:1]
	s_cbranch_vccnz .LBB15_814
; %bb.799:
	v_mov_b32_e32 v3, 2
	v_cmp_lt_i16_sdwa s[10:11], s45, v3 src0_sel:BYTE_0 src1_sel:DWORD
	s_mov_b64 s[0:1], -1
	s_and_b64 vcc, exec, s[10:11]
	s_cbranch_vccnz .LBB15_809
; %bb.800:
	v_mov_b32_e32 v3, 3
	v_cmp_lt_i16_sdwa s[10:11], s45, v3 src0_sel:BYTE_0 src1_sel:DWORD
	s_and_b64 vcc, exec, s[10:11]
	s_cbranch_vccnz .LBB15_806
; %bb.801:
	v_cmp_gt_i16_sdwa s[10:11], s45, v3 src0_sel:BYTE_0 src1_sel:DWORD
	s_and_b64 vcc, exec, s[10:11]
	s_cbranch_vccz .LBB15_803
; %bb.802:
	v_trunc_f32_e32 v3, v2
	s_mov_b32 s0, 0x2f800000
	v_mul_f32_e64 v5, |v3|, s0
	v_floor_f32_e32 v5, v5
	s_mov_b32 s0, 0xcf800000
	v_cvt_u32_f32_e32 v6, v5
	v_fma_f32 v5, v5, s0, |v3|
	v_cvt_u32_f32_e32 v5, v5
	v_ashrrev_i32_e32 v3, 31, v3
	v_xor_b32_e32 v7, v6, v3
	s_mov_b64 s[0:1], 0
	v_xor_b32_e32 v5, v5, v3
	v_sub_co_u32_e32 v6, vcc, v5, v3
	v_subb_co_u32_e32 v7, vcc, v7, v3, vcc
	global_store_dwordx2 v[0:1], v[6:7], off
.LBB15_803:
	s_andn2_b64 vcc, exec, s[0:1]
	s_cbranch_vccnz .LBB15_805
; %bb.804:
	v_cvt_i32_f32_e32 v3, v2
	global_store_dword v[0:1], v3, off
.LBB15_805:
	s_mov_b64 s[0:1], 0
.LBB15_806:
	s_andn2_b64 vcc, exec, s[0:1]
	s_cbranch_vccnz .LBB15_808
; %bb.807:
	v_cvt_i32_f32_e32 v3, v2
	global_store_short v[0:1], v3, off
.LBB15_808:
	s_mov_b64 s[0:1], 0
.LBB15_809:
	s_andn2_b64 vcc, exec, s[0:1]
	s_cbranch_vccnz .LBB15_814
; %bb.810:
	v_mov_b32_e32 v3, 0
	v_cmp_gt_i16_sdwa s[10:11], s45, v3 src0_sel:BYTE_0 src1_sel:DWORD
	s_mov_b64 s[0:1], -1
	s_and_b64 vcc, exec, s[10:11]
	s_cbranch_vccz .LBB15_812
; %bb.811:
	v_cvt_i32_f32_e32 v3, v2
	s_mov_b64 s[0:1], 0
	global_store_byte v[0:1], v3, off
.LBB15_812:
	s_andn2_b64 vcc, exec, s[0:1]
	s_cbranch_vccnz .LBB15_814
; %bb.813:
	v_trunc_f32_e32 v2, v2
	s_mov_b32 s0, 0x2f800000
	v_mul_f32_e64 v3, |v2|, s0
	v_floor_f32_e32 v3, v3
	s_mov_b32 s0, 0xcf800000
	v_fma_f32 v3, v3, s0, |v2|
	v_cvt_u32_f32_e32 v3, v3
	v_ashrrev_i32_e32 v2, 31, v2
	v_xor_b32_e32 v3, v3, v2
	v_sub_u32_e32 v2, v3, v2
	global_store_byte v[0:1], v2, off
.LBB15_814:
	s_mov_b64 s[10:11], -1
.LBB15_815:
	s_andn2_b64 vcc, exec, s[10:11]
	s_cbranch_vccnz .LBB15_817
; %bb.816:
	v_add_u32_e32 v8, 0x80, v8
	s_mov_b64 s[0:1], -1
	s_branch .LBB15_819
.LBB15_817:
	s_mov_b64 s[0:1], 0
.LBB15_818:
                                        ; implicit-def: $vgpr8
.LBB15_819:
	s_andn2_b64 s[10:11], s[62:63], exec
	s_and_b64 s[2:3], s[2:3], exec
	s_or_b64 s[70:71], s[10:11], s[2:3]
	s_andn2_b64 s[2:3], s[60:61], exec
	s_and_b64 s[8:9], s[8:9], exec
	s_or_b64 s[68:69], s[2:3], s[8:9]
	s_orn2_b64 s[2:3], s[0:1], exec
.LBB15_820:
	s_or_b64 exec, exec, s[66:67]
	s_mov_b64 s[0:1], 0
	s_mov_b64 s[8:9], 0
	;; [unrolled: 1-line block ×3, first 2 shown]
                                        ; implicit-def: $vgpr2_vgpr3
                                        ; implicit-def: $vgpr0
                                        ; implicit-def: $vgpr1
	s_and_saveexec_b64 s[66:67], s[2:3]
	s_cbranch_execz .LBB15_920
; %bb.821:
	v_cmp_gt_i32_e32 vcc, s74, v8
	s_mov_b64 s[2:3], 0
	s_mov_b64 s[12:13], s[68:69]
                                        ; implicit-def: $vgpr2_vgpr3
                                        ; implicit-def: $vgpr0
                                        ; implicit-def: $vgpr1
	s_and_saveexec_b64 s[72:73], vcc
	s_cbranch_execz .LBB15_919
; %bb.822:
	s_andn2_b64 vcc, exec, s[40:41]
	s_cbranch_vccnz .LBB15_828
; %bb.823:
	s_mov_b32 s74, 0
	s_andn2_b64 vcc, exec, s[52:53]
	v_mov_b32_e32 v2, 0
	v_mov_b32_e32 v0, 0
	s_cbranch_vccnz .LBB15_834
; %bb.824:
	s_add_i32 s77, s75, 1
	s_cmp_eq_u32 s76, 2
	s_cbranch_scc1 .LBB15_829
; %bb.825:
	s_and_b32 s74, s77, 28
	s_mov_b32 s75, 0
	v_mov_b32_e32 v0, 0
	s_mov_b64 s[52:53], s[34:35]
	v_mov_b32_e32 v3, v8
	v_mov_b32_e32 v2, 0
.LBB15_826:                             ; =>This Inner Loop Header: Depth=1
	s_load_dwordx8 s[16:23], s[52:53], 0x4
	s_load_dwordx4 s[0:3], s[52:53], 0x24
	s_load_dwordx8 s[8:15], s[50:51], 0x0
	s_add_u32 s52, s52, 48
	s_addc_u32 s53, s53, 0
	s_waitcnt lgkmcnt(0)
	v_mul_hi_u32 v1, s17, v3
	v_add_u32_e32 v1, v3, v1
	v_lshrrev_b32_e32 v1, s18, v1
	s_waitcnt vmcnt(0)
	v_mul_lo_u32 v5, v1, s16
	v_mul_hi_u32 v6, s20, v1
	v_sub_u32_e32 v3, v3, v5
	v_add_u32_e32 v5, v1, v6
	v_lshrrev_b32_e32 v5, s21, v5
	v_mul_lo_u32 v7, v5, s19
	v_mul_hi_u32 v9, s23, v5
	v_sub_u32_e32 v1, v1, v7
	v_add_u32_e32 v7, v5, v9
	v_mul_lo_u32 v6, v3, s9
	v_mul_lo_u32 v3, v3, s8
	;; [unrolled: 1-line block ×4, first 2 shown]
	v_lshrrev_b32_e32 v7, s0, v7
	v_add3_u32 v0, v3, v0, v1
	v_mul_hi_u32 v3, s2, v7
	v_add_u32_e32 v3, v7, v3
	v_lshrrev_b32_e32 v3, s3, v3
	s_add_i32 s75, s75, 4
	v_add3_u32 v1, v6, v2, v9
	v_mul_lo_u32 v2, v7, s22
	v_mul_lo_u32 v6, v3, s1
	s_add_u32 s50, s50, 32
	v_sub_u32_e32 v2, v5, v2
	v_sub_u32_e32 v6, v7, v6
	s_addc_u32 s51, s51, 0
	v_mul_lo_u32 v5, v2, s12
	v_mul_lo_u32 v2, v2, s13
	;; [unrolled: 1-line block ×4, first 2 shown]
	s_cmp_eq_u32 s74, s75
	v_add3_u32 v2, v2, v1, v6
	v_add3_u32 v0, v5, v0, v7
	s_cbranch_scc0 .LBB15_826
; %bb.827:
	v_mov_b32_e32 v1, v2
	s_branch .LBB15_830
.LBB15_828:
	s_mov_b64 s[0:1], -1
                                        ; implicit-def: $vgpr2
                                        ; implicit-def: $vgpr0
	s_branch .LBB15_835
.LBB15_829:
	s_mov_b32 s75, s74
	v_pk_mov_b32 v[0:1], s[74:75], s[74:75] op_sel:[0,1]
                                        ; implicit-def: $vgpr2
	v_mov_b32_e32 v3, v8
.LBB15_830:
	s_and_b32 s8, s77, 3
	s_cmp_eq_u32 s8, 0
	s_cbranch_scc1 .LBB15_834
; %bb.831:
	s_lshl_b32 s0, s74, 3
	s_add_u32 s0, s0, s34
	s_addc_u32 s1, s35, 0
	s_add_u32 s0, s0, 0xc4
	s_addc_u32 s1, s1, 0
	s_mul_i32 s2, s74, 12
	s_add_u32 s2, s34, s2
	s_addc_u32 s3, s35, 0
.LBB15_832:                             ; =>This Inner Loop Header: Depth=1
	s_load_dwordx2 s[10:11], s[2:3], 0x4
	s_load_dword s9, s[2:3], 0xc
	s_load_dwordx2 s[12:13], s[0:1], 0x0
	v_mov_b32_e32 v2, v1
	s_add_u32 s2, s2, 12
	s_waitcnt lgkmcnt(0)
	v_mul_hi_u32 v1, s11, v3
	v_add_u32_e32 v1, v3, v1
	v_lshrrev_b32_e32 v1, s9, v1
	s_addc_u32 s3, s3, 0
	s_waitcnt vmcnt(0)
	v_mul_lo_u32 v5, v1, s10
	s_add_u32 s0, s0, 8
	v_sub_u32_e32 v5, v3, v5
	v_mov_b32_e32 v3, v1
	s_addc_u32 s1, s1, 0
	s_add_i32 s8, s8, -1
	v_mad_u64_u32 v[6:7], s[10:11], v5, s13, v[2:3]
	v_mad_u64_u32 v[0:1], s[10:11], v5, s12, v[0:1]
	s_cmp_lg_u32 s8, 0
	v_mov_b32_e32 v1, v6
	s_cbranch_scc1 .LBB15_832
; %bb.833:
	v_mov_b32_e32 v2, v1
.LBB15_834:
	s_mov_b64 s[0:1], 0
.LBB15_835:
	s_andn2_b64 vcc, exec, s[0:1]
	s_cbranch_vccnz .LBB15_838
; %bb.836:
	v_mul_hi_u32 v0, s29, v8
	v_add_u32_e32 v0, v8, v0
	v_lshrrev_b32_e32 v1, s30, v0
	v_mul_lo_u32 v0, v1, s28
	v_sub_u32_e32 v0, v8, v0
	v_mul_lo_u32 v2, v0, s37
	s_andn2_b64 vcc, exec, s[48:49]
	v_mul_lo_u32 v0, v0, s36
	s_cbranch_vccnz .LBB15_838
; %bb.837:
	v_mul_hi_u32 v3, s46, v1
	v_add_u32_e32 v3, v1, v3
	v_lshrrev_b32_e32 v3, s47, v3
	v_mul_lo_u32 v3, v3, s31
	v_sub_u32_e32 v3, v1, v3
	v_mad_u64_u32 v[0:1], s[0:1], v3, s38, v[0:1]
	v_mad_u64_u32 v[2:3], s[0:1], v3, s39, v[2:3]
.LBB15_838:
	v_mov_b32_e32 v1, s27
	v_add_co_u32_e32 v2, vcc, s26, v2
	v_addc_co_u32_e32 v3, vcc, 0, v1, vcc
	v_cmp_gt_i16_e32 vcc, 11, v4
	s_cbranch_vccnz .LBB15_845
; %bb.839:
	v_cmp_lt_i16_e32 vcc, 25, v4
	s_mov_b64 s[2:3], 0
	s_cbranch_vccz .LBB15_846
; %bb.840:
	v_cmp_lt_i16_e32 vcc, 28, v4
	s_cbranch_vccz .LBB15_847
; %bb.841:
	v_cmp_lt_i16_e32 vcc, 43, v4
	;; [unrolled: 3-line block ×3, first 2 shown]
	s_cbranch_vccz .LBB15_851
; %bb.843:
	v_cmp_eq_u16_e32 vcc, 46, v4
	s_mov_b64 s[10:11], 0
	s_cbranch_vccz .LBB15_854
; %bb.844:
	global_load_dword v1, v[2:3], off
	s_mov_b64 s[0:1], 0
	s_mov_b64 s[8:9], -1
	s_waitcnt vmcnt(0)
	v_lshlrev_b32_e32 v1, 16, v1
	s_branch .LBB15_855
.LBB15_845:
	s_mov_b64 s[12:13], -1
	s_mov_b64 s[8:9], 0
	s_mov_b64 s[2:3], 0
	;; [unrolled: 1-line block ×3, first 2 shown]
                                        ; implicit-def: $vgpr1
	s_branch .LBB15_918
.LBB15_846:
	s_mov_b64 s[10:11], -1
	s_mov_b64 s[8:9], 0
	s_mov_b64 s[0:1], s[68:69]
                                        ; implicit-def: $vgpr1
	s_branch .LBB15_884
.LBB15_847:
	s_mov_b64 s[10:11], -1
	s_mov_b64 s[8:9], 0
	s_mov_b64 s[0:1], s[68:69]
                                        ; implicit-def: $vgpr1
	s_branch .LBB15_865
.LBB15_848:
	s_mov_b64 s[10:11], -1
	s_mov_b64 s[8:9], 0
	s_mov_b64 s[0:1], s[68:69]
                                        ; implicit-def: $vgpr1
	s_branch .LBB15_860
.LBB15_849:
	s_or_saveexec_b64 s[14:15], s[14:15]
                                        ; implicit-def: $sgpr16
	s_xor_b64 exec, exec, s[14:15]
	s_cbranch_execz .LBB15_728
.LBB15_850:
	v_add_f32_e32 v3, 0x46000000, v6
	v_and_b32_e32 v3, 0xff, v3
	v_cmp_ne_u32_e32 vcc, 0, v3
	s_andn2_b64 s[12:13], s[12:13], exec
	s_and_b64 s[18:19], vcc, exec
	s_mov_b32 s16, 0
	s_or_b64 s[12:13], s[12:13], s[18:19]
	s_or_b64 exec, exec, s[14:15]
	v_mov_b32_e32 v7, s16
	s_and_saveexec_b64 s[14:15], s[12:13]
	s_cbranch_execnz .LBB15_729
	s_branch .LBB15_730
.LBB15_851:
	s_mov_b64 s[10:11], -1
	s_mov_b64 s[8:9], 0
	s_mov_b64 s[0:1], s[68:69]
                                        ; implicit-def: $vgpr1
	s_branch .LBB15_855
.LBB15_852:
	s_or_saveexec_b64 s[14:15], s[14:15]
                                        ; implicit-def: $sgpr16
	s_xor_b64 exec, exec, s[14:15]
	s_cbranch_execz .LBB15_741
.LBB15_853:
	v_add_f32_e32 v3, 0x42800000, v6
	v_and_b32_e32 v3, 0xff, v3
	v_cmp_ne_u32_e32 vcc, 0, v3
	s_andn2_b64 s[12:13], s[12:13], exec
	s_and_b64 s[18:19], vcc, exec
	s_mov_b32 s16, 0
	s_or_b64 s[12:13], s[12:13], s[18:19]
	s_or_b64 exec, exec, s[14:15]
	v_mov_b32_e32 v7, s16
	s_and_saveexec_b64 s[14:15], s[12:13]
	s_cbranch_execnz .LBB15_742
	s_branch .LBB15_743
.LBB15_854:
	s_mov_b64 s[0:1], -1
                                        ; implicit-def: $vgpr1
	s_mov_b64 s[8:9], 0
.LBB15_855:
	s_and_b64 vcc, exec, s[10:11]
	s_cbranch_vccz .LBB15_859
; %bb.856:
	v_cmp_eq_u16_e32 vcc, 44, v4
	s_cbranch_vccz .LBB15_858
; %bb.857:
	global_load_ubyte v1, v[2:3], off
	s_movk_i32 s8, 0xff
	s_waitcnt vmcnt(1)
	v_mov_b32_e32 v5, 0x7f800001
	v_mov_b32_e32 v6, 0x400000
	s_mov_b64 s[0:1], 0
	s_waitcnt vmcnt(0)
	v_lshlrev_b32_e32 v7, 23, v1
	v_cmp_ne_u32_e32 vcc, s8, v1
	v_cndmask_b32_e32 v5, v5, v7, vcc
	v_cmp_ne_u32_e32 vcc, 0, v1
	v_cndmask_b32_e32 v1, v6, v5, vcc
	s_mov_b64 s[8:9], -1
	s_branch .LBB15_859
.LBB15_858:
	s_mov_b64 s[0:1], -1
                                        ; implicit-def: $vgpr1
.LBB15_859:
	s_mov_b64 s[10:11], 0
.LBB15_860:
	s_and_b64 vcc, exec, s[10:11]
	s_cbranch_vccz .LBB15_864
; %bb.861:
	v_cmp_eq_u16_e32 vcc, 29, v4
	s_cbranch_vccz .LBB15_863
; %bb.862:
	global_load_dwordx2 v[6:7], v[2:3], off
	s_mov_b64 s[0:1], 0
	s_mov_b64 s[8:9], -1
	s_mov_b64 s[10:11], 0
	s_waitcnt vmcnt(0)
	v_ffbh_u32_e32 v1, v7
	v_min_u32_e32 v1, 32, v1
	v_lshlrev_b64 v[6:7], v1, v[6:7]
	v_min_u32_e32 v5, 1, v6
	v_or_b32_e32 v5, v7, v5
	v_cvt_f32_u32_e32 v5, v5
	v_sub_u32_e32 v1, 32, v1
	v_ldexp_f32 v1, v5, v1
	s_branch .LBB15_865
.LBB15_863:
	s_mov_b64 s[0:1], -1
                                        ; implicit-def: $vgpr1
.LBB15_864:
	s_mov_b64 s[10:11], 0
.LBB15_865:
	s_and_b64 vcc, exec, s[10:11]
	s_cbranch_vccz .LBB15_883
; %bb.866:
	v_cmp_gt_i16_e32 vcc, 27, v4
	s_cbranch_vccnz .LBB15_869
; %bb.867:
	v_cmp_lt_i16_e32 vcc, 27, v4
	s_cbranch_vccz .LBB15_870
; %bb.868:
	global_load_dword v1, v[2:3], off
	s_mov_b64 s[8:9], 0
	s_waitcnt vmcnt(0)
	v_cvt_f32_u32_e32 v1, v1
	s_branch .LBB15_871
.LBB15_869:
	s_mov_b64 s[8:9], -1
                                        ; implicit-def: $vgpr1
	s_branch .LBB15_874
.LBB15_870:
	s_mov_b64 s[8:9], -1
                                        ; implicit-def: $vgpr1
.LBB15_871:
	s_andn2_b64 vcc, exec, s[8:9]
	s_cbranch_vccnz .LBB15_873
; %bb.872:
	global_load_ushort v1, v[2:3], off
	s_waitcnt vmcnt(0)
	v_cvt_f32_u32_e32 v1, v1
.LBB15_873:
	s_mov_b64 s[8:9], 0
.LBB15_874:
	s_andn2_b64 vcc, exec, s[8:9]
	s_cbranch_vccnz .LBB15_882
; %bb.875:
	global_load_ubyte v5, v[2:3], off
	s_movk_i32 s8, 0x7f
                                        ; implicit-def: $sgpr14
	s_waitcnt vmcnt(0)
	v_cmp_lt_i16_e32 vcc, s8, v5
	s_mov_b64 s[8:9], 0
	s_and_saveexec_b64 s[10:11], vcc
	s_xor_b64 s[10:11], exec, s[10:11]
	s_cbranch_execz .LBB15_896
; %bb.876:
	s_movk_i32 s8, 0x80
	v_cmp_eq_u16_e32 vcc, s8, v5
	s_mov_b64 s[8:9], -1
                                        ; implicit-def: $sgpr14
	s_and_saveexec_b64 s[12:13], vcc
; %bb.877:
	s_mov_b32 s14, 0x7f800001
	s_xor_b64 s[8:9], exec, -1
; %bb.878:
	s_or_b64 exec, exec, s[12:13]
	s_and_b64 s[8:9], s[8:9], exec
	s_or_saveexec_b64 s[10:11], s[10:11]
	v_mov_b32_e32 v1, s14
	s_xor_b64 exec, exec, s[10:11]
	s_cbranch_execnz .LBB15_897
.LBB15_879:
	s_or_b64 exec, exec, s[10:11]
	s_and_saveexec_b64 s[10:11], s[8:9]
	s_cbranch_execz .LBB15_881
.LBB15_880:
	v_lshlrev_b32_e32 v1, 24, v5
	v_and_b32_e32 v5, 0xffff, v5
	v_and_b32_e32 v6, 7, v5
	v_ffbh_u32_e32 v8, v6
	v_min_u32_e32 v8, 32, v8
	v_subrev_u32_e32 v9, 28, v8
	v_bfe_u32 v7, v5, 3, 4
	v_lshlrev_b32_e32 v5, v9, v5
	v_sub_u32_e32 v8, 29, v8
	v_and_b32_e32 v5, 7, v5
	v_cmp_eq_u32_e32 vcc, 0, v7
	v_cndmask_b32_e32 v7, v7, v8, vcc
	v_cndmask_b32_e32 v5, v6, v5, vcc
	v_mov_b32_e32 v6, 0x3b800000
	v_lshlrev_b32_e32 v5, 20, v5
	v_and_b32_e32 v1, 0x80000000, v1
	v_lshl_add_u32 v6, v7, 23, v6
	v_or3_b32 v1, v1, v6, v5
.LBB15_881:
	s_or_b64 exec, exec, s[10:11]
.LBB15_882:
	s_mov_b64 s[8:9], -1
.LBB15_883:
	s_mov_b64 s[10:11], 0
.LBB15_884:
	s_and_b64 vcc, exec, s[10:11]
	s_cbranch_vccz .LBB15_917
; %bb.885:
	v_cmp_lt_i16_e32 vcc, 22, v4
	s_cbranch_vccz .LBB15_895
; %bb.886:
	v_cmp_gt_i16_e32 vcc, 24, v4
	s_cbranch_vccnz .LBB15_898
; %bb.887:
	v_cmp_lt_i16_e32 vcc, 24, v4
	s_cbranch_vccz .LBB15_899
; %bb.888:
	global_load_ubyte v5, v[2:3], off
	s_movk_i32 s2, 0x7f
                                        ; implicit-def: $sgpr12
	s_waitcnt vmcnt(0)
	v_cmp_lt_i16_e32 vcc, s2, v5
	s_mov_b64 s[2:3], 0
	s_and_saveexec_b64 s[8:9], vcc
	s_xor_b64 s[8:9], exec, s[8:9]
	s_cbranch_execz .LBB15_911
; %bb.889:
	s_movk_i32 s2, 0x80
	v_cmp_eq_u16_e32 vcc, s2, v5
	s_mov_b64 s[2:3], -1
                                        ; implicit-def: $sgpr12
	s_and_saveexec_b64 s[10:11], vcc
; %bb.890:
	s_mov_b32 s12, 0x7f800001
	s_xor_b64 s[2:3], exec, -1
; %bb.891:
	s_or_b64 exec, exec, s[10:11]
	s_and_b64 s[2:3], s[2:3], exec
	s_or_saveexec_b64 s[8:9], s[8:9]
	v_mov_b32_e32 v1, s12
	s_xor_b64 exec, exec, s[8:9]
	s_cbranch_execnz .LBB15_912
.LBB15_892:
	s_or_b64 exec, exec, s[8:9]
	s_and_saveexec_b64 s[8:9], s[2:3]
	s_cbranch_execz .LBB15_894
.LBB15_893:
	v_lshlrev_b32_e32 v1, 24, v5
	v_and_b32_e32 v5, 0xffff, v5
	v_and_b32_e32 v6, 3, v5
	v_ffbh_u32_e32 v8, v6
	v_min_u32_e32 v8, 32, v8
	v_subrev_u32_e32 v9, 29, v8
	v_bfe_u32 v7, v5, 2, 5
	v_lshlrev_b32_e32 v5, v9, v5
	v_sub_u32_e32 v8, 30, v8
	v_and_b32_e32 v5, 3, v5
	v_cmp_eq_u32_e32 vcc, 0, v7
	v_cndmask_b32_e32 v7, v7, v8, vcc
	v_cndmask_b32_e32 v5, v6, v5, vcc
	v_mov_b32_e32 v6, 0x37800000
	v_lshlrev_b32_e32 v5, 21, v5
	v_and_b32_e32 v1, 0x80000000, v1
	v_lshl_add_u32 v6, v7, 23, v6
	v_or3_b32 v1, v1, v6, v5
.LBB15_894:
	s_or_b64 exec, exec, s[8:9]
	s_mov_b64 s[2:3], 0
	s_branch .LBB15_900
.LBB15_895:
	s_mov_b64 s[2:3], -1
                                        ; implicit-def: $vgpr1
	s_branch .LBB15_906
.LBB15_896:
	s_or_saveexec_b64 s[10:11], s[10:11]
	v_mov_b32_e32 v1, s14
	s_xor_b64 exec, exec, s[10:11]
	s_cbranch_execz .LBB15_879
.LBB15_897:
	v_cmp_ne_u16_e32 vcc, 0, v5
	s_andn2_b64 s[8:9], s[8:9], exec
	s_and_b64 s[12:13], vcc, exec
	v_mov_b32_e32 v1, 0
	s_or_b64 s[8:9], s[8:9], s[12:13]
	s_or_b64 exec, exec, s[10:11]
	s_and_saveexec_b64 s[10:11], s[8:9]
	s_cbranch_execnz .LBB15_880
	s_branch .LBB15_881
.LBB15_898:
	s_mov_b64 s[2:3], -1
                                        ; implicit-def: $vgpr1
	s_branch .LBB15_903
.LBB15_899:
	s_mov_b64 s[2:3], -1
                                        ; implicit-def: $vgpr1
.LBB15_900:
	s_and_b64 vcc, exec, s[2:3]
	s_cbranch_vccz .LBB15_902
; %bb.901:
	global_load_ubyte v1, v[2:3], off
	s_mov_b32 s2, 0x7f800000
	s_waitcnt vmcnt(0)
	v_lshlrev_b32_e32 v1, 24, v1
	v_and_b32_e32 v5, 0x7f000000, v1
	v_ffbh_u32_e32 v6, v5
	v_min_u32_e32 v6, 32, v6
	v_sub_u32_e64 v6, v6, 4 clamp
	v_lshlrev_b32_e32 v8, v6, v5
	v_lshlrev_b32_e32 v6, 23, v6
	v_lshrrev_b32_e32 v8, 4, v8
	v_add_u32_e32 v7, 0x1000000, v5
	v_sub_u32_e32 v6, v8, v6
	v_ashrrev_i32_e32 v7, 8, v7
	v_add_u32_e32 v6, 0x3c000000, v6
	v_and_or_b32 v6, v7, s2, v6
	v_cmp_ne_u32_e32 vcc, 0, v5
	v_cndmask_b32_e32 v5, 0, v6, vcc
	s_brev_b32 s2, 1
	v_and_or_b32 v1, v1, s2, v5
.LBB15_902:
	s_mov_b64 s[2:3], 0
.LBB15_903:
	s_andn2_b64 vcc, exec, s[2:3]
	s_cbranch_vccnz .LBB15_905
; %bb.904:
	global_load_ubyte v1, v[2:3], off
	s_movk_i32 s2, 0x7f00
	s_brev_b32 s3, 16
	s_waitcnt vmcnt(0)
	v_lshlrev_b16_e32 v5, 8, v1
	v_lshlrev_b32_e32 v1, 25, v1
	v_lshrrev_b32_e32 v6, 4, v1
	v_and_or_b32 v7, v5, s2, 0.5
	v_or_b32_e32 v6, 0x70000000, v6
	v_add_f32_e32 v7, -0.5, v7
	v_mul_f32_e32 v6, 0x7800000, v6
	v_cmp_gt_u32_e32 vcc, s3, v1
	v_bfe_i32 v5, v5, 0, 16
	v_cndmask_b32_e32 v1, v6, v7, vcc
	s_brev_b32 s2, 1
	v_and_or_b32 v1, v5, s2, v1
.LBB15_905:
	s_mov_b64 s[2:3], 0
	s_mov_b64 s[8:9], -1
.LBB15_906:
	s_andn2_b64 vcc, exec, s[2:3]
	s_mov_b64 s[2:3], 0
	s_cbranch_vccnz .LBB15_917
; %bb.907:
	v_cmp_lt_i16_e32 vcc, 14, v4
	s_cbranch_vccz .LBB15_910
; %bb.908:
	v_cmp_eq_u16_e32 vcc, 15, v4
	s_cbranch_vccz .LBB15_913
; %bb.909:
	global_load_ushort v1, v[2:3], off
	s_mov_b64 s[0:1], 0
	s_mov_b64 s[8:9], -1
	s_waitcnt vmcnt(0)
	v_lshlrev_b32_e32 v1, 16, v1
	s_branch .LBB15_914
.LBB15_910:
	s_mov_b64 s[10:11], -1
                                        ; implicit-def: $vgpr1
	s_branch .LBB15_915
.LBB15_911:
	s_or_saveexec_b64 s[8:9], s[8:9]
	v_mov_b32_e32 v1, s12
	s_xor_b64 exec, exec, s[8:9]
	s_cbranch_execz .LBB15_892
.LBB15_912:
	v_cmp_ne_u16_e32 vcc, 0, v5
	s_andn2_b64 s[2:3], s[2:3], exec
	s_and_b64 s[10:11], vcc, exec
	v_mov_b32_e32 v1, 0
	s_or_b64 s[2:3], s[2:3], s[10:11]
	s_or_b64 exec, exec, s[8:9]
	s_and_saveexec_b64 s[8:9], s[2:3]
	s_cbranch_execnz .LBB15_893
	s_branch .LBB15_894
.LBB15_913:
	s_mov_b64 s[0:1], -1
                                        ; implicit-def: $vgpr1
.LBB15_914:
	s_mov_b64 s[10:11], 0
.LBB15_915:
	s_and_b64 vcc, exec, s[10:11]
	s_cbranch_vccz .LBB15_917
; %bb.916:
	v_cmp_ne_u16_e32 vcc, 11, v4
	s_andn2_b64 s[0:1], s[0:1], exec
	s_and_b64 s[10:11], vcc, exec
	s_mov_b64 s[2:3], -1
	s_or_b64 s[0:1], s[0:1], s[10:11]
                                        ; implicit-def: $vgpr1
.LBB15_917:
	s_mov_b64 s[12:13], 0
.LBB15_918:
	s_and_b64 s[10:11], s[8:9], exec
	s_and_b64 s[8:9], s[12:13], exec
	s_andn2_b64 s[12:13], s[68:69], exec
	s_and_b64 s[0:1], s[0:1], exec
	s_and_b64 s[2:3], s[2:3], exec
	s_or_b64 s[12:13], s[12:13], s[0:1]
.LBB15_919:
	s_or_b64 exec, exec, s[72:73]
	s_and_b64 s[0:1], s[2:3], exec
	s_andn2_b64 s[2:3], s[68:69], exec
	s_and_b64 s[12:13], s[12:13], exec
	s_and_b64 s[10:11], s[10:11], exec
	;; [unrolled: 1-line block ×3, first 2 shown]
	s_or_b64 s[68:69], s[2:3], s[12:13]
.LBB15_920:
	s_or_b64 exec, exec, s[66:67]
	s_andn2_b64 s[2:3], s[62:63], exec
	s_and_b64 s[12:13], s[70:71], exec
	s_or_b64 s[62:63], s[2:3], s[12:13]
	s_and_b64 s[2:3], s[0:1], exec
	s_andn2_b64 s[0:1], s[60:61], exec
	s_and_b64 s[12:13], s[68:69], exec
	s_and_b64 s[10:11], s[10:11], exec
	;; [unrolled: 1-line block ×3, first 2 shown]
	s_or_b64 s[60:61], s[0:1], s[12:13]
.LBB15_921:
	s_or_b64 exec, exec, s[64:65]
	s_andn2_b64 s[0:1], s[54:55], exec
	s_and_b64 s[12:13], s[62:63], exec
	s_or_b64 s[54:55], s[0:1], s[12:13]
	s_and_b64 s[0:1], s[10:11], exec
	s_and_b64 s[10:11], s[8:9], exec
	;; [unrolled: 1-line block ×3, first 2 shown]
	s_andn2_b64 s[2:3], s[56:57], exec
	s_and_b64 s[8:9], s[60:61], exec
	s_or_b64 s[56:57], s[2:3], s[8:9]
	s_or_b64 exec, exec, s[58:59]
	s_mov_b64 s[8:9], 0
	s_and_saveexec_b64 s[2:3], s[56:57]
	s_cbranch_execz .LBB15_276
.LBB15_922:
	s_mov_b64 s[8:9], exec
	s_andn2_b64 s[62:63], s[62:63], exec
	s_trap 2
                                        ; implicit-def: $vgpr1
	s_or_b64 exec, exec, s[2:3]
	s_and_saveexec_b64 s[2:3], s[62:63]
	s_xor_b64 s[2:3], exec, s[2:3]
	s_cbranch_execnz .LBB15_277
.LBB15_923:
	s_or_b64 exec, exec, s[2:3]
	s_and_saveexec_b64 s[2:3], s[10:11]
	s_cbranch_execz .LBB15_969
.LBB15_924:
	v_cmp_gt_i16_e32 vcc, 5, v4
	s_cbranch_vccnz .LBB15_929
; %bb.925:
	v_cmp_gt_i16_e32 vcc, 8, v4
	s_cbranch_vccnz .LBB15_930
; %bb.926:
	;; [unrolled: 3-line block ×3, first 2 shown]
	v_cmp_lt_i16_e32 vcc, 9, v4
	s_cbranch_vccz .LBB15_932
; %bb.928:
	global_load_dwordx2 v[6:7], v[2:3], off
	s_mov_b64 s[10:11], 0
	s_waitcnt vmcnt(0)
	v_cvt_f32_f64_e32 v1, v[6:7]
	s_branch .LBB15_933
.LBB15_929:
                                        ; implicit-def: $vgpr1
	s_branch .LBB15_950
.LBB15_930:
                                        ; implicit-def: $vgpr1
	s_branch .LBB15_939
.LBB15_931:
	s_mov_b64 s[10:11], -1
                                        ; implicit-def: $vgpr1
	s_branch .LBB15_936
.LBB15_932:
	s_mov_b64 s[10:11], -1
                                        ; implicit-def: $vgpr1
.LBB15_933:
	s_andn2_b64 vcc, exec, s[10:11]
	s_cbranch_vccnz .LBB15_935
; %bb.934:
	global_load_dword v1, v[2:3], off
.LBB15_935:
	s_mov_b64 s[10:11], 0
.LBB15_936:
	s_andn2_b64 vcc, exec, s[10:11]
	s_cbranch_vccnz .LBB15_938
; %bb.937:
	global_load_dword v1, v[2:3], off
	s_waitcnt vmcnt(0)
	v_cvt_f32_f16_e32 v1, v1
.LBB15_938:
	s_cbranch_execnz .LBB15_949
.LBB15_939:
	v_cmp_gt_i16_e32 vcc, 6, v4
	s_cbranch_vccnz .LBB15_942
; %bb.940:
	v_cmp_lt_i16_e32 vcc, 6, v4
	s_cbranch_vccz .LBB15_943
; %bb.941:
	global_load_dwordx2 v[6:7], v[2:3], off
	s_mov_b64 s[10:11], 0
	s_waitcnt vmcnt(0)
	v_cvt_f32_f64_e32 v1, v[6:7]
	s_branch .LBB15_944
.LBB15_942:
	s_mov_b64 s[10:11], -1
                                        ; implicit-def: $vgpr1
	s_branch .LBB15_947
.LBB15_943:
	s_mov_b64 s[10:11], -1
                                        ; implicit-def: $vgpr1
.LBB15_944:
	s_andn2_b64 vcc, exec, s[10:11]
	s_cbranch_vccnz .LBB15_946
; %bb.945:
	global_load_dword v1, v[2:3], off
.LBB15_946:
	s_mov_b64 s[10:11], 0
.LBB15_947:
	s_andn2_b64 vcc, exec, s[10:11]
	s_cbranch_vccnz .LBB15_949
; %bb.948:
	global_load_ushort v1, v[2:3], off
	s_waitcnt vmcnt(0)
	v_cvt_f32_f16_e32 v1, v1
.LBB15_949:
	s_cbranch_execnz .LBB15_968
.LBB15_950:
	v_cmp_gt_i16_e32 vcc, 2, v4
	s_cbranch_vccnz .LBB15_954
; %bb.951:
	v_cmp_gt_i16_e32 vcc, 3, v4
	s_cbranch_vccnz .LBB15_955
; %bb.952:
	v_cmp_lt_i16_e32 vcc, 3, v4
	s_cbranch_vccz .LBB15_956
; %bb.953:
	global_load_dwordx2 v[6:7], v[2:3], off
	s_mov_b64 s[10:11], 0
	s_waitcnt vmcnt(0)
	v_xor_b32_e32 v5, v6, v7
	v_ffbh_i32_e32 v1, v7
	v_ashrrev_i32_e32 v5, 31, v5
	v_add_u32_e32 v1, -1, v1
	v_add_u32_e32 v5, 32, v5
	v_min_u32_e32 v1, v1, v5
	v_lshlrev_b64 v[6:7], v1, v[6:7]
	v_min_u32_e32 v5, 1, v6
	v_or_b32_e32 v5, v7, v5
	v_cvt_f32_i32_e32 v5, v5
	v_sub_u32_e32 v1, 32, v1
	v_ldexp_f32 v1, v5, v1
	s_branch .LBB15_957
.LBB15_954:
                                        ; implicit-def: $vgpr1
	s_branch .LBB15_963
.LBB15_955:
	s_mov_b64 s[10:11], -1
                                        ; implicit-def: $vgpr1
	s_branch .LBB15_960
.LBB15_956:
	s_mov_b64 s[10:11], -1
                                        ; implicit-def: $vgpr1
.LBB15_957:
	s_andn2_b64 vcc, exec, s[10:11]
	s_cbranch_vccnz .LBB15_959
; %bb.958:
	global_load_dword v1, v[2:3], off
	s_waitcnt vmcnt(0)
	v_cvt_f32_i32_e32 v1, v1
.LBB15_959:
	s_mov_b64 s[10:11], 0
.LBB15_960:
	s_andn2_b64 vcc, exec, s[10:11]
	s_cbranch_vccnz .LBB15_962
; %bb.961:
	global_load_sshort v1, v[2:3], off
	s_waitcnt vmcnt(0)
	v_cvt_f32_i32_e32 v1, v1
.LBB15_962:
	s_cbranch_execnz .LBB15_968
.LBB15_963:
	v_cmp_lt_i16_e32 vcc, 0, v4
	s_cbranch_vccz .LBB15_965
; %bb.964:
	global_load_sbyte v1, v[2:3], off
	s_mov_b64 s[10:11], 0
	s_waitcnt vmcnt(0)
	v_cvt_f32_i32_e32 v1, v1
	s_branch .LBB15_966
.LBB15_965:
	s_mov_b64 s[10:11], -1
                                        ; implicit-def: $vgpr1
.LBB15_966:
	s_andn2_b64 vcc, exec, s[10:11]
	s_cbranch_vccnz .LBB15_968
; %bb.967:
	global_load_ubyte v1, v[2:3], off
	s_waitcnt vmcnt(0)
	v_cvt_f32_ubyte0_e32 v1, v1
.LBB15_968:
	s_or_b64 s[0:1], s[0:1], exec
.LBB15_969:
	s_or_b64 exec, exec, s[2:3]
	s_mov_b64 s[14:15], 0
	s_mov_b64 s[12:13], 0
                                        ; implicit-def: $vgpr6
                                        ; implicit-def: $vgpr2_vgpr3
                                        ; implicit-def: $vgpr4
	s_and_saveexec_b64 s[10:11], s[0:1]
	s_cbranch_execz .LBB15_987
; %bb.970:
	s_waitcnt vmcnt(0)
	v_cmp_nge_f32_e64 s[0:1], v1, -s44
	v_cmp_nge_f32_e32 vcc, s44, v1
	s_or_b64 s[0:1], s[0:1], vcc
	v_mov_b32_e32 v3, s25
	v_add_co_u32_e32 v2, vcc, s24, v0
	v_mov_b32_e32 v0, 0xff
	v_addc_co_u32_e32 v3, vcc, 0, v3, vcc
	v_and_b32_e32 v6, s45, v0
	v_cmp_gt_i16_e32 vcc, 11, v6
	v_cndmask_b32_e64 v4, 0, v1, s[0:1]
	s_cbranch_vccnz .LBB15_990
; %bb.971:
	v_cmp_lt_i16_e32 vcc, 25, v6
	s_mov_b64 s[14:15], -1
	s_mov_b64 s[2:3], s[54:55]
	s_cbranch_vccz .LBB15_1008
; %bb.972:
	v_cmp_lt_i16_e32 vcc, 28, v6
	s_mov_b64 s[12:13], -1
	s_mov_b64 s[2:3], s[54:55]
	s_cbranch_vccz .LBB15_992
; %bb.973:
	v_cmp_lt_i16_e32 vcc, 43, v6
	s_mov_b64 s[2:3], s[54:55]
	s_cbranch_vccz .LBB15_984
; %bb.974:
	v_cmp_lt_i16_e32 vcc, 45, v6
	s_mov_b64 s[2:3], s[54:55]
	s_cbranch_vccz .LBB15_978
; %bb.975:
	v_cmp_eq_u16_e32 vcc, 46, v6
	s_mov_b64 s[2:3], -1
	s_cbranch_vccz .LBB15_977
; %bb.976:
	v_bfe_u32 v0, v4, 16, 1
	s_movk_i32 s2, 0x7fff
	v_add3_u32 v0, v4, v0, s2
	v_lshrrev_b32_e32 v0, 16, v0
	v_mov_b32_e32 v5, 0x7fc0
	v_cmp_o_f32_e32 vcc, v4, v4
	v_cndmask_b32_e32 v0, v5, v0, vcc
	global_store_dword v[2:3], v0, off
	s_mov_b64 s[2:3], 0
.LBB15_977:
	s_mov_b64 s[12:13], 0
.LBB15_978:
	s_and_b64 vcc, exec, s[12:13]
	s_cbranch_vccz .LBB15_983
; %bb.979:
	v_cmp_eq_u16_e32 vcc, 44, v6
	s_mov_b64 s[2:3], -1
	s_cbranch_vccz .LBB15_983
; %bb.980:
	v_bfe_u32 v0, v4, 23, 8
	s_movk_i32 s2, 0xff
	v_cmp_ne_u32_e32 vcc, s2, v0
	v_mov_b32_e32 v5, 0xff
	s_and_saveexec_b64 s[12:13], vcc
; %bb.981:
	s_mov_b32 s2, 0x3fffff
	v_and_b32_e32 v7, 0x400000, v4
	v_and_or_b32 v0, v4, s2, v0
	v_cmp_ne_u32_e32 vcc, 0, v7
	v_cmp_ne_u32_e64 s[2:3], 0, v0
	s_and_b64 s[2:3], vcc, s[2:3]
	v_lshrrev_b32_e32 v5, 23, v4
	v_cndmask_b32_e64 v0, 0, 1, s[2:3]
	v_add_u32_e32 v5, v5, v0
; %bb.982:
	s_or_b64 exec, exec, s[12:13]
	s_mov_b64 s[2:3], 0
	global_store_byte v[2:3], v5, off
.LBB15_983:
	s_mov_b64 s[12:13], 0
.LBB15_984:
	s_and_b64 vcc, exec, s[12:13]
	s_cbranch_vccz .LBB15_991
; %bb.985:
	v_cmp_eq_u16_e32 vcc, 29, v6
	s_mov_b64 s[2:3], -1
	s_cbranch_vccz .LBB15_991
; %bb.986:
	v_trunc_f32_e32 v0, v4
	v_mul_f32_e32 v5, 0x2f800000, v0
	v_floor_f32_e32 v5, v5
	v_fmac_f32_e32 v0, 0xcf800000, v5
	v_cvt_u32_f32_e32 v9, v5
	v_cvt_u32_f32_e32 v8, v0
	s_mov_b64 s[2:3], 0
	s_mov_b64 s[12:13], 0
	global_store_dwordx2 v[2:3], v[8:9], off
	s_branch .LBB15_992
.LBB15_987:
	s_or_b64 exec, exec, s[10:11]
	s_and_saveexec_b64 s[0:1], s[54:55]
	s_cbranch_execnz .LBB15_1050
.LBB15_988:
	s_or_b64 exec, exec, s[0:1]
	s_and_saveexec_b64 s[0:1], s[14:15]
	s_xor_b64 s[0:1], exec, s[0:1]
	s_cbranch_execz .LBB15_1051
.LBB15_989:
	v_cmp_neq_f32_e32 vcc, 0, v4
	v_cndmask_b32_e64 v0, 0, 1, vcc
	global_store_byte v[2:3], v0, off
	s_or_b64 exec, exec, s[0:1]
	s_and_saveexec_b64 s[0:1], s[12:13]
	s_xor_b64 s[0:1], exec, s[0:1]
	s_cbranch_execz .LBB15_1089
	s_branch .LBB15_1052
.LBB15_990:
	s_mov_b64 s[0:1], 0
	s_mov_b64 s[12:13], -1
	s_mov_b64 s[2:3], s[54:55]
	s_branch .LBB15_1049
.LBB15_991:
	s_mov_b64 s[12:13], 0
.LBB15_992:
	s_and_b64 vcc, exec, s[12:13]
	s_cbranch_vccz .LBB15_1007
; %bb.993:
	v_cmp_gt_i16_e32 vcc, 27, v6
	s_mov_b64 s[12:13], -1
	s_cbranch_vccnz .LBB15_999
; %bb.994:
	v_cmp_lt_i16_e32 vcc, 27, v6
	s_cbranch_vccz .LBB15_996
; %bb.995:
	v_cvt_u32_f32_e32 v0, v4
	s_mov_b64 s[12:13], 0
	global_store_dword v[2:3], v0, off
.LBB15_996:
	s_andn2_b64 vcc, exec, s[12:13]
	s_cbranch_vccnz .LBB15_998
; %bb.997:
	v_cvt_u32_f32_e32 v0, v4
	global_store_short v[2:3], v0, off
.LBB15_998:
	s_mov_b64 s[12:13], 0
.LBB15_999:
	s_andn2_b64 vcc, exec, s[12:13]
	s_cbranch_vccnz .LBB15_1007
; %bb.1000:
	v_cndmask_b32_e64 v5, 0, |v1|, s[0:1]
	s_mov_b32 s12, 0x43800000
	v_cmp_gt_u32_e32 vcc, s12, v5
	v_mov_b32_e32 v7, 0x80
	s_and_saveexec_b64 s[12:13], vcc
	s_cbranch_execz .LBB15_1006
; %bb.1001:
	s_mov_b32 s14, 0x3bffffff
	v_cmp_lt_u32_e32 vcc, s14, v5
	s_mov_b64 s[14:15], 0
                                        ; implicit-def: $vgpr0
	s_and_saveexec_b64 s[16:17], vcc
	s_xor_b64 s[16:17], exec, s[16:17]
	s_cbranch_execz .LBB15_1160
; %bb.1002:
	v_bfe_u32 v0, v4, 20, 1
	s_mov_b32 s18, 0x487ffff
	v_add3_u32 v0, v4, v0, s18
	s_mov_b64 s[14:15], exec
	v_lshrrev_b32_e32 v0, 20, v0
                                        ; implicit-def: $vgpr5
	s_or_saveexec_b64 s[16:17], s[16:17]
                                        ; implicit-def: $sgpr18
	s_xor_b64 exec, exec, s[16:17]
	s_cbranch_execnz .LBB15_1161
.LBB15_1003:
	s_or_b64 exec, exec, s[16:17]
	v_mov_b32_e32 v7, s18
	s_and_saveexec_b64 s[16:17], s[14:15]
.LBB15_1004:
	v_lshrrev_b32_e32 v5, 24, v4
	s_movk_i32 s14, 0x80
	v_and_or_b32 v7, v5, s14, v0
.LBB15_1005:
	s_or_b64 exec, exec, s[16:17]
.LBB15_1006:
	s_or_b64 exec, exec, s[12:13]
	global_store_byte v[2:3], v7, off
.LBB15_1007:
	s_mov_b64 s[14:15], 0
.LBB15_1008:
	s_mov_b64 s[12:13], 0
	s_and_b64 vcc, exec, s[14:15]
	s_cbranch_vccz .LBB15_1048
; %bb.1009:
	v_cmp_lt_i16_e32 vcc, 22, v6
	s_mov_b64 s[14:15], -1
	s_cbranch_vccz .LBB15_1041
; %bb.1010:
	v_cmp_gt_i16_e32 vcc, 24, v6
	s_cbranch_vccnz .LBB15_1030
; %bb.1011:
	v_cmp_lt_i16_e32 vcc, 24, v6
	s_cbranch_vccz .LBB15_1019
; %bb.1012:
	v_cndmask_b32_e64 v5, 0, |v1|, s[0:1]
	s_mov_b32 s14, 0x47800000
	v_cmp_gt_u32_e32 vcc, s14, v5
	v_mov_b32_e32 v7, 0x80
	s_and_saveexec_b64 s[14:15], vcc
	s_cbranch_execz .LBB15_1018
; %bb.1013:
	s_mov_b32 s16, 0x37ffffff
	v_cmp_lt_u32_e32 vcc, s16, v5
	s_mov_b64 s[16:17], 0
                                        ; implicit-def: $vgpr0
	s_and_saveexec_b64 s[18:19], vcc
	s_xor_b64 s[18:19], exec, s[18:19]
	s_cbranch_execz .LBB15_1285
; %bb.1014:
	v_bfe_u32 v0, v4, 21, 1
	s_mov_b32 s20, 0x88fffff
	v_add3_u32 v0, v4, v0, s20
	s_mov_b64 s[16:17], exec
	v_lshrrev_b32_e32 v0, 21, v0
                                        ; implicit-def: $vgpr5
	s_or_saveexec_b64 s[18:19], s[18:19]
                                        ; implicit-def: $sgpr20
	s_xor_b64 exec, exec, s[18:19]
	s_cbranch_execnz .LBB15_1286
.LBB15_1015:
	s_or_b64 exec, exec, s[18:19]
	v_mov_b32_e32 v7, s20
	s_and_saveexec_b64 s[18:19], s[16:17]
.LBB15_1016:
	v_lshrrev_b32_e32 v5, 24, v4
	s_movk_i32 s16, 0x80
	v_and_or_b32 v7, v5, s16, v0
.LBB15_1017:
	s_or_b64 exec, exec, s[18:19]
.LBB15_1018:
	s_or_b64 exec, exec, s[14:15]
	s_mov_b64 s[14:15], 0
	global_store_byte v[2:3], v7, off
.LBB15_1019:
	s_and_b64 vcc, exec, s[14:15]
	s_cbranch_vccz .LBB15_1029
; %bb.1020:
	v_cndmask_b32_e64 v5, 0, |v1|, s[0:1]
	s_mov_b32 s14, 0x43f00000
	v_cmp_gt_u32_e32 vcc, s14, v5
                                        ; implicit-def: $vgpr0
	s_and_saveexec_b64 s[14:15], vcc
	s_xor_b64 s[14:15], exec, s[14:15]
	s_cbranch_execz .LBB15_1026
; %bb.1021:
	s_mov_b32 s16, 0x3c7fffff
	v_cmp_lt_u32_e32 vcc, s16, v5
                                        ; implicit-def: $vgpr0
	s_and_saveexec_b64 s[16:17], vcc
	s_xor_b64 s[16:17], exec, s[16:17]
; %bb.1022:
	v_bfe_u32 v0, v4, 20, 1
	s_mov_b32 s18, 0x407ffff
	v_add3_u32 v0, v4, v0, s18
	v_lshrrev_b32_e32 v5, 20, v0
	v_and_b32_e32 v0, 0xff00000, v0
	s_mov_b32 s18, 0x7f00000
	v_mov_b32_e32 v7, 0x7e
	v_cmp_ne_u32_e32 vcc, s18, v0
	v_cndmask_b32_e32 v0, v7, v5, vcc
                                        ; implicit-def: $vgpr5
; %bb.1023:
	s_andn2_saveexec_b64 s[16:17], s[16:17]
; %bb.1024:
	v_add_f32_e32 v0, 0x46800000, v5
; %bb.1025:
	s_or_b64 exec, exec, s[16:17]
                                        ; implicit-def: $vgpr5
.LBB15_1026:
	s_andn2_saveexec_b64 s[14:15], s[14:15]
; %bb.1027:
	s_mov_b32 s16, 0x7f800000
	v_mov_b32_e32 v0, 0x7e
	v_mov_b32_e32 v7, 0x7f
	v_cmp_lt_u32_e32 vcc, s16, v5
	v_cndmask_b32_e32 v0, v0, v7, vcc
; %bb.1028:
	s_or_b64 exec, exec, s[14:15]
	v_lshrrev_b32_e32 v5, 24, v4
	s_movk_i32 s14, 0x80
	v_and_or_b32 v0, v5, s14, v0
	global_store_byte v[2:3], v0, off
.LBB15_1029:
	s_mov_b64 s[14:15], 0
.LBB15_1030:
	s_andn2_b64 vcc, exec, s[14:15]
	s_cbranch_vccnz .LBB15_1040
; %bb.1031:
	v_cndmask_b32_e64 v1, 0, |v1|, s[0:1]
	s_mov_b32 s0, 0x47800000
	v_cmp_gt_u32_e32 vcc, s0, v1
                                        ; implicit-def: $vgpr0
	s_and_saveexec_b64 s[0:1], vcc
	s_xor_b64 s[0:1], exec, s[0:1]
	s_cbranch_execz .LBB15_1037
; %bb.1032:
	s_mov_b32 s14, 0x387fffff
	v_cmp_lt_u32_e32 vcc, s14, v1
                                        ; implicit-def: $vgpr0
	s_and_saveexec_b64 s[14:15], vcc
	s_xor_b64 s[14:15], exec, s[14:15]
; %bb.1033:
	v_bfe_u32 v0, v4, 21, 1
	s_mov_b32 s16, 0x80fffff
	v_add3_u32 v0, v4, v0, s16
	v_lshrrev_b32_e32 v0, 21, v0
                                        ; implicit-def: $vgpr1
; %bb.1034:
	s_andn2_saveexec_b64 s[14:15], s[14:15]
; %bb.1035:
	v_add_f32_e32 v0, 0x43000000, v1
; %bb.1036:
	s_or_b64 exec, exec, s[14:15]
                                        ; implicit-def: $vgpr1
.LBB15_1037:
	s_andn2_saveexec_b64 s[0:1], s[0:1]
; %bb.1038:
	s_mov_b32 s14, 0x7f800000
	v_mov_b32_e32 v0, 0x7c
	v_mov_b32_e32 v5, 0x7f
	v_cmp_lt_u32_e32 vcc, s14, v1
	v_cndmask_b32_e32 v0, v0, v5, vcc
; %bb.1039:
	s_or_b64 exec, exec, s[0:1]
	v_lshrrev_b32_e32 v1, 24, v4
	s_movk_i32 s0, 0x80
	v_and_or_b32 v0, v1, s0, v0
	global_store_byte v[2:3], v0, off
.LBB15_1040:
	s_mov_b64 s[14:15], 0
.LBB15_1041:
	s_andn2_b64 vcc, exec, s[14:15]
	s_mov_b64 s[0:1], 0
	s_cbranch_vccnz .LBB15_1049
; %bb.1042:
	v_cmp_lt_i16_e32 vcc, 14, v6
	s_mov_b64 s[14:15], -1
	s_cbranch_vccz .LBB15_1046
; %bb.1043:
	v_cmp_eq_u16_e32 vcc, 15, v6
	s_mov_b64 s[2:3], -1
	s_cbranch_vccz .LBB15_1045
; %bb.1044:
	v_bfe_u32 v0, v4, 16, 1
	s_movk_i32 s0, 0x7fff
	v_add3_u32 v0, v4, v0, s0
	v_lshrrev_b32_e32 v0, 16, v0
	v_mov_b32_e32 v1, 0x7fc0
	v_cmp_o_f32_e32 vcc, v4, v4
	v_cndmask_b32_e32 v0, v1, v0, vcc
	global_store_short v[2:3], v0, off
	s_mov_b64 s[2:3], 0
.LBB15_1045:
	s_mov_b64 s[14:15], 0
.LBB15_1046:
	s_mov_b64 s[0:1], 0
	s_and_b64 vcc, exec, s[14:15]
	s_cbranch_vccz .LBB15_1049
; %bb.1047:
	v_cmp_ne_u16_e32 vcc, 11, v6
	s_andn2_b64 s[2:3], s[2:3], exec
	s_and_b64 s[14:15], vcc, exec
	s_mov_b64 s[0:1], -1
	s_or_b64 s[2:3], s[2:3], s[14:15]
	s_branch .LBB15_1049
.LBB15_1048:
	s_mov_b64 s[0:1], 0
.LBB15_1049:
	s_and_b64 s[14:15], s[0:1], exec
	s_andn2_b64 s[0:1], s[54:55], exec
	s_and_b64 s[2:3], s[2:3], exec
	s_and_b64 s[12:13], s[12:13], exec
	s_or_b64 s[54:55], s[0:1], s[2:3]
	s_or_b64 exec, exec, s[10:11]
	s_and_saveexec_b64 s[0:1], s[54:55]
	s_cbranch_execz .LBB15_988
.LBB15_1050:
	s_or_b64 s[8:9], s[8:9], exec
	s_andn2_b64 s[14:15], s[14:15], exec
	s_trap 2
	s_or_b64 exec, exec, s[0:1]
	s_and_saveexec_b64 s[0:1], s[14:15]
	s_xor_b64 s[0:1], exec, s[0:1]
	s_cbranch_execnz .LBB15_989
.LBB15_1051:
	s_or_b64 exec, exec, s[0:1]
	s_and_saveexec_b64 s[0:1], s[12:13]
	s_xor_b64 s[0:1], exec, s[0:1]
	s_cbranch_execz .LBB15_1089
.LBB15_1052:
	v_cmp_gt_i16_e32 vcc, 5, v6
	s_mov_b64 s[2:3], -1
	s_cbranch_vccnz .LBB15_1073
; %bb.1053:
	v_cmp_gt_i16_e32 vcc, 8, v6
	s_cbranch_vccnz .LBB15_1063
; %bb.1054:
	v_cmp_gt_i16_e32 vcc, 9, v6
	s_cbranch_vccnz .LBB15_1060
; %bb.1055:
	v_cmp_lt_i16_e32 vcc, 9, v6
	s_cbranch_vccz .LBB15_1057
; %bb.1056:
	v_mov_b32_e32 v10, 0
	v_cvt_f64_f32_e32 v[8:9], v4
	v_mov_b32_e32 v11, v10
	s_mov_b64 s[2:3], 0
	global_store_dwordx4 v[2:3], v[8:11], off
.LBB15_1057:
	s_andn2_b64 vcc, exec, s[2:3]
	s_cbranch_vccnz .LBB15_1059
; %bb.1058:
	s_waitcnt vmcnt(0)
	v_mov_b32_e32 v5, 0
	global_store_dwordx2 v[2:3], v[4:5], off
.LBB15_1059:
	s_mov_b64 s[2:3], 0
.LBB15_1060:
	s_andn2_b64 vcc, exec, s[2:3]
	s_cbranch_vccnz .LBB15_1062
; %bb.1061:
	v_cvt_f16_f32_e32 v0, v4
	global_store_dword v[2:3], v0, off
.LBB15_1062:
	s_mov_b64 s[2:3], 0
.LBB15_1063:
	s_andn2_b64 vcc, exec, s[2:3]
	s_cbranch_vccnz .LBB15_1072
; %bb.1064:
	v_cmp_gt_i16_e32 vcc, 6, v6
	s_mov_b64 s[2:3], -1
	s_cbranch_vccnz .LBB15_1070
; %bb.1065:
	v_cmp_lt_i16_e32 vcc, 6, v6
	s_cbranch_vccz .LBB15_1067
; %bb.1066:
	s_waitcnt vmcnt(0)
	v_cvt_f64_f32_e32 v[0:1], v4
	s_mov_b64 s[2:3], 0
	global_store_dwordx2 v[2:3], v[0:1], off
.LBB15_1067:
	s_andn2_b64 vcc, exec, s[2:3]
	s_cbranch_vccnz .LBB15_1069
; %bb.1068:
	global_store_dword v[2:3], v4, off
.LBB15_1069:
	s_mov_b64 s[2:3], 0
.LBB15_1070:
	s_andn2_b64 vcc, exec, s[2:3]
	s_cbranch_vccnz .LBB15_1072
; %bb.1071:
	v_cvt_f16_f32_e32 v0, v4
	global_store_short v[2:3], v0, off
.LBB15_1072:
	s_mov_b64 s[2:3], 0
.LBB15_1073:
	s_andn2_b64 vcc, exec, s[2:3]
	s_cbranch_vccnz .LBB15_1089
; %bb.1074:
	v_cmp_gt_i16_e32 vcc, 2, v6
	s_mov_b64 s[2:3], -1
	s_cbranch_vccnz .LBB15_1084
; %bb.1075:
	v_cmp_gt_i16_e32 vcc, 3, v6
	s_cbranch_vccnz .LBB15_1081
; %bb.1076:
	v_cmp_lt_i16_e32 vcc, 3, v6
	s_cbranch_vccz .LBB15_1078
; %bb.1077:
	v_trunc_f32_e32 v0, v4
	s_mov_b32 s2, 0x2f800000
	s_waitcnt vmcnt(0)
	v_mul_f32_e64 v1, |v0|, s2
	v_floor_f32_e32 v1, v1
	s_mov_b32 s2, 0xcf800000
	v_cvt_u32_f32_e32 v5, v1
	v_fma_f32 v1, v1, s2, |v0|
	v_cvt_u32_f32_e32 v1, v1
	v_ashrrev_i32_e32 v7, 31, v0
	v_xor_b32_e32 v5, v5, v7
	s_mov_b64 s[2:3], 0
	v_xor_b32_e32 v0, v1, v7
	v_sub_co_u32_e32 v0, vcc, v0, v7
	v_subb_co_u32_e32 v1, vcc, v5, v7, vcc
	global_store_dwordx2 v[2:3], v[0:1], off
.LBB15_1078:
	s_andn2_b64 vcc, exec, s[2:3]
	s_cbranch_vccnz .LBB15_1080
; %bb.1079:
	v_cvt_i32_f32_e32 v0, v4
	global_store_dword v[2:3], v0, off
.LBB15_1080:
	s_mov_b64 s[2:3], 0
.LBB15_1081:
	s_andn2_b64 vcc, exec, s[2:3]
	s_cbranch_vccnz .LBB15_1083
; %bb.1082:
	v_cvt_i32_f32_e32 v0, v4
	global_store_short v[2:3], v0, off
.LBB15_1083:
	s_mov_b64 s[2:3], 0
.LBB15_1084:
	s_andn2_b64 vcc, exec, s[2:3]
	s_cbranch_vccnz .LBB15_1089
; %bb.1085:
	v_cmp_lt_i16_e32 vcc, 0, v6
	s_mov_b64 s[2:3], -1
	s_cbranch_vccz .LBB15_1087
; %bb.1086:
	v_cvt_i32_f32_e32 v0, v4
	s_mov_b64 s[2:3], 0
	global_store_byte v[2:3], v0, off
.LBB15_1087:
	s_andn2_b64 vcc, exec, s[2:3]
	s_cbranch_vccnz .LBB15_1089
; %bb.1088:
	v_trunc_f32_e32 v0, v4
	s_mov_b32 s2, 0x2f800000
	s_waitcnt vmcnt(0)
	v_mul_f32_e64 v1, |v0|, s2
	v_floor_f32_e32 v1, v1
	s_mov_b32 s2, 0xcf800000
	v_fma_f32 v1, v1, s2, |v0|
	v_cvt_u32_f32_e32 v1, v1
	v_ashrrev_i32_e32 v0, 31, v0
	v_xor_b32_e32 v1, v1, v0
	v_sub_u32_e32 v0, v1, v0
	global_store_byte v[2:3], v0, off
.LBB15_1089:
	s_or_b64 exec, exec, s[0:1]
	s_and_b64 s[28:29], s[8:9], exec
                                        ; implicit-def: $vgpr9
                                        ; implicit-def: $vgpr8
.LBB15_1090:
	s_or_saveexec_b64 s[30:31], s[42:43]
	s_mov_b64 s[0:1], 0
                                        ; implicit-def: $vgpr0_vgpr1
                                        ; implicit-def: $sgpr20
                                        ; implicit-def: $vgpr2
	s_xor_b64 exec, exec, s[30:31]
	s_cbranch_execz .LBB15_2046
; %bb.1091:
	v_cndmask_b32_e64 v0, 0, 1, s[40:41]
	v_cmp_ne_u32_e64 s[0:1], 1, v0
	s_andn2_b64 vcc, exec, s[40:41]
	s_cbranch_vccnz .LBB15_1098
; %bb.1092:
	s_mov_b32 s2, 0
	s_cmp_lg_u32 s33, 0
	v_mov_b32_e32 v14, 0
	v_mov_b32_e32 v6, 0
	s_cbranch_scc0 .LBB15_1097
; %bb.1093:
	s_min_u32 s38, s76, 15
	s_add_i32 s38, s38, 1
	s_cmp_eq_u32 s76, 2
	s_cbranch_scc1 .LBB15_1099
; %bb.1094:
	s_add_u32 s6, s34, 0xc4
	s_addc_u32 s7, s35, 0
	s_and_b32 s2, s38, 28
	s_mov_b32 s3, 0
	v_mov_b32_e32 v6, 0
	s_mov_b64 s[36:37], s[34:35]
	v_mov_b32_e32 v0, v8
	v_mov_b32_e32 v14, 0
.LBB15_1095:                            ; =>This Inner Loop Header: Depth=1
	s_load_dwordx8 s[16:23], s[36:37], 0x4
	s_load_dwordx4 s[24:27], s[36:37], 0x24
	s_load_dwordx8 s[8:15], s[6:7], 0x0
	s_add_u32 s36, s36, 48
	s_addc_u32 s37, s37, 0
	s_waitcnt vmcnt(0) lgkmcnt(0)
	v_mul_hi_u32 v1, s17, v0
	v_add_u32_e32 v1, v0, v1
	v_lshrrev_b32_e32 v1, s18, v1
	v_mul_lo_u32 v2, v1, s16
	v_mul_hi_u32 v3, s20, v1
	v_sub_u32_e32 v0, v0, v2
	v_add_u32_e32 v2, v1, v3
	v_lshrrev_b32_e32 v2, s21, v2
	v_mul_lo_u32 v4, v2, s19
	v_mul_hi_u32 v5, s23, v2
	v_sub_u32_e32 v1, v1, v4
	v_add_u32_e32 v4, v2, v5
	v_mul_lo_u32 v3, v0, s9
	v_mul_lo_u32 v0, v0, s8
	v_mul_lo_u32 v5, v1, s11
	v_mul_lo_u32 v1, v1, s10
	v_lshrrev_b32_e32 v4, s24, v4
	v_add3_u32 v1, v0, v6, v1
	v_add3_u32 v3, v3, v14, v5
	v_mul_lo_u32 v0, v4, s22
	v_mul_hi_u32 v5, s26, v4
	v_sub_u32_e32 v0, v2, v0
	v_add_u32_e32 v2, v4, v5
	v_mul_lo_u32 v5, v0, s12
	v_mul_lo_u32 v6, v0, s13
	v_lshrrev_b32_e32 v0, s27, v2
	s_add_i32 s3, s3, 4
	v_mul_lo_u32 v2, v0, s25
	s_add_u32 s6, s6, 32
	v_sub_u32_e32 v2, v4, v2
	s_addc_u32 s7, s7, 0
	v_mul_lo_u32 v4, v2, s14
	v_mul_lo_u32 v2, v2, s15
	s_cmp_lg_u32 s2, s3
	v_add3_u32 v14, v6, v3, v2
	v_add3_u32 v6, v5, v1, v4
	s_cbranch_scc1 .LBB15_1095
; %bb.1096:
	v_mov_b32_e32 v7, v14
	s_and_b32 s8, s38, 3
	s_cmp_eq_u32 s8, 0
	s_cbranch_scc0 .LBB15_1100
.LBB15_1097:
	s_cbranch_execz .LBB15_1103
	s_branch .LBB15_1105
.LBB15_1098:
                                        ; implicit-def: $vgpr14
                                        ; implicit-def: $vgpr6
	s_branch .LBB15_1103
.LBB15_1099:
	s_mov_b32 s3, s2
	v_pk_mov_b32 v[6:7], s[2:3], s[2:3] op_sel:[0,1]
                                        ; implicit-def: $vgpr14
	v_mov_b32_e32 v0, v8
	s_and_b32 s8, s38, 3
	s_cmp_eq_u32 s8, 0
	s_cbranch_scc1 .LBB15_1097
.LBB15_1100:
	s_lshl_b32 s3, s2, 3
	s_add_u32 s3, s3, s34
	s_addc_u32 s7, 0, s35
	s_add_u32 s6, s3, 0xc4
	s_addc_u32 s7, s7, 0
	s_mul_i32 s2, s2, 12
	s_add_u32 s2, s34, s2
	s_addc_u32 s3, 0, s35
.LBB15_1101:                            ; =>This Inner Loop Header: Depth=1
	s_load_dwordx2 s[10:11], s[2:3], 0x4
	s_load_dword s9, s[2:3], 0xc
	s_load_dwordx2 s[12:13], s[6:7], 0x0
	s_add_u32 s2, s2, 12
	s_addc_u32 s3, s3, 0
	s_waitcnt vmcnt(0) lgkmcnt(0)
	v_mul_hi_u32 v1, s11, v0
	v_add_u32_e32 v1, v0, v1
	v_lshrrev_b32_e32 v1, s9, v1
	v_mul_lo_u32 v3, v1, s10
	v_mov_b32_e32 v2, v7
	s_add_u32 s6, s6, 8
	v_sub_u32_e32 v4, v0, v3
	s_addc_u32 s7, s7, 0
	s_add_i32 s8, s8, -1
	v_mad_u64_u32 v[2:3], s[10:11], v4, s13, v[2:3]
	v_mad_u64_u32 v[6:7], s[10:11], v4, s12, v[6:7]
	s_cmp_lg_u32 s8, 0
	v_mov_b32_e32 v0, v1
	v_mov_b32_e32 v7, v2
	s_cbranch_scc1 .LBB15_1101
; %bb.1102:
	v_mov_b32_e32 v14, v7
	s_cbranch_execnz .LBB15_1105
.LBB15_1103:
	s_load_dwordx4 s[8:11], s[34:35], 0x4
	s_load_dwordx2 s[2:3], s[34:35], 0xc4
	s_cmp_lt_u32 s33, 2
	s_waitcnt lgkmcnt(0)
	v_mul_hi_u32 v0, s9, v8
	v_add_u32_e32 v0, v8, v0
	v_lshrrev_b32_e32 v0, s10, v0
	s_waitcnt vmcnt(0)
	v_mul_lo_u32 v1, v0, s8
	v_sub_u32_e32 v1, v8, v1
	v_mul_lo_u32 v14, v1, s3
	v_mul_lo_u32 v6, v1, s2
	s_cbranch_scc1 .LBB15_1105
; %bb.1104:
	s_load_dwordx4 s[8:11], s[34:35], 0x10
	s_load_dwordx2 s[2:3], s[34:35], 0xcc
	s_waitcnt lgkmcnt(0)
	v_mul_hi_u32 v1, s9, v0
	v_add_u32_e32 v1, v0, v1
	v_lshrrev_b32_e32 v1, s10, v1
	v_mul_lo_u32 v1, v1, s8
	v_sub_u32_e32 v0, v0, v1
	v_mad_u64_u32 v[6:7], s[6:7], v0, s2, v[6:7]
	v_mad_u64_u32 v[14:15], s[2:3], v0, s3, v[14:15]
.LBB15_1105:
	s_and_b64 vcc, exec, s[0:1]
	v_add_u32_e32 v0, 0x80, v8
	s_cbranch_vccnz .LBB15_1112
; %bb.1106:
	s_mov_b32 s2, 0
	s_cmp_lg_u32 s33, 0
	v_mov_b32_e32 v12, 0
	v_mov_b32_e32 v4, 0
	s_cbranch_scc0 .LBB15_1111
; %bb.1107:
	s_min_u32 s38, s76, 15
	s_add_i32 s38, s38, 1
	s_cmp_eq_u32 s76, 2
	s_cbranch_scc1 .LBB15_1113
; %bb.1108:
	s_add_u32 s6, s34, 0xc4
	s_addc_u32 s7, s35, 0
	s_and_b32 s2, s38, 28
	s_mov_b32 s3, 0
	v_mov_b32_e32 v4, 0
	s_mov_b64 s[36:37], s[34:35]
	s_waitcnt vmcnt(0)
	v_mov_b32_e32 v1, v0
	v_mov_b32_e32 v12, 0
.LBB15_1109:                            ; =>This Inner Loop Header: Depth=1
	s_load_dwordx8 s[16:23], s[36:37], 0x4
	s_load_dwordx4 s[24:27], s[36:37], 0x24
	s_load_dwordx8 s[8:15], s[6:7], 0x0
	s_add_u32 s36, s36, 48
	s_addc_u32 s37, s37, 0
	s_waitcnt lgkmcnt(0)
	v_mul_hi_u32 v2, s17, v1
	v_add_u32_e32 v2, v1, v2
	v_lshrrev_b32_e32 v2, s18, v2
	v_mul_lo_u32 v3, v2, s16
	v_mul_hi_u32 v5, s20, v2
	v_sub_u32_e32 v1, v1, v3
	v_add_u32_e32 v3, v2, v5
	v_lshrrev_b32_e32 v3, s21, v3
	v_mul_lo_u32 v7, v3, s19
	v_mul_hi_u32 v10, s23, v3
	v_sub_u32_e32 v2, v2, v7
	v_add_u32_e32 v7, v3, v10
	v_mul_lo_u32 v5, v1, s9
	v_mul_lo_u32 v1, v1, s8
	;; [unrolled: 1-line block ×4, first 2 shown]
	v_lshrrev_b32_e32 v7, s24, v7
	v_add3_u32 v2, v1, v4, v2
	v_add3_u32 v4, v5, v12, v10
	v_mul_lo_u32 v1, v7, s22
	v_mul_hi_u32 v5, s26, v7
	v_sub_u32_e32 v1, v3, v1
	v_add_u32_e32 v3, v7, v5
	v_mul_lo_u32 v5, v1, s12
	v_mul_lo_u32 v10, v1, s13
	v_lshrrev_b32_e32 v1, s27, v3
	s_add_i32 s3, s3, 4
	v_mul_lo_u32 v3, v1, s25
	s_add_u32 s6, s6, 32
	v_sub_u32_e32 v3, v7, v3
	s_addc_u32 s7, s7, 0
	v_mul_lo_u32 v7, v3, s14
	v_mul_lo_u32 v3, v3, s15
	s_cmp_lg_u32 s2, s3
	v_add3_u32 v12, v10, v4, v3
	v_add3_u32 v4, v5, v2, v7
	s_cbranch_scc1 .LBB15_1109
; %bb.1110:
	v_mov_b32_e32 v5, v12
	s_and_b32 s8, s38, 3
	s_cmp_eq_u32 s8, 0
	s_cbranch_scc0 .LBB15_1114
.LBB15_1111:
	s_cbranch_execz .LBB15_1117
	s_branch .LBB15_1119
.LBB15_1112:
                                        ; implicit-def: $vgpr12
                                        ; implicit-def: $vgpr4
	s_branch .LBB15_1117
.LBB15_1113:
	s_mov_b32 s3, s2
	s_waitcnt vmcnt(0)
	v_pk_mov_b32 v[4:5], s[2:3], s[2:3] op_sel:[0,1]
                                        ; implicit-def: $vgpr12
	v_mov_b32_e32 v1, v0
	s_and_b32 s8, s38, 3
	s_cmp_eq_u32 s8, 0
	s_cbranch_scc1 .LBB15_1111
.LBB15_1114:
	s_lshl_b32 s3, s2, 3
	s_add_u32 s3, s3, s34
	s_addc_u32 s7, 0, s35
	s_add_u32 s6, s3, 0xc4
	s_addc_u32 s7, s7, 0
	s_mul_i32 s2, s2, 12
	s_add_u32 s2, s34, s2
	s_addc_u32 s3, 0, s35
.LBB15_1115:                            ; =>This Inner Loop Header: Depth=1
	s_load_dwordx2 s[10:11], s[2:3], 0x4
	s_load_dword s9, s[2:3], 0xc
	s_load_dwordx2 s[12:13], s[6:7], 0x0
	s_add_u32 s2, s2, 12
	v_mov_b32_e32 v2, v5
	s_waitcnt lgkmcnt(0)
	v_mul_hi_u32 v3, s11, v1
	v_add_u32_e32 v3, v1, v3
	v_lshrrev_b32_e32 v3, s9, v3
	s_addc_u32 s3, s3, 0
	v_mul_lo_u32 v5, v3, s10
	s_add_u32 s6, s6, 8
	v_sub_u32_e32 v5, v1, v5
	s_addc_u32 s7, s7, 0
	s_add_i32 s8, s8, -1
	v_mov_b32_e32 v1, v3
	v_mad_u64_u32 v[2:3], s[10:11], v5, s13, v[2:3]
	v_mad_u64_u32 v[4:5], s[10:11], v5, s12, v[4:5]
	s_cmp_lg_u32 s8, 0
	v_mov_b32_e32 v5, v2
	s_cbranch_scc1 .LBB15_1115
; %bb.1116:
	v_mov_b32_e32 v12, v5
	s_cbranch_execnz .LBB15_1119
.LBB15_1117:
	s_load_dwordx4 s[8:11], s[34:35], 0x4
	s_load_dwordx2 s[2:3], s[34:35], 0xc4
	s_cmp_lt_u32 s33, 2
	s_waitcnt vmcnt(0) lgkmcnt(0)
	v_mul_hi_u32 v1, s9, v0
	v_add_u32_e32 v1, v0, v1
	v_lshrrev_b32_e32 v1, s10, v1
	v_mul_lo_u32 v2, v1, s8
	v_sub_u32_e32 v0, v0, v2
	v_mul_lo_u32 v12, v0, s3
	v_mul_lo_u32 v4, v0, s2
	s_cbranch_scc1 .LBB15_1119
; %bb.1118:
	s_load_dwordx4 s[8:11], s[34:35], 0x10
	s_load_dwordx2 s[2:3], s[34:35], 0xcc
	s_waitcnt lgkmcnt(0)
	v_mul_hi_u32 v0, s9, v1
	v_add_u32_e32 v0, v1, v0
	v_lshrrev_b32_e32 v0, s10, v0
	v_mul_lo_u32 v0, v0, s8
	v_sub_u32_e32 v0, v1, v0
	v_mad_u64_u32 v[4:5], s[6:7], v0, s2, v[4:5]
	v_mad_u64_u32 v[12:13], s[2:3], v0, s3, v[12:13]
.LBB15_1119:
	s_and_b64 vcc, exec, s[0:1]
	v_add_u32_e32 v0, 0x100, v8
	s_cbranch_vccnz .LBB15_1126
; %bb.1120:
	s_mov_b32 s2, 0
	s_cmp_lg_u32 s33, 0
	v_mov_b32_e32 v10, 0
	v_mov_b32_e32 v2, 0
	s_cbranch_scc0 .LBB15_1125
; %bb.1121:
	s_min_u32 s38, s76, 15
	s_add_i32 s38, s38, 1
	s_cmp_eq_u32 s76, 2
	s_cbranch_scc1 .LBB15_1127
; %bb.1122:
	s_add_u32 s6, s34, 0xc4
	s_addc_u32 s7, s35, 0
	s_and_b32 s2, s38, 28
	s_mov_b32 s3, 0
	v_mov_b32_e32 v2, 0
	s_mov_b64 s[36:37], s[34:35]
	s_waitcnt vmcnt(0)
	v_mov_b32_e32 v1, v0
	v_mov_b32_e32 v10, 0
.LBB15_1123:                            ; =>This Inner Loop Header: Depth=1
	s_load_dwordx8 s[16:23], s[36:37], 0x4
	s_load_dwordx4 s[24:27], s[36:37], 0x24
	s_load_dwordx8 s[8:15], s[6:7], 0x0
	s_add_u32 s36, s36, 48
	s_addc_u32 s37, s37, 0
	s_waitcnt lgkmcnt(0)
	v_mul_hi_u32 v3, s17, v1
	v_add_u32_e32 v3, v1, v3
	v_lshrrev_b32_e32 v3, s18, v3
	v_mul_lo_u32 v5, v3, s16
	v_mul_hi_u32 v7, s20, v3
	v_sub_u32_e32 v1, v1, v5
	v_add_u32_e32 v5, v3, v7
	v_lshrrev_b32_e32 v5, s21, v5
	v_mul_lo_u32 v8, v5, s19
	v_mul_hi_u32 v11, s23, v5
	v_sub_u32_e32 v3, v3, v8
	v_add_u32_e32 v8, v5, v11
	v_mul_lo_u32 v7, v1, s9
	v_mul_lo_u32 v1, v1, s8
	v_mul_lo_u32 v11, v3, s11
	v_mul_lo_u32 v3, v3, s10
	v_lshrrev_b32_e32 v8, s24, v8
	v_add3_u32 v2, v1, v2, v3
	v_add3_u32 v3, v7, v10, v11
	v_mul_lo_u32 v1, v8, s22
	v_mul_hi_u32 v7, s26, v8
	v_sub_u32_e32 v1, v5, v1
	v_add_u32_e32 v5, v8, v7
	v_mul_lo_u32 v7, v1, s12
	v_mul_lo_u32 v10, v1, s13
	v_lshrrev_b32_e32 v1, s27, v5
	s_add_i32 s3, s3, 4
	v_mul_lo_u32 v5, v1, s25
	s_add_u32 s6, s6, 32
	v_sub_u32_e32 v5, v8, v5
	s_addc_u32 s7, s7, 0
	v_mul_lo_u32 v8, v5, s14
	v_mul_lo_u32 v5, v5, s15
	s_cmp_lg_u32 s2, s3
	v_add3_u32 v10, v10, v3, v5
	v_add3_u32 v2, v7, v2, v8
	s_cbranch_scc1 .LBB15_1123
; %bb.1124:
	v_mov_b32_e32 v3, v10
	s_and_b32 s8, s38, 3
	s_cmp_eq_u32 s8, 0
	s_cbranch_scc0 .LBB15_1128
.LBB15_1125:
	s_cbranch_execz .LBB15_1131
	s_branch .LBB15_1133
.LBB15_1126:
                                        ; implicit-def: $vgpr10
                                        ; implicit-def: $vgpr2
	s_branch .LBB15_1131
.LBB15_1127:
	s_mov_b32 s3, s2
	v_pk_mov_b32 v[2:3], s[2:3], s[2:3] op_sel:[0,1]
                                        ; implicit-def: $vgpr10
	s_waitcnt vmcnt(0)
	v_mov_b32_e32 v1, v0
	s_and_b32 s8, s38, 3
	s_cmp_eq_u32 s8, 0
	s_cbranch_scc1 .LBB15_1125
.LBB15_1128:
	s_lshl_b32 s3, s2, 3
	s_add_u32 s3, s3, s34
	s_addc_u32 s7, 0, s35
	s_add_u32 s6, s3, 0xc4
	s_addc_u32 s7, s7, 0
	s_mul_i32 s2, s2, 12
	s_add_u32 s2, s34, s2
	s_addc_u32 s3, 0, s35
.LBB15_1129:                            ; =>This Inner Loop Header: Depth=1
	s_load_dwordx2 s[10:11], s[2:3], 0x4
	s_load_dword s9, s[2:3], 0xc
	s_load_dwordx2 s[12:13], s[6:7], 0x0
	v_mov_b32_e32 v8, v3
	s_add_u32 s2, s2, 12
	s_waitcnt lgkmcnt(0)
	v_mul_hi_u32 v3, s11, v1
	v_add_u32_e32 v3, v1, v3
	v_lshrrev_b32_e32 v3, s9, v3
	s_addc_u32 s3, s3, 0
	v_mul_lo_u32 v5, v3, s10
	s_add_u32 s6, s6, 8
	v_sub_u32_e32 v5, v1, v5
	s_addc_u32 s7, s7, 0
	s_add_i32 s8, s8, -1
	v_mov_b32_e32 v1, v3
	v_mad_u64_u32 v[10:11], s[10:11], v5, s13, v[8:9]
	v_mad_u64_u32 v[2:3], s[10:11], v5, s12, v[2:3]
	s_cmp_lg_u32 s8, 0
	v_mov_b32_e32 v3, v10
	s_cbranch_scc1 .LBB15_1129
; %bb.1130:
	v_mov_b32_e32 v10, v3
	s_cbranch_execnz .LBB15_1133
.LBB15_1131:
	s_load_dwordx4 s[8:11], s[34:35], 0x4
	s_load_dwordx2 s[2:3], s[34:35], 0xc4
	s_cmp_lt_u32 s33, 2
	s_waitcnt vmcnt(0) lgkmcnt(0)
	v_mul_hi_u32 v1, s9, v0
	v_add_u32_e32 v1, v0, v1
	v_lshrrev_b32_e32 v1, s10, v1
	v_mul_lo_u32 v2, v1, s8
	v_sub_u32_e32 v0, v0, v2
	v_mul_lo_u32 v10, v0, s3
	v_mul_lo_u32 v2, v0, s2
	s_cbranch_scc1 .LBB15_1133
; %bb.1132:
	s_load_dwordx4 s[8:11], s[34:35], 0x10
	s_load_dwordx2 s[2:3], s[34:35], 0xcc
	s_waitcnt lgkmcnt(0)
	v_mul_hi_u32 v0, s9, v1
	v_add_u32_e32 v0, v1, v0
	v_lshrrev_b32_e32 v0, s10, v0
	v_mul_lo_u32 v0, v0, s8
	v_sub_u32_e32 v0, v1, v0
	v_mad_u64_u32 v[2:3], s[6:7], v0, s2, v[2:3]
	v_mad_u64_u32 v[10:11], s[2:3], v0, s3, v[10:11]
.LBB15_1133:
	s_and_b64 vcc, exec, s[0:1]
	s_cbranch_vccnz .LBB15_1140
; %bb.1134:
	s_mov_b32 s6, 0
	s_cmp_lg_u32 s33, 0
	v_mov_b32_e32 v8, 0
	v_mov_b32_e32 v0, 0
	s_cbranch_scc0 .LBB15_1139
; %bb.1135:
	s_min_u32 s36, s76, 15
	s_add_i32 s36, s36, 1
	s_cmp_eq_u32 s76, 2
	s_cbranch_scc1 .LBB15_1141
; %bb.1136:
	s_add_u32 s24, s34, 0xc4
	s_addc_u32 s25, s35, 0
	s_and_b32 s6, s36, 28
	s_mov_b32 s7, 0
	v_mov_b32_e32 v0, 0
	s_mov_b64 s[26:27], s[34:35]
	v_mov_b32_e32 v3, v9
	v_mov_b32_e32 v8, 0
.LBB15_1137:                            ; =>This Inner Loop Header: Depth=1
	s_load_dwordx8 s[16:23], s[26:27], 0x4
	s_load_dwordx4 s[0:3], s[26:27], 0x24
	s_load_dwordx8 s[8:15], s[24:25], 0x0
	s_add_u32 s26, s26, 48
	s_addc_u32 s27, s27, 0
	s_waitcnt vmcnt(0) lgkmcnt(0)
	v_mul_hi_u32 v1, s17, v3
	v_add_u32_e32 v1, v3, v1
	v_lshrrev_b32_e32 v1, s18, v1
	v_mul_lo_u32 v5, v1, s16
	v_mul_hi_u32 v7, s20, v1
	v_sub_u32_e32 v3, v3, v5
	v_add_u32_e32 v5, v1, v7
	v_lshrrev_b32_e32 v5, s21, v5
	v_mul_lo_u32 v11, v5, s19
	v_mul_hi_u32 v13, s23, v5
	v_sub_u32_e32 v1, v1, v11
	v_add_u32_e32 v11, v5, v13
	v_mul_lo_u32 v7, v3, s9
	v_mul_lo_u32 v3, v3, s8
	;; [unrolled: 1-line block ×4, first 2 shown]
	v_lshrrev_b32_e32 v11, s0, v11
	v_add3_u32 v0, v3, v0, v1
	v_add3_u32 v1, v7, v8, v13
	v_mul_lo_u32 v3, v11, s22
	v_mul_hi_u32 v7, s2, v11
	v_sub_u32_e32 v3, v5, v3
	v_add_u32_e32 v5, v11, v7
	v_mul_lo_u32 v7, v3, s12
	v_mul_lo_u32 v8, v3, s13
	v_lshrrev_b32_e32 v3, s3, v5
	s_add_i32 s7, s7, 4
	v_mul_lo_u32 v5, v3, s1
	s_add_u32 s24, s24, 32
	v_sub_u32_e32 v5, v11, v5
	s_addc_u32 s25, s25, 0
	v_mul_lo_u32 v11, v5, s14
	v_mul_lo_u32 v5, v5, s15
	s_cmp_lg_u32 s6, s7
	v_add3_u32 v8, v8, v1, v5
	v_add3_u32 v0, v7, v0, v11
	s_cbranch_scc1 .LBB15_1137
; %bb.1138:
	v_mov_b32_e32 v1, v8
	s_and_b32 s7, s36, 3
	s_cmp_eq_u32 s7, 0
	s_cbranch_scc0 .LBB15_1142
.LBB15_1139:
	s_cbranch_execz .LBB15_1145
	s_branch .LBB15_1147
.LBB15_1140:
                                        ; implicit-def: $vgpr8
                                        ; implicit-def: $vgpr0
	s_branch .LBB15_1145
.LBB15_1141:
	s_mov_b32 s7, s6
	s_waitcnt vmcnt(0)
	v_pk_mov_b32 v[0:1], s[6:7], s[6:7] op_sel:[0,1]
                                        ; implicit-def: $vgpr8
	v_mov_b32_e32 v3, v9
	s_and_b32 s7, s36, 3
	s_cmp_eq_u32 s7, 0
	s_cbranch_scc1 .LBB15_1139
.LBB15_1142:
	s_lshl_b32 s0, s6, 3
	s_add_u32 s0, s0, s34
	s_addc_u32 s1, 0, s35
	s_add_u32 s0, s0, 0xc4
	s_addc_u32 s1, s1, 0
	s_mul_i32 s2, s6, 12
	s_add_u32 s2, s34, s2
	s_addc_u32 s3, 0, s35
.LBB15_1143:                            ; =>This Inner Loop Header: Depth=1
	s_load_dwordx2 s[8:9], s[2:3], 0x4
	s_load_dword s6, s[2:3], 0xc
	s_load_dwordx2 s[10:11], s[0:1], 0x0
	v_mov_b32_e32 v8, v1
	s_add_u32 s2, s2, 12
	s_waitcnt lgkmcnt(0)
	v_mul_hi_u32 v1, s9, v3
	v_add_u32_e32 v1, v3, v1
	v_lshrrev_b32_e32 v1, s6, v1
	s_addc_u32 s3, s3, 0
	v_mul_lo_u32 v5, v1, s8
	s_add_u32 s0, s0, 8
	v_sub_u32_e32 v5, v3, v5
	s_addc_u32 s1, s1, 0
	s_add_i32 s7, s7, -1
	v_mov_b32_e32 v3, v1
	v_mad_u64_u32 v[16:17], s[8:9], v5, s11, v[8:9]
	v_mad_u64_u32 v[0:1], s[8:9], v5, s10, v[0:1]
	s_cmp_lg_u32 s7, 0
	v_mov_b32_e32 v1, v16
	s_cbranch_scc1 .LBB15_1143
; %bb.1144:
	v_mov_b32_e32 v8, v1
	s_cbranch_execnz .LBB15_1147
.LBB15_1145:
	s_load_dwordx4 s[0:3], s[34:35], 0x4
	s_load_dwordx2 s[6:7], s[34:35], 0xc4
	s_cmp_lt_u32 s33, 2
	s_waitcnt lgkmcnt(0)
	v_mul_hi_u32 v0, s1, v9
	v_add_u32_e32 v0, v9, v0
	s_waitcnt vmcnt(0)
	v_lshrrev_b32_e32 v1, s2, v0
	v_mul_lo_u32 v0, v1, s0
	v_sub_u32_e32 v0, v9, v0
	v_mul_lo_u32 v8, v0, s7
	v_mul_lo_u32 v0, v0, s6
	s_cbranch_scc1 .LBB15_1147
; %bb.1146:
	s_load_dwordx4 s[0:3], s[34:35], 0x10
	s_load_dwordx2 s[6:7], s[34:35], 0xcc
	s_waitcnt lgkmcnt(0)
	v_mul_hi_u32 v3, s1, v1
	v_add_u32_e32 v3, v1, v3
	v_lshrrev_b32_e32 v3, s2, v3
	v_mul_lo_u32 v3, v3, s0
	v_sub_u32_e32 v3, v1, v3
	v_mad_u64_u32 v[0:1], s[0:1], v3, s6, v[0:1]
	v_mad_u64_u32 v[8:9], s[0:1], v3, s7, v[8:9]
.LBB15_1147:
	s_load_dword s0, s[4:5], 0x164
	s_load_dwordx4 s[8:11], s[34:35], 0x148
	s_waitcnt lgkmcnt(0)
	s_lshr_b32 s16, s0, 8
	s_waitcnt vmcnt(0)
	v_mov_b32_e32 v1, s11
	v_add_co_u32_e32 v14, vcc, s10, v14
	v_addc_co_u32_e32 v15, vcc, 0, v1, vcc
	v_mov_b32_e32 v1, 11
	v_cmp_lt_i16_sdwa s[0:1], s16, v1 src0_sel:BYTE_0 src1_sel:DWORD
	s_and_b64 vcc, exec, s[0:1]
	s_cbranch_vccnz .LBB15_1154
; %bb.1148:
	v_mov_b32_e32 v1, 25
	v_cmp_gt_i16_sdwa s[0:1], s16, v1 src0_sel:BYTE_0 src1_sel:DWORD
	s_mov_b64 s[2:3], 0
	s_and_b64 vcc, exec, s[0:1]
	s_cbranch_vccz .LBB15_1156
; %bb.1149:
	v_mov_b32_e32 v1, 28
	v_cmp_gt_i16_sdwa s[0:1], s16, v1 src0_sel:BYTE_0 src1_sel:DWORD
	s_and_b64 vcc, exec, s[0:1]
	s_cbranch_vccz .LBB15_1157
; %bb.1150:
	v_mov_b32_e32 v1, 43
	v_cmp_gt_i16_sdwa s[0:1], s16, v1 src0_sel:BYTE_0 src1_sel:DWORD
	;; [unrolled: 5-line block ×3, first 2 shown]
	s_and_b64 vcc, exec, s[0:1]
	s_cbranch_vccz .LBB15_1159
; %bb.1152:
	v_mov_b32_e32 v1, 46
	v_cmp_eq_u16_sdwa s[0:1], s16, v1 src0_sel:BYTE_0 src1_sel:DWORD
	s_mov_b64 s[4:5], 0
	s_and_b64 vcc, exec, s[0:1]
	s_cbranch_vccz .LBB15_1162
; %bb.1153:
	global_load_dword v1, v[14:15], off
	s_mov_b64 s[0:1], 0
	s_mov_b64 s[6:7], -1
	s_waitcnt vmcnt(0)
	v_lshlrev_b32_e32 v1, 16, v1
	s_branch .LBB15_1163
.LBB15_1154:
	s_mov_b64 s[6:7], 0
                                        ; implicit-def: $vgpr1
	s_mov_b64 s[4:5], s[28:29]
	s_cbranch_execnz .LBB15_1226
.LBB15_1155:
	s_andn2_b64 vcc, exec, s[6:7]
	s_cbranch_vccz .LBB15_1271
	s_branch .LBB15_2044
.LBB15_1156:
	s_mov_b64 s[6:7], 0
	s_mov_b64 s[0:1], 0
                                        ; implicit-def: $vgpr1
	s_cbranch_execnz .LBB15_1191
	s_branch .LBB15_1222
.LBB15_1157:
	s_mov_b64 s[4:5], -1
	s_mov_b64 s[6:7], 0
	s_mov_b64 s[0:1], 0
                                        ; implicit-def: $vgpr1
	s_branch .LBB15_1172
.LBB15_1158:
	s_mov_b64 s[6:7], 0
	s_mov_b64 s[0:1], 0
                                        ; implicit-def: $vgpr1
	s_cbranch_execnz .LBB15_1168
	s_branch .LBB15_1171
.LBB15_1159:
	s_mov_b64 s[4:5], -1
	s_mov_b64 s[6:7], 0
	s_mov_b64 s[0:1], 0
                                        ; implicit-def: $vgpr1
	s_branch .LBB15_1163
.LBB15_1160:
	s_or_saveexec_b64 s[16:17], s[16:17]
                                        ; implicit-def: $sgpr18
	s_xor_b64 exec, exec, s[16:17]
	s_cbranch_execz .LBB15_1003
.LBB15_1161:
	v_add_f32_e32 v0, 0x46000000, v5
	v_and_b32_e32 v0, 0xff, v0
	v_cmp_ne_u32_e32 vcc, 0, v0
	s_andn2_b64 s[14:15], s[14:15], exec
	s_and_b64 s[20:21], vcc, exec
	s_mov_b32 s18, 0
	s_or_b64 s[14:15], s[14:15], s[20:21]
	s_or_b64 exec, exec, s[16:17]
	v_mov_b32_e32 v7, s18
	s_and_saveexec_b64 s[16:17], s[14:15]
	s_cbranch_execnz .LBB15_1004
	s_branch .LBB15_1005
.LBB15_1162:
	s_mov_b64 s[0:1], -1
                                        ; implicit-def: $vgpr1
	s_mov_b64 s[6:7], 0
.LBB15_1163:
	s_and_b64 vcc, exec, s[4:5]
	s_cbranch_vccz .LBB15_1166
; %bb.1164:
	v_mov_b32_e32 v1, 44
	v_cmp_eq_u16_sdwa s[0:1], s16, v1 src0_sel:BYTE_0 src1_sel:DWORD
	s_and_b64 vcc, exec, s[0:1]
	s_cbranch_vccz .LBB15_1167
; %bb.1165:
	global_load_ubyte v1, v[14:15], off
	s_movk_i32 s4, 0xff
	v_mov_b32_e32 v3, 0x7f800001
	v_mov_b32_e32 v5, 0x400000
	s_mov_b64 s[0:1], 0
	s_mov_b64 s[6:7], -1
	s_waitcnt vmcnt(0)
	v_lshlrev_b32_e32 v7, 23, v1
	v_cmp_ne_u32_e32 vcc, s4, v1
	v_cndmask_b32_e32 v3, v3, v7, vcc
	v_cmp_ne_u32_e32 vcc, 0, v1
	v_cndmask_b32_e32 v1, v5, v3, vcc
.LBB15_1166:
	s_branch .LBB15_1171
.LBB15_1167:
	s_mov_b64 s[0:1], -1
                                        ; implicit-def: $vgpr1
	s_branch .LBB15_1171
.LBB15_1168:
	v_mov_b32_e32 v1, 29
	v_cmp_eq_u16_sdwa s[0:1], s16, v1 src0_sel:BYTE_0 src1_sel:DWORD
	s_and_b64 vcc, exec, s[0:1]
	s_cbranch_vccz .LBB15_1170
; %bb.1169:
	global_load_dwordx2 v[16:17], v[14:15], off
	s_mov_b64 s[0:1], 0
	s_mov_b64 s[6:7], -1
	s_mov_b64 s[4:5], 0
	s_waitcnt vmcnt(0)
	v_ffbh_u32_e32 v1, v17
	v_min_u32_e32 v1, 32, v1
	v_lshlrev_b64 v[16:17], v1, v[16:17]
	v_min_u32_e32 v3, 1, v16
	v_or_b32_e32 v3, v17, v3
	v_cvt_f32_u32_e32 v3, v3
	v_sub_u32_e32 v1, 32, v1
	v_ldexp_f32 v1, v3, v1
	s_branch .LBB15_1172
.LBB15_1170:
	s_mov_b64 s[0:1], -1
                                        ; implicit-def: $vgpr1
.LBB15_1171:
	s_mov_b64 s[4:5], 0
.LBB15_1172:
	s_and_b64 vcc, exec, s[4:5]
	s_cbranch_vccz .LBB15_1190
; %bb.1173:
	v_mov_b32_e32 v1, 27
	v_cmp_lt_i16_sdwa s[4:5], s16, v1 src0_sel:BYTE_0 src1_sel:DWORD
	s_and_b64 vcc, exec, s[4:5]
	s_cbranch_vccnz .LBB15_1176
; %bb.1174:
	v_cmp_gt_i16_sdwa s[4:5], s16, v1 src0_sel:BYTE_0 src1_sel:DWORD
	s_and_b64 vcc, exec, s[4:5]
	s_cbranch_vccz .LBB15_1177
; %bb.1175:
	global_load_dword v1, v[14:15], off
	s_mov_b64 s[4:5], 0
	s_waitcnt vmcnt(0)
	v_cvt_f32_u32_e32 v1, v1
	s_branch .LBB15_1178
.LBB15_1176:
	s_mov_b64 s[4:5], -1
                                        ; implicit-def: $vgpr1
	s_branch .LBB15_1181
.LBB15_1177:
	s_mov_b64 s[4:5], -1
                                        ; implicit-def: $vgpr1
.LBB15_1178:
	s_andn2_b64 vcc, exec, s[4:5]
	s_cbranch_vccnz .LBB15_1180
; %bb.1179:
	global_load_ushort v1, v[14:15], off
	s_waitcnt vmcnt(0)
	v_cvt_f32_u32_e32 v1, v1
.LBB15_1180:
	s_mov_b64 s[4:5], 0
.LBB15_1181:
	s_andn2_b64 vcc, exec, s[4:5]
	s_cbranch_vccnz .LBB15_1189
; %bb.1182:
	global_load_ubyte v3, v[14:15], off
	s_movk_i32 s4, 0x7f
                                        ; implicit-def: $sgpr14
	s_waitcnt vmcnt(0)
	v_cmp_lt_i16_e32 vcc, s4, v3
	s_mov_b64 s[4:5], 0
	s_and_saveexec_b64 s[6:7], vcc
	s_xor_b64 s[6:7], exec, s[6:7]
	s_cbranch_execz .LBB15_1202
; %bb.1183:
	s_movk_i32 s4, 0x80
	v_cmp_eq_u16_e32 vcc, s4, v3
	s_mov_b64 s[4:5], -1
                                        ; implicit-def: $sgpr14
	s_and_saveexec_b64 s[12:13], vcc
; %bb.1184:
	s_mov_b32 s14, 0x7f800001
	s_xor_b64 s[4:5], exec, -1
; %bb.1185:
	s_or_b64 exec, exec, s[12:13]
	s_and_b64 s[4:5], s[4:5], exec
	s_or_saveexec_b64 s[6:7], s[6:7]
	v_mov_b32_e32 v1, s14
	s_xor_b64 exec, exec, s[6:7]
	s_cbranch_execnz .LBB15_1203
.LBB15_1186:
	s_or_b64 exec, exec, s[6:7]
	s_and_saveexec_b64 s[6:7], s[4:5]
	s_cbranch_execz .LBB15_1188
.LBB15_1187:
	v_lshlrev_b32_e32 v1, 24, v3
	v_and_b32_e32 v3, 0xffff, v3
	v_and_b32_e32 v5, 7, v3
	v_ffbh_u32_e32 v9, v5
	v_min_u32_e32 v9, 32, v9
	v_subrev_u32_e32 v11, 28, v9
	v_bfe_u32 v7, v3, 3, 4
	v_lshlrev_b32_e32 v3, v11, v3
	v_sub_u32_e32 v9, 29, v9
	v_and_b32_e32 v3, 7, v3
	v_cmp_eq_u32_e32 vcc, 0, v7
	v_cndmask_b32_e32 v7, v7, v9, vcc
	v_cndmask_b32_e32 v3, v5, v3, vcc
	v_mov_b32_e32 v5, 0x3b800000
	v_lshlrev_b32_e32 v3, 20, v3
	v_and_b32_e32 v1, 0x80000000, v1
	v_lshl_add_u32 v5, v7, 23, v5
	v_or3_b32 v1, v1, v5, v3
.LBB15_1188:
	s_or_b64 exec, exec, s[6:7]
.LBB15_1189:
	s_mov_b64 s[6:7], -1
.LBB15_1190:
	s_branch .LBB15_1222
.LBB15_1191:
	v_mov_b32_e32 v1, 22
	v_cmp_gt_i16_sdwa s[2:3], s16, v1 src0_sel:BYTE_0 src1_sel:DWORD
	s_and_b64 vcc, exec, s[2:3]
	s_cbranch_vccz .LBB15_1201
; %bb.1192:
	v_mov_b32_e32 v1, 24
	v_cmp_lt_i16_sdwa s[2:3], s16, v1 src0_sel:BYTE_0 src1_sel:DWORD
	s_and_b64 vcc, exec, s[2:3]
	s_cbranch_vccnz .LBB15_1204
; %bb.1193:
	v_cmp_gt_i16_sdwa s[2:3], s16, v1 src0_sel:BYTE_0 src1_sel:DWORD
	s_and_b64 vcc, exec, s[2:3]
	s_cbranch_vccz .LBB15_1205
; %bb.1194:
	global_load_ubyte v3, v[14:15], off
	s_movk_i32 s2, 0x7f
                                        ; implicit-def: $sgpr12
	s_waitcnt vmcnt(0)
	v_cmp_lt_i16_e32 vcc, s2, v3
	s_mov_b64 s[2:3], 0
	s_and_saveexec_b64 s[4:5], vcc
	s_xor_b64 s[4:5], exec, s[4:5]
	s_cbranch_execz .LBB15_1216
; %bb.1195:
	s_movk_i32 s2, 0x80
	v_cmp_eq_u16_e32 vcc, s2, v3
	s_mov_b64 s[2:3], -1
                                        ; implicit-def: $sgpr12
	s_and_saveexec_b64 s[6:7], vcc
; %bb.1196:
	s_mov_b32 s12, 0x7f800001
	s_xor_b64 s[2:3], exec, -1
; %bb.1197:
	s_or_b64 exec, exec, s[6:7]
	s_and_b64 s[2:3], s[2:3], exec
	s_or_saveexec_b64 s[4:5], s[4:5]
	v_mov_b32_e32 v1, s12
	s_xor_b64 exec, exec, s[4:5]
	s_cbranch_execnz .LBB15_1217
.LBB15_1198:
	s_or_b64 exec, exec, s[4:5]
	s_and_saveexec_b64 s[4:5], s[2:3]
	s_cbranch_execz .LBB15_1200
.LBB15_1199:
	v_lshlrev_b32_e32 v1, 24, v3
	v_and_b32_e32 v3, 0xffff, v3
	v_and_b32_e32 v5, 3, v3
	v_ffbh_u32_e32 v9, v5
	v_min_u32_e32 v9, 32, v9
	v_subrev_u32_e32 v11, 29, v9
	v_bfe_u32 v7, v3, 2, 5
	v_lshlrev_b32_e32 v3, v11, v3
	v_sub_u32_e32 v9, 30, v9
	v_and_b32_e32 v3, 3, v3
	v_cmp_eq_u32_e32 vcc, 0, v7
	v_cndmask_b32_e32 v7, v7, v9, vcc
	v_cndmask_b32_e32 v3, v5, v3, vcc
	v_mov_b32_e32 v5, 0x37800000
	v_lshlrev_b32_e32 v3, 21, v3
	v_and_b32_e32 v1, 0x80000000, v1
	v_lshl_add_u32 v5, v7, 23, v5
	v_or3_b32 v1, v1, v5, v3
.LBB15_1200:
	s_or_b64 exec, exec, s[4:5]
	s_mov_b64 s[2:3], 0
	s_branch .LBB15_1206
.LBB15_1201:
                                        ; implicit-def: $vgpr1
	s_mov_b64 s[2:3], 0
	s_branch .LBB15_1212
.LBB15_1202:
	s_or_saveexec_b64 s[6:7], s[6:7]
	v_mov_b32_e32 v1, s14
	s_xor_b64 exec, exec, s[6:7]
	s_cbranch_execz .LBB15_1186
.LBB15_1203:
	v_cmp_ne_u16_e32 vcc, 0, v3
	s_andn2_b64 s[4:5], s[4:5], exec
	s_and_b64 s[12:13], vcc, exec
	v_mov_b32_e32 v1, 0
	s_or_b64 s[4:5], s[4:5], s[12:13]
	s_or_b64 exec, exec, s[6:7]
	s_and_saveexec_b64 s[6:7], s[4:5]
	s_cbranch_execnz .LBB15_1187
	s_branch .LBB15_1188
.LBB15_1204:
	s_mov_b64 s[2:3], -1
                                        ; implicit-def: $vgpr1
	s_branch .LBB15_1209
.LBB15_1205:
	s_mov_b64 s[2:3], -1
                                        ; implicit-def: $vgpr1
.LBB15_1206:
	s_and_b64 vcc, exec, s[2:3]
	s_cbranch_vccz .LBB15_1208
; %bb.1207:
	global_load_ubyte v1, v[14:15], off
	s_mov_b32 s2, 0x7f800000
	s_waitcnt vmcnt(0)
	v_lshlrev_b32_e32 v1, 24, v1
	v_and_b32_e32 v3, 0x7f000000, v1
	v_ffbh_u32_e32 v5, v3
	v_min_u32_e32 v5, 32, v5
	v_sub_u32_e64 v5, v5, 4 clamp
	v_lshlrev_b32_e32 v9, v5, v3
	v_lshlrev_b32_e32 v5, 23, v5
	v_lshrrev_b32_e32 v9, 4, v9
	v_add_u32_e32 v7, 0x1000000, v3
	v_sub_u32_e32 v5, v9, v5
	v_ashrrev_i32_e32 v7, 8, v7
	v_add_u32_e32 v5, 0x3c000000, v5
	v_and_or_b32 v5, v7, s2, v5
	v_cmp_ne_u32_e32 vcc, 0, v3
	v_cndmask_b32_e32 v3, 0, v5, vcc
	s_brev_b32 s2, 1
	v_and_or_b32 v1, v1, s2, v3
.LBB15_1208:
	s_mov_b64 s[2:3], 0
.LBB15_1209:
	s_andn2_b64 vcc, exec, s[2:3]
	s_cbranch_vccnz .LBB15_1211
; %bb.1210:
	global_load_ubyte v1, v[14:15], off
	s_movk_i32 s2, 0x7f00
	s_brev_b32 s3, 16
	s_waitcnt vmcnt(0)
	v_lshlrev_b16_e32 v3, 8, v1
	v_lshlrev_b32_e32 v1, 25, v1
	v_lshrrev_b32_e32 v5, 4, v1
	v_and_or_b32 v7, v3, s2, 0.5
	v_or_b32_e32 v5, 0x70000000, v5
	v_add_f32_e32 v7, -0.5, v7
	v_mul_f32_e32 v5, 0x7800000, v5
	v_cmp_gt_u32_e32 vcc, s3, v1
	v_bfe_i32 v3, v3, 0, 16
	v_cndmask_b32_e32 v1, v5, v7, vcc
	s_brev_b32 s2, 1
	v_and_or_b32 v1, v3, s2, v1
.LBB15_1211:
	s_mov_b64 s[6:7], -1
	s_mov_b64 s[2:3], 0
	s_cbranch_execnz .LBB15_1222
.LBB15_1212:
	v_mov_b32_e32 v1, 14
	v_cmp_gt_i16_sdwa s[2:3], s16, v1 src0_sel:BYTE_0 src1_sel:DWORD
	s_and_b64 vcc, exec, s[2:3]
	s_cbranch_vccz .LBB15_1215
; %bb.1213:
	v_mov_b32_e32 v1, 15
	v_cmp_eq_u16_sdwa s[0:1], s16, v1 src0_sel:BYTE_0 src1_sel:DWORD
	s_and_b64 vcc, exec, s[0:1]
	s_cbranch_vccz .LBB15_1218
; %bb.1214:
	global_load_ushort v1, v[14:15], off
	s_mov_b64 s[0:1], 0
	s_mov_b64 s[6:7], -1
	s_waitcnt vmcnt(0)
	v_lshlrev_b32_e32 v1, 16, v1
	s_branch .LBB15_1219
.LBB15_1215:
	s_mov_b64 s[4:5], -1
                                        ; implicit-def: $vgpr1
	s_branch .LBB15_1220
.LBB15_1216:
	s_or_saveexec_b64 s[4:5], s[4:5]
	v_mov_b32_e32 v1, s12
	s_xor_b64 exec, exec, s[4:5]
	s_cbranch_execz .LBB15_1198
.LBB15_1217:
	v_cmp_ne_u16_e32 vcc, 0, v3
	s_andn2_b64 s[2:3], s[2:3], exec
	s_and_b64 s[6:7], vcc, exec
	v_mov_b32_e32 v1, 0
	s_or_b64 s[2:3], s[2:3], s[6:7]
	s_or_b64 exec, exec, s[4:5]
	s_and_saveexec_b64 s[4:5], s[2:3]
	s_cbranch_execnz .LBB15_1199
	s_branch .LBB15_1200
.LBB15_1218:
	s_mov_b64 s[0:1], -1
                                        ; implicit-def: $vgpr1
.LBB15_1219:
	s_mov_b64 s[4:5], 0
.LBB15_1220:
	s_mov_b64 s[2:3], 0
	s_and_b64 vcc, exec, s[4:5]
	s_cbranch_vccz .LBB15_1222
; %bb.1221:
	v_mov_b32_e32 v1, 11
	v_cmp_ne_u16_sdwa s[0:1], s16, v1 src0_sel:BYTE_0 src1_sel:DWORD
	s_mov_b64 s[2:3], -1
                                        ; implicit-def: $vgpr1
.LBB15_1222:
	s_and_b64 vcc, exec, s[0:1]
	s_mov_b64 s[4:5], s[28:29]
	s_cbranch_vccnz .LBB15_1283
; %bb.1223:
	s_andn2_b64 vcc, exec, s[2:3]
	s_cbranch_vccnz .LBB15_1225
.LBB15_1224:
	global_load_ubyte v1, v[14:15], off
	s_mov_b64 s[6:7], -1
	s_waitcnt vmcnt(0)
	v_cmp_ne_u16_e32 vcc, 0, v1
	v_cndmask_b32_e64 v1, 0, 1.0, vcc
.LBB15_1225:
	s_branch .LBB15_1155
.LBB15_1226:
	v_mov_b32_e32 v1, 5
	v_cmp_lt_i16_sdwa s[0:1], s16, v1 src0_sel:BYTE_0 src1_sel:DWORD
	s_and_b64 vcc, exec, s[0:1]
	s_cbranch_vccnz .LBB15_1231
; %bb.1227:
	v_mov_b32_e32 v1, 8
	v_cmp_lt_i16_sdwa s[0:1], s16, v1 src0_sel:BYTE_0 src1_sel:DWORD
	s_and_b64 vcc, exec, s[0:1]
	s_cbranch_vccnz .LBB15_1232
; %bb.1228:
	;; [unrolled: 5-line block ×3, first 2 shown]
	v_cmp_gt_i16_sdwa s[0:1], s16, v1 src0_sel:BYTE_0 src1_sel:DWORD
	s_and_b64 vcc, exec, s[0:1]
	s_cbranch_vccz .LBB15_1234
; %bb.1230:
	global_load_dwordx2 v[16:17], v[14:15], off
	s_mov_b64 s[0:1], 0
	s_waitcnt vmcnt(0)
	v_cvt_f32_f64_e32 v1, v[16:17]
	s_branch .LBB15_1235
.LBB15_1231:
                                        ; implicit-def: $vgpr1
	s_branch .LBB15_1252
.LBB15_1232:
                                        ; implicit-def: $vgpr1
	s_branch .LBB15_1241
.LBB15_1233:
	s_mov_b64 s[0:1], -1
                                        ; implicit-def: $vgpr1
	s_branch .LBB15_1238
.LBB15_1234:
	s_mov_b64 s[0:1], -1
                                        ; implicit-def: $vgpr1
.LBB15_1235:
	s_andn2_b64 vcc, exec, s[0:1]
	s_cbranch_vccnz .LBB15_1237
; %bb.1236:
	global_load_dword v1, v[14:15], off
.LBB15_1237:
	s_mov_b64 s[0:1], 0
.LBB15_1238:
	s_andn2_b64 vcc, exec, s[0:1]
	s_cbranch_vccnz .LBB15_1240
; %bb.1239:
	global_load_dword v1, v[14:15], off
	s_waitcnt vmcnt(0)
	v_cvt_f32_f16_e32 v1, v1
.LBB15_1240:
	s_cbranch_execnz .LBB15_1251
.LBB15_1241:
	s_waitcnt vmcnt(0)
	v_mov_b32_e32 v1, 6
	v_cmp_lt_i16_sdwa s[0:1], s16, v1 src0_sel:BYTE_0 src1_sel:DWORD
	s_and_b64 vcc, exec, s[0:1]
	s_cbranch_vccnz .LBB15_1244
; %bb.1242:
	v_cmp_gt_i16_sdwa s[0:1], s16, v1 src0_sel:BYTE_0 src1_sel:DWORD
	s_and_b64 vcc, exec, s[0:1]
	s_cbranch_vccz .LBB15_1245
; %bb.1243:
	global_load_dwordx2 v[16:17], v[14:15], off
	s_mov_b64 s[0:1], 0
	s_waitcnt vmcnt(0)
	v_cvt_f32_f64_e32 v1, v[16:17]
	s_branch .LBB15_1246
.LBB15_1244:
	s_mov_b64 s[0:1], -1
                                        ; implicit-def: $vgpr1
	s_branch .LBB15_1249
.LBB15_1245:
	s_mov_b64 s[0:1], -1
                                        ; implicit-def: $vgpr1
.LBB15_1246:
	s_andn2_b64 vcc, exec, s[0:1]
	s_cbranch_vccnz .LBB15_1248
; %bb.1247:
	global_load_dword v1, v[14:15], off
.LBB15_1248:
	s_mov_b64 s[0:1], 0
.LBB15_1249:
	s_andn2_b64 vcc, exec, s[0:1]
	s_cbranch_vccnz .LBB15_1251
; %bb.1250:
	global_load_ushort v1, v[14:15], off
	s_waitcnt vmcnt(0)
	v_cvt_f32_f16_e32 v1, v1
.LBB15_1251:
	s_cbranch_execnz .LBB15_1270
.LBB15_1252:
	s_waitcnt vmcnt(0)
	v_mov_b32_e32 v1, 2
	v_cmp_lt_i16_sdwa s[0:1], s16, v1 src0_sel:BYTE_0 src1_sel:DWORD
	s_and_b64 vcc, exec, s[0:1]
	s_cbranch_vccnz .LBB15_1256
; %bb.1253:
	v_mov_b32_e32 v1, 3
	v_cmp_lt_i16_sdwa s[0:1], s16, v1 src0_sel:BYTE_0 src1_sel:DWORD
	s_and_b64 vcc, exec, s[0:1]
	s_cbranch_vccnz .LBB15_1257
; %bb.1254:
	v_cmp_gt_i16_sdwa s[0:1], s16, v1 src0_sel:BYTE_0 src1_sel:DWORD
	s_and_b64 vcc, exec, s[0:1]
	s_cbranch_vccz .LBB15_1258
; %bb.1255:
	global_load_dwordx2 v[16:17], v[14:15], off
	s_mov_b64 s[0:1], 0
	s_waitcnt vmcnt(0)
	v_xor_b32_e32 v3, v16, v17
	v_ffbh_i32_e32 v1, v17
	v_ashrrev_i32_e32 v3, 31, v3
	v_add_u32_e32 v1, -1, v1
	v_add_u32_e32 v3, 32, v3
	v_min_u32_e32 v1, v1, v3
	v_lshlrev_b64 v[16:17], v1, v[16:17]
	v_min_u32_e32 v3, 1, v16
	v_or_b32_e32 v3, v17, v3
	v_cvt_f32_i32_e32 v3, v3
	v_sub_u32_e32 v1, 32, v1
	v_ldexp_f32 v1, v3, v1
	s_branch .LBB15_1259
.LBB15_1256:
                                        ; implicit-def: $vgpr1
	s_branch .LBB15_1265
.LBB15_1257:
	s_mov_b64 s[0:1], -1
                                        ; implicit-def: $vgpr1
	s_branch .LBB15_1262
.LBB15_1258:
	s_mov_b64 s[0:1], -1
                                        ; implicit-def: $vgpr1
.LBB15_1259:
	s_andn2_b64 vcc, exec, s[0:1]
	s_cbranch_vccnz .LBB15_1261
; %bb.1260:
	global_load_dword v1, v[14:15], off
	s_waitcnt vmcnt(0)
	v_cvt_f32_i32_e32 v1, v1
.LBB15_1261:
	s_mov_b64 s[0:1], 0
.LBB15_1262:
	s_andn2_b64 vcc, exec, s[0:1]
	s_cbranch_vccnz .LBB15_1264
; %bb.1263:
	global_load_sshort v1, v[14:15], off
	s_waitcnt vmcnt(0)
	v_cvt_f32_i32_e32 v1, v1
.LBB15_1264:
	s_cbranch_execnz .LBB15_1270
.LBB15_1265:
	v_mov_b32_e32 v1, 0
	v_cmp_gt_i16_sdwa s[0:1], s16, v1 src0_sel:BYTE_0 src1_sel:DWORD
	s_and_b64 vcc, exec, s[0:1]
	s_cbranch_vccz .LBB15_1267
; %bb.1266:
	global_load_sbyte v1, v[14:15], off
	s_mov_b64 s[0:1], 0
	s_waitcnt vmcnt(0)
	v_cvt_f32_i32_e32 v1, v1
	s_branch .LBB15_1268
.LBB15_1267:
	s_mov_b64 s[0:1], -1
                                        ; implicit-def: $vgpr1
.LBB15_1268:
	s_andn2_b64 vcc, exec, s[0:1]
	s_cbranch_vccnz .LBB15_1270
; %bb.1269:
	global_load_ubyte v1, v[14:15], off
	s_waitcnt vmcnt(0)
	v_cvt_f32_ubyte0_e32 v1, v1
.LBB15_1270:
.LBB15_1271:
	v_mov_b32_e32 v3, s11
	v_add_co_u32_e32 v12, vcc, s10, v12
	v_addc_co_u32_e32 v13, vcc, 0, v3, vcc
	v_mov_b32_e32 v3, 11
	v_cmp_lt_i16_sdwa s[0:1], s16, v3 src0_sel:BYTE_0 src1_sel:DWORD
	s_and_b64 vcc, exec, s[0:1]
	s_cbranch_vccnz .LBB15_1278
; %bb.1272:
	v_mov_b32_e32 v3, 25
	v_cmp_gt_i16_sdwa s[0:1], s16, v3 src0_sel:BYTE_0 src1_sel:DWORD
	s_mov_b64 s[2:3], 0
	s_and_b64 vcc, exec, s[0:1]
	s_cbranch_vccz .LBB15_1280
; %bb.1273:
	v_mov_b32_e32 v3, 28
	v_cmp_gt_i16_sdwa s[0:1], s16, v3 src0_sel:BYTE_0 src1_sel:DWORD
	s_and_b64 vcc, exec, s[0:1]
	s_cbranch_vccz .LBB15_1281
; %bb.1274:
	v_mov_b32_e32 v3, 43
	v_cmp_gt_i16_sdwa s[0:1], s16, v3 src0_sel:BYTE_0 src1_sel:DWORD
	s_and_b64 vcc, exec, s[0:1]
	s_cbranch_vccz .LBB15_1282
; %bb.1275:
	v_mov_b32_e32 v3, 45
	v_cmp_gt_i16_sdwa s[0:1], s16, v3 src0_sel:BYTE_0 src1_sel:DWORD
	s_and_b64 vcc, exec, s[0:1]
	s_cbranch_vccz .LBB15_1284
; %bb.1276:
	v_mov_b32_e32 v3, 46
	v_cmp_eq_u16_sdwa s[0:1], s16, v3 src0_sel:BYTE_0 src1_sel:DWORD
	s_mov_b64 s[12:13], 0
	s_and_b64 vcc, exec, s[0:1]
	s_cbranch_vccz .LBB15_1287
; %bb.1277:
	global_load_dword v3, v[12:13], off
	s_mov_b64 s[0:1], 0
	s_mov_b64 s[6:7], -1
	s_waitcnt vmcnt(0)
	v_lshlrev_b32_e32 v3, 16, v3
	s_branch .LBB15_1288
.LBB15_1278:
	s_mov_b64 s[6:7], 0
                                        ; implicit-def: $vgpr3
	s_cbranch_execnz .LBB15_1353
.LBB15_1279:
	s_andn2_b64 vcc, exec, s[6:7]
	s_cbranch_vccnz .LBB15_2044
	s_branch .LBB15_1400
.LBB15_1280:
	s_mov_b64 s[6:7], 0
	s_mov_b64 s[0:1], 0
                                        ; implicit-def: $vgpr3
	s_cbranch_execnz .LBB15_1317
	s_branch .LBB15_1349
.LBB15_1281:
	s_mov_b64 s[12:13], -1
	s_mov_b64 s[6:7], 0
	s_mov_b64 s[0:1], 0
                                        ; implicit-def: $vgpr3
	s_branch .LBB15_1298
.LBB15_1282:
	s_mov_b64 s[12:13], -1
	s_mov_b64 s[6:7], 0
	s_mov_b64 s[0:1], 0
                                        ; implicit-def: $vgpr3
	s_branch .LBB15_1293
.LBB15_1283:
	s_or_b64 s[4:5], s[28:29], exec
	s_trap 2
                                        ; implicit-def: $vgpr1
	s_cbranch_execz .LBB15_1224
	s_branch .LBB15_1225
.LBB15_1284:
	s_mov_b64 s[12:13], -1
	s_mov_b64 s[6:7], 0
	s_mov_b64 s[0:1], 0
                                        ; implicit-def: $vgpr3
	s_branch .LBB15_1288
.LBB15_1285:
	s_or_saveexec_b64 s[18:19], s[18:19]
                                        ; implicit-def: $sgpr20
	s_xor_b64 exec, exec, s[18:19]
	s_cbranch_execz .LBB15_1015
.LBB15_1286:
	v_add_f32_e32 v0, 0x42800000, v5
	v_and_b32_e32 v0, 0xff, v0
	v_cmp_ne_u32_e32 vcc, 0, v0
	s_andn2_b64 s[16:17], s[16:17], exec
	s_and_b64 s[22:23], vcc, exec
	s_mov_b32 s20, 0
	s_or_b64 s[16:17], s[16:17], s[22:23]
	s_or_b64 exec, exec, s[18:19]
	v_mov_b32_e32 v7, s20
	s_and_saveexec_b64 s[18:19], s[16:17]
	s_cbranch_execnz .LBB15_1016
	s_branch .LBB15_1017
.LBB15_1287:
	s_mov_b64 s[0:1], -1
                                        ; implicit-def: $vgpr3
	s_mov_b64 s[6:7], 0
.LBB15_1288:
	s_and_b64 vcc, exec, s[12:13]
	s_cbranch_vccz .LBB15_1292
; %bb.1289:
	v_mov_b32_e32 v3, 44
	v_cmp_eq_u16_sdwa s[0:1], s16, v3 src0_sel:BYTE_0 src1_sel:DWORD
	s_and_b64 vcc, exec, s[0:1]
	s_cbranch_vccz .LBB15_1291
; %bb.1290:
	global_load_ubyte v3, v[12:13], off
	s_movk_i32 s6, 0xff
	v_mov_b32_e32 v5, 0x7f800001
	v_mov_b32_e32 v7, 0x400000
	s_mov_b64 s[0:1], 0
	s_waitcnt vmcnt(0)
	v_lshlrev_b32_e32 v9, 23, v3
	v_cmp_ne_u32_e32 vcc, s6, v3
	v_cndmask_b32_e32 v5, v5, v9, vcc
	v_cmp_ne_u32_e32 vcc, 0, v3
	v_cndmask_b32_e32 v3, v7, v5, vcc
	s_mov_b64 s[6:7], -1
	s_branch .LBB15_1292
.LBB15_1291:
	s_mov_b64 s[0:1], -1
                                        ; implicit-def: $vgpr3
.LBB15_1292:
	s_mov_b64 s[12:13], 0
.LBB15_1293:
	s_and_b64 vcc, exec, s[12:13]
	s_cbranch_vccz .LBB15_1297
; %bb.1294:
	v_mov_b32_e32 v3, 29
	v_cmp_eq_u16_sdwa s[0:1], s16, v3 src0_sel:BYTE_0 src1_sel:DWORD
	s_and_b64 vcc, exec, s[0:1]
	s_cbranch_vccz .LBB15_1296
; %bb.1295:
	global_load_dwordx2 v[14:15], v[12:13], off
	s_mov_b64 s[0:1], 0
	s_mov_b64 s[6:7], -1
	s_mov_b64 s[12:13], 0
	s_waitcnt vmcnt(0)
	v_ffbh_u32_e32 v3, v15
	v_min_u32_e32 v3, 32, v3
	v_lshlrev_b64 v[14:15], v3, v[14:15]
	v_min_u32_e32 v5, 1, v14
	v_or_b32_e32 v5, v15, v5
	v_cvt_f32_u32_e32 v5, v5
	v_sub_u32_e32 v3, 32, v3
	v_ldexp_f32 v3, v5, v3
	s_branch .LBB15_1298
.LBB15_1296:
	s_mov_b64 s[0:1], -1
                                        ; implicit-def: $vgpr3
.LBB15_1297:
	s_mov_b64 s[12:13], 0
.LBB15_1298:
	s_and_b64 vcc, exec, s[12:13]
	s_cbranch_vccz .LBB15_1316
; %bb.1299:
	v_mov_b32_e32 v3, 27
	v_cmp_lt_i16_sdwa s[6:7], s16, v3 src0_sel:BYTE_0 src1_sel:DWORD
	s_and_b64 vcc, exec, s[6:7]
	s_cbranch_vccnz .LBB15_1302
; %bb.1300:
	v_cmp_gt_i16_sdwa s[6:7], s16, v3 src0_sel:BYTE_0 src1_sel:DWORD
	s_and_b64 vcc, exec, s[6:7]
	s_cbranch_vccz .LBB15_1303
; %bb.1301:
	global_load_dword v3, v[12:13], off
	s_mov_b64 s[6:7], 0
	s_waitcnt vmcnt(0)
	v_cvt_f32_u32_e32 v3, v3
	s_branch .LBB15_1304
.LBB15_1302:
	s_mov_b64 s[6:7], -1
                                        ; implicit-def: $vgpr3
	s_branch .LBB15_1307
.LBB15_1303:
	s_mov_b64 s[6:7], -1
                                        ; implicit-def: $vgpr3
.LBB15_1304:
	s_andn2_b64 vcc, exec, s[6:7]
	s_cbranch_vccnz .LBB15_1306
; %bb.1305:
	global_load_ushort v3, v[12:13], off
	s_waitcnt vmcnt(0)
	v_cvt_f32_u32_e32 v3, v3
.LBB15_1306:
	s_mov_b64 s[6:7], 0
.LBB15_1307:
	s_andn2_b64 vcc, exec, s[6:7]
	s_cbranch_vccnz .LBB15_1315
; %bb.1308:
	global_load_ubyte v5, v[12:13], off
	s_movk_i32 s6, 0x7f
                                        ; implicit-def: $sgpr17
	s_waitcnt vmcnt(0)
	v_cmp_lt_i16_e32 vcc, s6, v5
	s_mov_b64 s[6:7], 0
	s_and_saveexec_b64 s[12:13], vcc
	s_xor_b64 s[12:13], exec, s[12:13]
	s_cbranch_execz .LBB15_1328
; %bb.1309:
	s_movk_i32 s6, 0x80
	v_cmp_eq_u16_e32 vcc, s6, v5
	s_mov_b64 s[6:7], -1
                                        ; implicit-def: $sgpr17
	s_and_saveexec_b64 s[14:15], vcc
; %bb.1310:
	s_mov_b32 s17, 0x7f800001
	s_xor_b64 s[6:7], exec, -1
; %bb.1311:
	s_or_b64 exec, exec, s[14:15]
	s_and_b64 s[6:7], s[6:7], exec
	s_or_saveexec_b64 s[12:13], s[12:13]
	v_mov_b32_e32 v3, s17
	s_xor_b64 exec, exec, s[12:13]
	s_cbranch_execnz .LBB15_1329
.LBB15_1312:
	s_or_b64 exec, exec, s[12:13]
	s_and_saveexec_b64 s[12:13], s[6:7]
	s_cbranch_execz .LBB15_1314
.LBB15_1313:
	v_lshlrev_b32_e32 v3, 24, v5
	v_and_b32_e32 v5, 0xffff, v5
	v_and_b32_e32 v7, 7, v5
	v_ffbh_u32_e32 v11, v7
	v_min_u32_e32 v11, 32, v11
	v_subrev_u32_e32 v14, 28, v11
	v_bfe_u32 v9, v5, 3, 4
	v_lshlrev_b32_e32 v5, v14, v5
	v_sub_u32_e32 v11, 29, v11
	v_and_b32_e32 v5, 7, v5
	v_cmp_eq_u32_e32 vcc, 0, v9
	v_cndmask_b32_e32 v9, v9, v11, vcc
	v_cndmask_b32_e32 v5, v7, v5, vcc
	v_mov_b32_e32 v7, 0x3b800000
	v_lshlrev_b32_e32 v5, 20, v5
	v_and_b32_e32 v3, 0x80000000, v3
	v_lshl_add_u32 v7, v9, 23, v7
	v_or3_b32 v3, v3, v7, v5
.LBB15_1314:
	s_or_b64 exec, exec, s[12:13]
.LBB15_1315:
	s_mov_b64 s[6:7], -1
.LBB15_1316:
	s_branch .LBB15_1349
.LBB15_1317:
	v_mov_b32_e32 v3, 22
	v_cmp_gt_i16_sdwa s[2:3], s16, v3 src0_sel:BYTE_0 src1_sel:DWORD
	s_and_b64 vcc, exec, s[2:3]
	s_cbranch_vccz .LBB15_1327
; %bb.1318:
	v_mov_b32_e32 v3, 24
	v_cmp_lt_i16_sdwa s[2:3], s16, v3 src0_sel:BYTE_0 src1_sel:DWORD
	s_and_b64 vcc, exec, s[2:3]
	s_cbranch_vccnz .LBB15_1330
; %bb.1319:
	v_cmp_gt_i16_sdwa s[2:3], s16, v3 src0_sel:BYTE_0 src1_sel:DWORD
	s_and_b64 vcc, exec, s[2:3]
	s_cbranch_vccz .LBB15_1331
; %bb.1320:
	global_load_ubyte v5, v[12:13], off
	s_movk_i32 s2, 0x7f
                                        ; implicit-def: $sgpr14
	s_waitcnt vmcnt(0)
	v_cmp_lt_i16_e32 vcc, s2, v5
	s_mov_b64 s[2:3], 0
	s_and_saveexec_b64 s[6:7], vcc
	s_xor_b64 s[6:7], exec, s[6:7]
	s_cbranch_execz .LBB15_1343
; %bb.1321:
	s_movk_i32 s2, 0x80
	v_cmp_eq_u16_e32 vcc, s2, v5
	s_mov_b64 s[2:3], -1
                                        ; implicit-def: $sgpr14
	s_and_saveexec_b64 s[12:13], vcc
; %bb.1322:
	s_mov_b32 s14, 0x7f800001
	s_xor_b64 s[2:3], exec, -1
; %bb.1323:
	s_or_b64 exec, exec, s[12:13]
	s_and_b64 s[2:3], s[2:3], exec
	s_or_saveexec_b64 s[6:7], s[6:7]
	v_mov_b32_e32 v3, s14
	s_xor_b64 exec, exec, s[6:7]
	s_cbranch_execnz .LBB15_1344
.LBB15_1324:
	s_or_b64 exec, exec, s[6:7]
	s_and_saveexec_b64 s[6:7], s[2:3]
	s_cbranch_execz .LBB15_1326
.LBB15_1325:
	v_lshlrev_b32_e32 v3, 24, v5
	v_and_b32_e32 v5, 0xffff, v5
	v_and_b32_e32 v7, 3, v5
	v_ffbh_u32_e32 v11, v7
	v_min_u32_e32 v11, 32, v11
	v_subrev_u32_e32 v14, 29, v11
	v_bfe_u32 v9, v5, 2, 5
	v_lshlrev_b32_e32 v5, v14, v5
	v_sub_u32_e32 v11, 30, v11
	v_and_b32_e32 v5, 3, v5
	v_cmp_eq_u32_e32 vcc, 0, v9
	v_cndmask_b32_e32 v9, v9, v11, vcc
	v_cndmask_b32_e32 v5, v7, v5, vcc
	v_mov_b32_e32 v7, 0x37800000
	v_lshlrev_b32_e32 v5, 21, v5
	v_and_b32_e32 v3, 0x80000000, v3
	v_lshl_add_u32 v7, v9, 23, v7
	v_or3_b32 v3, v3, v7, v5
.LBB15_1326:
	s_or_b64 exec, exec, s[6:7]
	s_mov_b64 s[2:3], 0
	s_branch .LBB15_1332
.LBB15_1327:
	s_mov_b64 s[2:3], -1
                                        ; implicit-def: $vgpr3
	s_branch .LBB15_1338
.LBB15_1328:
	s_or_saveexec_b64 s[12:13], s[12:13]
	v_mov_b32_e32 v3, s17
	s_xor_b64 exec, exec, s[12:13]
	s_cbranch_execz .LBB15_1312
.LBB15_1329:
	v_cmp_ne_u16_e32 vcc, 0, v5
	s_andn2_b64 s[6:7], s[6:7], exec
	s_and_b64 s[14:15], vcc, exec
	v_mov_b32_e32 v3, 0
	s_or_b64 s[6:7], s[6:7], s[14:15]
	s_or_b64 exec, exec, s[12:13]
	s_and_saveexec_b64 s[12:13], s[6:7]
	s_cbranch_execnz .LBB15_1313
	s_branch .LBB15_1314
.LBB15_1330:
	s_mov_b64 s[2:3], -1
                                        ; implicit-def: $vgpr3
	s_branch .LBB15_1335
.LBB15_1331:
	s_mov_b64 s[2:3], -1
                                        ; implicit-def: $vgpr3
.LBB15_1332:
	s_and_b64 vcc, exec, s[2:3]
	s_cbranch_vccz .LBB15_1334
; %bb.1333:
	global_load_ubyte v3, v[12:13], off
	s_mov_b32 s2, 0x7f800000
	s_waitcnt vmcnt(0)
	v_lshlrev_b32_e32 v3, 24, v3
	v_and_b32_e32 v5, 0x7f000000, v3
	v_ffbh_u32_e32 v7, v5
	v_min_u32_e32 v7, 32, v7
	v_sub_u32_e64 v7, v7, 4 clamp
	v_lshlrev_b32_e32 v11, v7, v5
	v_lshlrev_b32_e32 v7, 23, v7
	v_lshrrev_b32_e32 v11, 4, v11
	v_add_u32_e32 v9, 0x1000000, v5
	v_sub_u32_e32 v7, v11, v7
	v_ashrrev_i32_e32 v9, 8, v9
	v_add_u32_e32 v7, 0x3c000000, v7
	v_and_or_b32 v7, v9, s2, v7
	v_cmp_ne_u32_e32 vcc, 0, v5
	v_cndmask_b32_e32 v5, 0, v7, vcc
	s_brev_b32 s2, 1
	v_and_or_b32 v3, v3, s2, v5
.LBB15_1334:
	s_mov_b64 s[2:3], 0
.LBB15_1335:
	s_andn2_b64 vcc, exec, s[2:3]
	s_cbranch_vccnz .LBB15_1337
; %bb.1336:
	global_load_ubyte v3, v[12:13], off
	s_movk_i32 s2, 0x7f00
	s_brev_b32 s3, 16
	s_waitcnt vmcnt(0)
	v_lshlrev_b16_e32 v5, 8, v3
	v_lshlrev_b32_e32 v3, 25, v3
	v_lshrrev_b32_e32 v7, 4, v3
	v_and_or_b32 v9, v5, s2, 0.5
	v_or_b32_e32 v7, 0x70000000, v7
	v_add_f32_e32 v9, -0.5, v9
	v_mul_f32_e32 v7, 0x7800000, v7
	v_cmp_gt_u32_e32 vcc, s3, v3
	v_bfe_i32 v5, v5, 0, 16
	v_cndmask_b32_e32 v3, v7, v9, vcc
	s_brev_b32 s2, 1
	v_and_or_b32 v3, v5, s2, v3
.LBB15_1337:
	s_mov_b64 s[2:3], 0
	s_mov_b64 s[6:7], -1
.LBB15_1338:
	s_andn2_b64 vcc, exec, s[2:3]
	s_mov_b64 s[2:3], 0
	s_cbranch_vccnz .LBB15_1349
; %bb.1339:
	v_mov_b32_e32 v3, 14
	v_cmp_gt_i16_sdwa s[2:3], s16, v3 src0_sel:BYTE_0 src1_sel:DWORD
	s_and_b64 vcc, exec, s[2:3]
	s_cbranch_vccz .LBB15_1342
; %bb.1340:
	v_mov_b32_e32 v3, 15
	v_cmp_eq_u16_sdwa s[0:1], s16, v3 src0_sel:BYTE_0 src1_sel:DWORD
	s_and_b64 vcc, exec, s[0:1]
	s_cbranch_vccz .LBB15_1345
; %bb.1341:
	global_load_ushort v3, v[12:13], off
	s_mov_b64 s[0:1], 0
	s_mov_b64 s[6:7], -1
	s_waitcnt vmcnt(0)
	v_lshlrev_b32_e32 v3, 16, v3
	s_branch .LBB15_1346
.LBB15_1342:
	s_mov_b64 s[12:13], -1
                                        ; implicit-def: $vgpr3
	s_branch .LBB15_1347
.LBB15_1343:
	s_or_saveexec_b64 s[6:7], s[6:7]
	v_mov_b32_e32 v3, s14
	s_xor_b64 exec, exec, s[6:7]
	s_cbranch_execz .LBB15_1324
.LBB15_1344:
	v_cmp_ne_u16_e32 vcc, 0, v5
	s_andn2_b64 s[2:3], s[2:3], exec
	s_and_b64 s[12:13], vcc, exec
	v_mov_b32_e32 v3, 0
	s_or_b64 s[2:3], s[2:3], s[12:13]
	s_or_b64 exec, exec, s[6:7]
	s_and_saveexec_b64 s[6:7], s[2:3]
	s_cbranch_execnz .LBB15_1325
	s_branch .LBB15_1326
.LBB15_1345:
	s_mov_b64 s[0:1], -1
                                        ; implicit-def: $vgpr3
.LBB15_1346:
	s_mov_b64 s[12:13], 0
.LBB15_1347:
	s_mov_b64 s[2:3], 0
	s_and_b64 vcc, exec, s[12:13]
	s_cbranch_vccz .LBB15_1349
; %bb.1348:
	v_mov_b32_e32 v3, 11
	v_cmp_ne_u16_sdwa s[0:1], s16, v3 src0_sel:BYTE_0 src1_sel:DWORD
	s_mov_b64 s[2:3], -1
                                        ; implicit-def: $vgpr3
.LBB15_1349:
	s_and_b64 vcc, exec, s[0:1]
	s_cbranch_vccnz .LBB15_1412
; %bb.1350:
	s_andn2_b64 vcc, exec, s[2:3]
	s_cbranch_vccnz .LBB15_1352
.LBB15_1351:
	global_load_ubyte v3, v[12:13], off
	s_mov_b64 s[6:7], -1
	s_waitcnt vmcnt(0)
	v_cmp_ne_u16_e32 vcc, 0, v3
	v_cndmask_b32_e64 v3, 0, 1.0, vcc
.LBB15_1352:
	s_branch .LBB15_1279
.LBB15_1353:
	v_mov_b32_e32 v3, 5
	v_cmp_lt_i16_sdwa s[0:1], s16, v3 src0_sel:BYTE_0 src1_sel:DWORD
	s_and_b64 vcc, exec, s[0:1]
	s_cbranch_vccnz .LBB15_1358
; %bb.1354:
	v_mov_b32_e32 v3, 8
	v_cmp_lt_i16_sdwa s[0:1], s16, v3 src0_sel:BYTE_0 src1_sel:DWORD
	s_and_b64 vcc, exec, s[0:1]
	s_cbranch_vccnz .LBB15_1359
; %bb.1355:
	;; [unrolled: 5-line block ×3, first 2 shown]
	v_cmp_gt_i16_sdwa s[0:1], s16, v3 src0_sel:BYTE_0 src1_sel:DWORD
	s_and_b64 vcc, exec, s[0:1]
	s_cbranch_vccz .LBB15_1361
; %bb.1357:
	global_load_dwordx2 v[14:15], v[12:13], off
	s_mov_b64 s[0:1], 0
	s_waitcnt vmcnt(0)
	v_cvt_f32_f64_e32 v3, v[14:15]
	s_branch .LBB15_1362
.LBB15_1358:
                                        ; implicit-def: $vgpr3
	s_branch .LBB15_1380
.LBB15_1359:
	s_mov_b64 s[0:1], -1
                                        ; implicit-def: $vgpr3
	s_branch .LBB15_1368
.LBB15_1360:
	s_mov_b64 s[0:1], -1
                                        ; implicit-def: $vgpr3
	s_branch .LBB15_1365
.LBB15_1361:
	s_mov_b64 s[0:1], -1
                                        ; implicit-def: $vgpr3
.LBB15_1362:
	s_andn2_b64 vcc, exec, s[0:1]
	s_cbranch_vccnz .LBB15_1364
; %bb.1363:
	global_load_dword v3, v[12:13], off
.LBB15_1364:
	s_mov_b64 s[0:1], 0
.LBB15_1365:
	s_andn2_b64 vcc, exec, s[0:1]
	s_cbranch_vccnz .LBB15_1367
; %bb.1366:
	global_load_dword v3, v[12:13], off
	s_waitcnt vmcnt(0)
	v_cvt_f32_f16_e32 v3, v3
.LBB15_1367:
	s_mov_b64 s[0:1], 0
.LBB15_1368:
	s_andn2_b64 vcc, exec, s[0:1]
	s_cbranch_vccnz .LBB15_1379
; %bb.1369:
	s_waitcnt vmcnt(0)
	v_mov_b32_e32 v3, 6
	v_cmp_lt_i16_sdwa s[0:1], s16, v3 src0_sel:BYTE_0 src1_sel:DWORD
	s_and_b64 vcc, exec, s[0:1]
	s_cbranch_vccnz .LBB15_1372
; %bb.1370:
	v_cmp_gt_i16_sdwa s[0:1], s16, v3 src0_sel:BYTE_0 src1_sel:DWORD
	s_and_b64 vcc, exec, s[0:1]
	s_cbranch_vccz .LBB15_1373
; %bb.1371:
	global_load_dwordx2 v[14:15], v[12:13], off
	s_mov_b64 s[0:1], 0
	s_waitcnt vmcnt(0)
	v_cvt_f32_f64_e32 v3, v[14:15]
	s_branch .LBB15_1374
.LBB15_1372:
	s_mov_b64 s[0:1], -1
                                        ; implicit-def: $vgpr3
	s_branch .LBB15_1377
.LBB15_1373:
	s_mov_b64 s[0:1], -1
                                        ; implicit-def: $vgpr3
.LBB15_1374:
	s_andn2_b64 vcc, exec, s[0:1]
	s_cbranch_vccnz .LBB15_1376
; %bb.1375:
	global_load_dword v3, v[12:13], off
.LBB15_1376:
	s_mov_b64 s[0:1], 0
.LBB15_1377:
	s_andn2_b64 vcc, exec, s[0:1]
	s_cbranch_vccnz .LBB15_1379
; %bb.1378:
	global_load_ushort v3, v[12:13], off
	s_waitcnt vmcnt(0)
	v_cvt_f32_f16_e32 v3, v3
.LBB15_1379:
	s_cbranch_execnz .LBB15_1399
.LBB15_1380:
	s_waitcnt vmcnt(0)
	v_mov_b32_e32 v3, 2
	v_cmp_lt_i16_sdwa s[0:1], s16, v3 src0_sel:BYTE_0 src1_sel:DWORD
	s_and_b64 vcc, exec, s[0:1]
	s_cbranch_vccnz .LBB15_1384
; %bb.1381:
	v_mov_b32_e32 v3, 3
	v_cmp_lt_i16_sdwa s[0:1], s16, v3 src0_sel:BYTE_0 src1_sel:DWORD
	s_and_b64 vcc, exec, s[0:1]
	s_cbranch_vccnz .LBB15_1385
; %bb.1382:
	v_cmp_gt_i16_sdwa s[0:1], s16, v3 src0_sel:BYTE_0 src1_sel:DWORD
	s_and_b64 vcc, exec, s[0:1]
	s_cbranch_vccz .LBB15_1386
; %bb.1383:
	global_load_dwordx2 v[14:15], v[12:13], off
	s_mov_b64 s[0:1], 0
	s_waitcnt vmcnt(0)
	v_xor_b32_e32 v5, v14, v15
	v_ffbh_i32_e32 v3, v15
	v_ashrrev_i32_e32 v5, 31, v5
	v_add_u32_e32 v3, -1, v3
	v_add_u32_e32 v5, 32, v5
	v_min_u32_e32 v3, v3, v5
	v_lshlrev_b64 v[14:15], v3, v[14:15]
	v_min_u32_e32 v5, 1, v14
	v_or_b32_e32 v5, v15, v5
	v_cvt_f32_i32_e32 v5, v5
	v_sub_u32_e32 v3, 32, v3
	v_ldexp_f32 v3, v5, v3
	s_branch .LBB15_1387
.LBB15_1384:
	s_mov_b64 s[0:1], -1
                                        ; implicit-def: $vgpr3
	s_branch .LBB15_1393
.LBB15_1385:
	s_mov_b64 s[0:1], -1
                                        ; implicit-def: $vgpr3
	s_branch .LBB15_1390
.LBB15_1386:
	s_mov_b64 s[0:1], -1
                                        ; implicit-def: $vgpr3
.LBB15_1387:
	s_andn2_b64 vcc, exec, s[0:1]
	s_cbranch_vccnz .LBB15_1389
; %bb.1388:
	global_load_dword v3, v[12:13], off
	s_waitcnt vmcnt(0)
	v_cvt_f32_i32_e32 v3, v3
.LBB15_1389:
	s_mov_b64 s[0:1], 0
.LBB15_1390:
	s_andn2_b64 vcc, exec, s[0:1]
	s_cbranch_vccnz .LBB15_1392
; %bb.1391:
	global_load_sshort v3, v[12:13], off
	s_waitcnt vmcnt(0)
	v_cvt_f32_i32_e32 v3, v3
.LBB15_1392:
	s_mov_b64 s[0:1], 0
.LBB15_1393:
	s_andn2_b64 vcc, exec, s[0:1]
	s_cbranch_vccnz .LBB15_1399
; %bb.1394:
	v_mov_b32_e32 v3, 0
	v_cmp_gt_i16_sdwa s[0:1], s16, v3 src0_sel:BYTE_0 src1_sel:DWORD
	s_and_b64 vcc, exec, s[0:1]
	s_cbranch_vccz .LBB15_1396
; %bb.1395:
	global_load_sbyte v3, v[12:13], off
	s_mov_b64 s[0:1], 0
	s_waitcnt vmcnt(0)
	v_cvt_f32_i32_e32 v3, v3
	s_branch .LBB15_1397
.LBB15_1396:
	s_mov_b64 s[0:1], -1
                                        ; implicit-def: $vgpr3
.LBB15_1397:
	s_andn2_b64 vcc, exec, s[0:1]
	s_cbranch_vccnz .LBB15_1399
; %bb.1398:
	global_load_ubyte v3, v[12:13], off
	s_waitcnt vmcnt(0)
	v_cvt_f32_ubyte0_e32 v3, v3
.LBB15_1399:
.LBB15_1400:
	v_mov_b32_e32 v5, s11
	v_add_co_u32_e32 v10, vcc, s10, v10
	v_addc_co_u32_e32 v11, vcc, 0, v5, vcc
	v_mov_b32_e32 v5, 11
	v_cmp_lt_i16_sdwa s[0:1], s16, v5 src0_sel:BYTE_0 src1_sel:DWORD
	s_and_b64 vcc, exec, s[0:1]
	s_cbranch_vccnz .LBB15_1407
; %bb.1401:
	v_mov_b32_e32 v5, 25
	v_cmp_gt_i16_sdwa s[0:1], s16, v5 src0_sel:BYTE_0 src1_sel:DWORD
	s_mov_b64 s[2:3], 0
	s_and_b64 vcc, exec, s[0:1]
	s_cbranch_vccz .LBB15_1409
; %bb.1402:
	v_mov_b32_e32 v5, 28
	v_cmp_gt_i16_sdwa s[0:1], s16, v5 src0_sel:BYTE_0 src1_sel:DWORD
	s_and_b64 vcc, exec, s[0:1]
	s_cbranch_vccz .LBB15_1410
; %bb.1403:
	v_mov_b32_e32 v5, 43
	v_cmp_gt_i16_sdwa s[0:1], s16, v5 src0_sel:BYTE_0 src1_sel:DWORD
	s_and_b64 vcc, exec, s[0:1]
	s_cbranch_vccz .LBB15_1411
; %bb.1404:
	v_mov_b32_e32 v5, 45
	v_cmp_gt_i16_sdwa s[0:1], s16, v5 src0_sel:BYTE_0 src1_sel:DWORD
	s_and_b64 vcc, exec, s[0:1]
	s_cbranch_vccz .LBB15_1413
; %bb.1405:
	v_mov_b32_e32 v5, 46
	v_cmp_eq_u16_sdwa s[0:1], s16, v5 src0_sel:BYTE_0 src1_sel:DWORD
	s_mov_b64 s[12:13], 0
	s_and_b64 vcc, exec, s[0:1]
	s_cbranch_vccz .LBB15_1414
; %bb.1406:
	global_load_dword v5, v[10:11], off
	s_mov_b64 s[0:1], 0
	s_mov_b64 s[6:7], -1
	s_waitcnt vmcnt(0)
	v_lshlrev_b32_e32 v12, 16, v5
	s_branch .LBB15_1415
.LBB15_1407:
	s_mov_b64 s[6:7], 0
                                        ; implicit-def: $vgpr12
	s_cbranch_execnz .LBB15_1481
.LBB15_1408:
	s_andn2_b64 vcc, exec, s[6:7]
	s_cbranch_vccnz .LBB15_2044
	s_branch .LBB15_1529
.LBB15_1409:
	s_mov_b64 s[12:13], -1
	s_mov_b64 s[6:7], 0
	s_mov_b64 s[0:1], 0
                                        ; implicit-def: $vgpr12
	s_branch .LBB15_1444
.LBB15_1410:
	s_mov_b64 s[12:13], -1
	s_mov_b64 s[6:7], 0
	s_mov_b64 s[0:1], 0
                                        ; implicit-def: $vgpr12
	s_branch .LBB15_1425
.LBB15_1411:
	s_mov_b64 s[12:13], -1
	s_mov_b64 s[6:7], 0
	s_mov_b64 s[0:1], 0
                                        ; implicit-def: $vgpr12
	s_branch .LBB15_1420
.LBB15_1412:
	s_trap 2
	s_or_b64 s[4:5], s[4:5], exec
                                        ; implicit-def: $vgpr3
	s_cbranch_execz .LBB15_1351
	s_branch .LBB15_1352
.LBB15_1413:
	s_mov_b64 s[12:13], -1
	s_mov_b64 s[6:7], 0
	s_mov_b64 s[0:1], 0
                                        ; implicit-def: $vgpr12
	s_branch .LBB15_1415
.LBB15_1414:
	s_mov_b64 s[0:1], -1
                                        ; implicit-def: $vgpr12
	s_mov_b64 s[6:7], 0
.LBB15_1415:
	s_and_b64 vcc, exec, s[12:13]
	s_cbranch_vccz .LBB15_1419
; %bb.1416:
	v_mov_b32_e32 v5, 44
	v_cmp_eq_u16_sdwa s[0:1], s16, v5 src0_sel:BYTE_0 src1_sel:DWORD
	s_and_b64 vcc, exec, s[0:1]
	s_cbranch_vccz .LBB15_1418
; %bb.1417:
	global_load_ubyte v5, v[10:11], off
	s_movk_i32 s6, 0xff
	v_mov_b32_e32 v7, 0x7f800001
	v_mov_b32_e32 v9, 0x400000
	s_mov_b64 s[0:1], 0
	s_waitcnt vmcnt(0)
	v_lshlrev_b32_e32 v12, 23, v5
	v_cmp_ne_u32_e32 vcc, s6, v5
	v_cndmask_b32_e32 v7, v7, v12, vcc
	v_cmp_ne_u32_e32 vcc, 0, v5
	v_cndmask_b32_e32 v12, v9, v7, vcc
	s_mov_b64 s[6:7], -1
	s_branch .LBB15_1419
.LBB15_1418:
	s_mov_b64 s[0:1], -1
                                        ; implicit-def: $vgpr12
.LBB15_1419:
	s_mov_b64 s[12:13], 0
.LBB15_1420:
	s_and_b64 vcc, exec, s[12:13]
	s_cbranch_vccz .LBB15_1424
; %bb.1421:
	v_mov_b32_e32 v5, 29
	v_cmp_eq_u16_sdwa s[0:1], s16, v5 src0_sel:BYTE_0 src1_sel:DWORD
	s_and_b64 vcc, exec, s[0:1]
	s_cbranch_vccz .LBB15_1423
; %bb.1422:
	global_load_dwordx2 v[12:13], v[10:11], off
	s_mov_b64 s[0:1], 0
	s_mov_b64 s[6:7], -1
	s_mov_b64 s[12:13], 0
	s_waitcnt vmcnt(0)
	v_ffbh_u32_e32 v5, v13
	v_min_u32_e32 v5, 32, v5
	v_lshlrev_b64 v[12:13], v5, v[12:13]
	v_min_u32_e32 v7, 1, v12
	v_or_b32_e32 v7, v13, v7
	v_cvt_f32_u32_e32 v7, v7
	v_sub_u32_e32 v5, 32, v5
	v_ldexp_f32 v12, v7, v5
	s_branch .LBB15_1425
.LBB15_1423:
	s_mov_b64 s[0:1], -1
                                        ; implicit-def: $vgpr12
.LBB15_1424:
	s_mov_b64 s[12:13], 0
.LBB15_1425:
	s_and_b64 vcc, exec, s[12:13]
	s_cbranch_vccz .LBB15_1443
; %bb.1426:
	v_mov_b32_e32 v5, 27
	v_cmp_lt_i16_sdwa s[6:7], s16, v5 src0_sel:BYTE_0 src1_sel:DWORD
	s_and_b64 vcc, exec, s[6:7]
	s_cbranch_vccnz .LBB15_1429
; %bb.1427:
	v_cmp_gt_i16_sdwa s[6:7], s16, v5 src0_sel:BYTE_0 src1_sel:DWORD
	s_and_b64 vcc, exec, s[6:7]
	s_cbranch_vccz .LBB15_1430
; %bb.1428:
	global_load_dword v5, v[10:11], off
	s_mov_b64 s[6:7], 0
	s_waitcnt vmcnt(0)
	v_cvt_f32_u32_e32 v12, v5
	s_branch .LBB15_1431
.LBB15_1429:
	s_mov_b64 s[6:7], -1
                                        ; implicit-def: $vgpr12
	s_branch .LBB15_1434
.LBB15_1430:
	s_mov_b64 s[6:7], -1
                                        ; implicit-def: $vgpr12
.LBB15_1431:
	s_andn2_b64 vcc, exec, s[6:7]
	s_cbranch_vccnz .LBB15_1433
; %bb.1432:
	global_load_ushort v5, v[10:11], off
	s_waitcnt vmcnt(0)
	v_cvt_f32_u32_e32 v12, v5
.LBB15_1433:
	s_mov_b64 s[6:7], 0
.LBB15_1434:
	s_andn2_b64 vcc, exec, s[6:7]
	s_cbranch_vccnz .LBB15_1442
; %bb.1435:
	global_load_ubyte v5, v[10:11], off
	s_movk_i32 s6, 0x7f
                                        ; implicit-def: $sgpr17
	s_waitcnt vmcnt(0)
	v_cmp_lt_i16_e32 vcc, s6, v5
	s_mov_b64 s[6:7], 0
	s_and_saveexec_b64 s[12:13], vcc
	s_xor_b64 s[12:13], exec, s[12:13]
	s_cbranch_execz .LBB15_1456
; %bb.1436:
	s_movk_i32 s6, 0x80
	v_cmp_eq_u16_e32 vcc, s6, v5
	s_mov_b64 s[6:7], -1
                                        ; implicit-def: $sgpr17
	s_and_saveexec_b64 s[14:15], vcc
; %bb.1437:
	s_mov_b32 s17, 0x7f800001
	s_xor_b64 s[6:7], exec, -1
; %bb.1438:
	s_or_b64 exec, exec, s[14:15]
	s_and_b64 s[6:7], s[6:7], exec
	s_or_saveexec_b64 s[12:13], s[12:13]
	v_mov_b32_e32 v12, s17
	s_xor_b64 exec, exec, s[12:13]
	s_cbranch_execnz .LBB15_1457
.LBB15_1439:
	s_or_b64 exec, exec, s[12:13]
	s_and_saveexec_b64 s[12:13], s[6:7]
	s_cbranch_execz .LBB15_1441
.LBB15_1440:
	v_lshlrev_b32_e32 v7, 24, v5
	v_and_b32_e32 v5, 0xffff, v5
	v_and_b32_e32 v9, 7, v5
	v_ffbh_u32_e32 v13, v9
	v_min_u32_e32 v13, 32, v13
	v_subrev_u32_e32 v14, 28, v13
	v_bfe_u32 v12, v5, 3, 4
	v_lshlrev_b32_e32 v5, v14, v5
	v_sub_u32_e32 v13, 29, v13
	v_and_b32_e32 v5, 7, v5
	v_cmp_eq_u32_e32 vcc, 0, v12
	v_cndmask_b32_e32 v12, v12, v13, vcc
	v_cndmask_b32_e32 v5, v9, v5, vcc
	v_mov_b32_e32 v9, 0x3b800000
	v_lshlrev_b32_e32 v5, 20, v5
	v_and_b32_e32 v7, 0x80000000, v7
	v_lshl_add_u32 v9, v12, 23, v9
	v_or3_b32 v12, v7, v9, v5
.LBB15_1441:
	s_or_b64 exec, exec, s[12:13]
.LBB15_1442:
	s_mov_b64 s[6:7], -1
.LBB15_1443:
	s_mov_b64 s[12:13], 0
.LBB15_1444:
	s_and_b64 vcc, exec, s[12:13]
	s_cbranch_vccz .LBB15_1477
; %bb.1445:
	v_mov_b32_e32 v5, 22
	v_cmp_gt_i16_sdwa s[2:3], s16, v5 src0_sel:BYTE_0 src1_sel:DWORD
	s_and_b64 vcc, exec, s[2:3]
	s_cbranch_vccz .LBB15_1455
; %bb.1446:
	v_mov_b32_e32 v5, 24
	v_cmp_lt_i16_sdwa s[2:3], s16, v5 src0_sel:BYTE_0 src1_sel:DWORD
	s_and_b64 vcc, exec, s[2:3]
	s_cbranch_vccnz .LBB15_1458
; %bb.1447:
	v_cmp_gt_i16_sdwa s[2:3], s16, v5 src0_sel:BYTE_0 src1_sel:DWORD
	s_and_b64 vcc, exec, s[2:3]
	s_cbranch_vccz .LBB15_1459
; %bb.1448:
	global_load_ubyte v5, v[10:11], off
	s_movk_i32 s2, 0x7f
                                        ; implicit-def: $sgpr14
	s_waitcnt vmcnt(0)
	v_cmp_lt_i16_e32 vcc, s2, v5
	s_mov_b64 s[2:3], 0
	s_and_saveexec_b64 s[6:7], vcc
	s_xor_b64 s[6:7], exec, s[6:7]
	s_cbranch_execz .LBB15_1471
; %bb.1449:
	s_movk_i32 s2, 0x80
	v_cmp_eq_u16_e32 vcc, s2, v5
	s_mov_b64 s[2:3], -1
                                        ; implicit-def: $sgpr14
	s_and_saveexec_b64 s[12:13], vcc
; %bb.1450:
	s_mov_b32 s14, 0x7f800001
	s_xor_b64 s[2:3], exec, -1
; %bb.1451:
	s_or_b64 exec, exec, s[12:13]
	s_and_b64 s[2:3], s[2:3], exec
	s_or_saveexec_b64 s[6:7], s[6:7]
	v_mov_b32_e32 v12, s14
	s_xor_b64 exec, exec, s[6:7]
	s_cbranch_execnz .LBB15_1472
.LBB15_1452:
	s_or_b64 exec, exec, s[6:7]
	s_and_saveexec_b64 s[6:7], s[2:3]
	s_cbranch_execz .LBB15_1454
.LBB15_1453:
	v_lshlrev_b32_e32 v7, 24, v5
	v_and_b32_e32 v5, 0xffff, v5
	v_and_b32_e32 v9, 3, v5
	v_ffbh_u32_e32 v13, v9
	v_min_u32_e32 v13, 32, v13
	v_subrev_u32_e32 v14, 29, v13
	v_bfe_u32 v12, v5, 2, 5
	v_lshlrev_b32_e32 v5, v14, v5
	v_sub_u32_e32 v13, 30, v13
	v_and_b32_e32 v5, 3, v5
	v_cmp_eq_u32_e32 vcc, 0, v12
	v_cndmask_b32_e32 v12, v12, v13, vcc
	v_cndmask_b32_e32 v5, v9, v5, vcc
	v_mov_b32_e32 v9, 0x37800000
	v_lshlrev_b32_e32 v5, 21, v5
	v_and_b32_e32 v7, 0x80000000, v7
	v_lshl_add_u32 v9, v12, 23, v9
	v_or3_b32 v12, v7, v9, v5
.LBB15_1454:
	s_or_b64 exec, exec, s[6:7]
	s_mov_b64 s[2:3], 0
	s_branch .LBB15_1460
.LBB15_1455:
	s_mov_b64 s[2:3], -1
                                        ; implicit-def: $vgpr12
	s_branch .LBB15_1466
.LBB15_1456:
	s_or_saveexec_b64 s[12:13], s[12:13]
	v_mov_b32_e32 v12, s17
	s_xor_b64 exec, exec, s[12:13]
	s_cbranch_execz .LBB15_1439
.LBB15_1457:
	v_cmp_ne_u16_e32 vcc, 0, v5
	s_andn2_b64 s[6:7], s[6:7], exec
	s_and_b64 s[14:15], vcc, exec
	v_mov_b32_e32 v12, 0
	s_or_b64 s[6:7], s[6:7], s[14:15]
	s_or_b64 exec, exec, s[12:13]
	s_and_saveexec_b64 s[12:13], s[6:7]
	s_cbranch_execnz .LBB15_1440
	s_branch .LBB15_1441
.LBB15_1458:
	s_mov_b64 s[2:3], -1
                                        ; implicit-def: $vgpr12
	s_branch .LBB15_1463
.LBB15_1459:
	s_mov_b64 s[2:3], -1
                                        ; implicit-def: $vgpr12
.LBB15_1460:
	s_and_b64 vcc, exec, s[2:3]
	s_cbranch_vccz .LBB15_1462
; %bb.1461:
	global_load_ubyte v5, v[10:11], off
	s_mov_b32 s2, 0x7f800000
	s_waitcnt vmcnt(0)
	v_lshlrev_b32_e32 v5, 24, v5
	v_and_b32_e32 v7, 0x7f000000, v5
	v_ffbh_u32_e32 v9, v7
	v_min_u32_e32 v9, 32, v9
	v_sub_u32_e64 v9, v9, 4 clamp
	v_lshlrev_b32_e32 v13, v9, v7
	v_lshlrev_b32_e32 v9, 23, v9
	v_lshrrev_b32_e32 v13, 4, v13
	v_add_u32_e32 v12, 0x1000000, v7
	v_sub_u32_e32 v9, v13, v9
	v_ashrrev_i32_e32 v12, 8, v12
	v_add_u32_e32 v9, 0x3c000000, v9
	v_and_or_b32 v9, v12, s2, v9
	v_cmp_ne_u32_e32 vcc, 0, v7
	v_cndmask_b32_e32 v7, 0, v9, vcc
	s_brev_b32 s2, 1
	v_and_or_b32 v12, v5, s2, v7
.LBB15_1462:
	s_mov_b64 s[2:3], 0
.LBB15_1463:
	s_andn2_b64 vcc, exec, s[2:3]
	s_cbranch_vccnz .LBB15_1465
; %bb.1464:
	global_load_ubyte v5, v[10:11], off
	s_movk_i32 s2, 0x7f00
	s_brev_b32 s3, 16
	s_waitcnt vmcnt(0)
	v_lshlrev_b16_e32 v7, 8, v5
	v_lshlrev_b32_e32 v5, 25, v5
	v_lshrrev_b32_e32 v9, 4, v5
	v_and_or_b32 v12, v7, s2, 0.5
	v_or_b32_e32 v9, 0x70000000, v9
	v_add_f32_e32 v12, -0.5, v12
	v_mul_f32_e32 v9, 0x7800000, v9
	v_cmp_gt_u32_e32 vcc, s3, v5
	v_bfe_i32 v7, v7, 0, 16
	v_cndmask_b32_e32 v5, v9, v12, vcc
	s_brev_b32 s2, 1
	v_and_or_b32 v12, v7, s2, v5
.LBB15_1465:
	s_mov_b64 s[2:3], 0
	s_mov_b64 s[6:7], -1
.LBB15_1466:
	s_andn2_b64 vcc, exec, s[2:3]
	s_mov_b64 s[2:3], 0
	s_cbranch_vccnz .LBB15_1477
; %bb.1467:
	v_mov_b32_e32 v5, 14
	v_cmp_gt_i16_sdwa s[2:3], s16, v5 src0_sel:BYTE_0 src1_sel:DWORD
	s_and_b64 vcc, exec, s[2:3]
	s_cbranch_vccz .LBB15_1470
; %bb.1468:
	v_mov_b32_e32 v5, 15
	v_cmp_eq_u16_sdwa s[0:1], s16, v5 src0_sel:BYTE_0 src1_sel:DWORD
	s_and_b64 vcc, exec, s[0:1]
	s_cbranch_vccz .LBB15_1473
; %bb.1469:
	global_load_ushort v5, v[10:11], off
	s_mov_b64 s[0:1], 0
	s_mov_b64 s[6:7], -1
	s_waitcnt vmcnt(0)
	v_lshlrev_b32_e32 v12, 16, v5
	s_branch .LBB15_1474
.LBB15_1470:
	s_mov_b64 s[12:13], -1
                                        ; implicit-def: $vgpr12
	s_branch .LBB15_1475
.LBB15_1471:
	s_or_saveexec_b64 s[6:7], s[6:7]
	v_mov_b32_e32 v12, s14
	s_xor_b64 exec, exec, s[6:7]
	s_cbranch_execz .LBB15_1452
.LBB15_1472:
	v_cmp_ne_u16_e32 vcc, 0, v5
	s_andn2_b64 s[2:3], s[2:3], exec
	s_and_b64 s[12:13], vcc, exec
	v_mov_b32_e32 v12, 0
	s_or_b64 s[2:3], s[2:3], s[12:13]
	s_or_b64 exec, exec, s[6:7]
	s_and_saveexec_b64 s[6:7], s[2:3]
	s_cbranch_execnz .LBB15_1453
	s_branch .LBB15_1454
.LBB15_1473:
	s_mov_b64 s[0:1], -1
                                        ; implicit-def: $vgpr12
.LBB15_1474:
	s_mov_b64 s[12:13], 0
.LBB15_1475:
	s_mov_b64 s[2:3], 0
	s_and_b64 vcc, exec, s[12:13]
	s_cbranch_vccz .LBB15_1477
; %bb.1476:
	v_mov_b32_e32 v5, 11
	v_cmp_ne_u16_sdwa s[0:1], s16, v5 src0_sel:BYTE_0 src1_sel:DWORD
	s_mov_b64 s[2:3], -1
                                        ; implicit-def: $vgpr12
.LBB15_1477:
	s_and_b64 vcc, exec, s[0:1]
	s_cbranch_vccnz .LBB15_1540
; %bb.1478:
	s_andn2_b64 vcc, exec, s[2:3]
	s_cbranch_vccnz .LBB15_1480
.LBB15_1479:
	global_load_ubyte v5, v[10:11], off
	s_mov_b64 s[6:7], -1
	s_waitcnt vmcnt(0)
	v_cmp_ne_u16_e32 vcc, 0, v5
	v_cndmask_b32_e64 v12, 0, 1.0, vcc
.LBB15_1480:
	s_branch .LBB15_1408
.LBB15_1481:
	v_mov_b32_e32 v5, 5
	v_cmp_lt_i16_sdwa s[0:1], s16, v5 src0_sel:BYTE_0 src1_sel:DWORD
	s_and_b64 vcc, exec, s[0:1]
	s_cbranch_vccnz .LBB15_1486
; %bb.1482:
	v_mov_b32_e32 v5, 8
	v_cmp_lt_i16_sdwa s[0:1], s16, v5 src0_sel:BYTE_0 src1_sel:DWORD
	s_and_b64 vcc, exec, s[0:1]
	s_cbranch_vccnz .LBB15_1487
; %bb.1483:
	;; [unrolled: 5-line block ×3, first 2 shown]
	v_cmp_gt_i16_sdwa s[0:1], s16, v5 src0_sel:BYTE_0 src1_sel:DWORD
	s_and_b64 vcc, exec, s[0:1]
	s_cbranch_vccz .LBB15_1489
; %bb.1485:
	global_load_dwordx2 v[12:13], v[10:11], off
	s_mov_b64 s[0:1], 0
	s_waitcnt vmcnt(0)
	v_cvt_f32_f64_e32 v12, v[12:13]
	s_branch .LBB15_1490
.LBB15_1486:
	s_mov_b64 s[0:1], -1
                                        ; implicit-def: $vgpr12
	s_branch .LBB15_1508
.LBB15_1487:
	s_mov_b64 s[0:1], -1
                                        ; implicit-def: $vgpr12
	s_branch .LBB15_1496
.LBB15_1488:
	s_mov_b64 s[0:1], -1
                                        ; implicit-def: $vgpr12
	s_branch .LBB15_1493
.LBB15_1489:
	s_mov_b64 s[0:1], -1
                                        ; implicit-def: $vgpr12
.LBB15_1490:
	s_andn2_b64 vcc, exec, s[0:1]
	s_cbranch_vccnz .LBB15_1492
; %bb.1491:
	global_load_dword v12, v[10:11], off
.LBB15_1492:
	s_mov_b64 s[0:1], 0
.LBB15_1493:
	s_andn2_b64 vcc, exec, s[0:1]
	s_cbranch_vccnz .LBB15_1495
; %bb.1494:
	global_load_dword v5, v[10:11], off
	s_waitcnt vmcnt(0)
	v_cvt_f32_f16_e32 v12, v5
.LBB15_1495:
	s_mov_b64 s[0:1], 0
.LBB15_1496:
	s_andn2_b64 vcc, exec, s[0:1]
	s_cbranch_vccnz .LBB15_1507
; %bb.1497:
	v_mov_b32_e32 v5, 6
	v_cmp_lt_i16_sdwa s[0:1], s16, v5 src0_sel:BYTE_0 src1_sel:DWORD
	s_and_b64 vcc, exec, s[0:1]
	s_cbranch_vccnz .LBB15_1500
; %bb.1498:
	v_cmp_gt_i16_sdwa s[0:1], s16, v5 src0_sel:BYTE_0 src1_sel:DWORD
	s_and_b64 vcc, exec, s[0:1]
	s_cbranch_vccz .LBB15_1501
; %bb.1499:
	global_load_dwordx2 v[12:13], v[10:11], off
	s_mov_b64 s[0:1], 0
	s_waitcnt vmcnt(0)
	v_cvt_f32_f64_e32 v12, v[12:13]
	s_branch .LBB15_1502
.LBB15_1500:
	s_mov_b64 s[0:1], -1
                                        ; implicit-def: $vgpr12
	s_branch .LBB15_1505
.LBB15_1501:
	s_mov_b64 s[0:1], -1
                                        ; implicit-def: $vgpr12
.LBB15_1502:
	s_andn2_b64 vcc, exec, s[0:1]
	s_cbranch_vccnz .LBB15_1504
; %bb.1503:
	global_load_dword v12, v[10:11], off
.LBB15_1504:
	s_mov_b64 s[0:1], 0
.LBB15_1505:
	s_andn2_b64 vcc, exec, s[0:1]
	s_cbranch_vccnz .LBB15_1507
; %bb.1506:
	global_load_ushort v5, v[10:11], off
	s_waitcnt vmcnt(0)
	v_cvt_f32_f16_e32 v12, v5
.LBB15_1507:
	s_mov_b64 s[0:1], 0
.LBB15_1508:
	s_andn2_b64 vcc, exec, s[0:1]
	s_cbranch_vccnz .LBB15_1528
; %bb.1509:
	v_mov_b32_e32 v5, 2
	v_cmp_lt_i16_sdwa s[0:1], s16, v5 src0_sel:BYTE_0 src1_sel:DWORD
	s_and_b64 vcc, exec, s[0:1]
	s_cbranch_vccnz .LBB15_1513
; %bb.1510:
	v_mov_b32_e32 v5, 3
	v_cmp_lt_i16_sdwa s[0:1], s16, v5 src0_sel:BYTE_0 src1_sel:DWORD
	s_and_b64 vcc, exec, s[0:1]
	s_cbranch_vccnz .LBB15_1514
; %bb.1511:
	v_cmp_gt_i16_sdwa s[0:1], s16, v5 src0_sel:BYTE_0 src1_sel:DWORD
	s_and_b64 vcc, exec, s[0:1]
	s_cbranch_vccz .LBB15_1515
; %bb.1512:
	global_load_dwordx2 v[12:13], v[10:11], off
	s_mov_b64 s[0:1], 0
	s_waitcnt vmcnt(0)
	v_xor_b32_e32 v7, v12, v13
	v_ffbh_i32_e32 v5, v13
	v_ashrrev_i32_e32 v7, 31, v7
	v_add_u32_e32 v5, -1, v5
	v_add_u32_e32 v7, 32, v7
	v_min_u32_e32 v5, v5, v7
	v_lshlrev_b64 v[12:13], v5, v[12:13]
	v_min_u32_e32 v7, 1, v12
	v_or_b32_e32 v7, v13, v7
	v_cvt_f32_i32_e32 v7, v7
	v_sub_u32_e32 v5, 32, v5
	v_ldexp_f32 v12, v7, v5
	s_branch .LBB15_1516
.LBB15_1513:
	s_mov_b64 s[0:1], -1
                                        ; implicit-def: $vgpr12
	s_branch .LBB15_1522
.LBB15_1514:
	s_mov_b64 s[0:1], -1
                                        ; implicit-def: $vgpr12
	s_branch .LBB15_1519
.LBB15_1515:
	s_mov_b64 s[0:1], -1
                                        ; implicit-def: $vgpr12
.LBB15_1516:
	s_andn2_b64 vcc, exec, s[0:1]
	s_cbranch_vccnz .LBB15_1518
; %bb.1517:
	global_load_dword v5, v[10:11], off
	s_waitcnt vmcnt(0)
	v_cvt_f32_i32_e32 v12, v5
.LBB15_1518:
	s_mov_b64 s[0:1], 0
.LBB15_1519:
	s_andn2_b64 vcc, exec, s[0:1]
	s_cbranch_vccnz .LBB15_1521
; %bb.1520:
	global_load_sshort v5, v[10:11], off
	s_waitcnt vmcnt(0)
	v_cvt_f32_i32_e32 v12, v5
.LBB15_1521:
	s_mov_b64 s[0:1], 0
.LBB15_1522:
	s_andn2_b64 vcc, exec, s[0:1]
	s_cbranch_vccnz .LBB15_1528
; %bb.1523:
	v_mov_b32_e32 v5, 0
	v_cmp_gt_i16_sdwa s[0:1], s16, v5 src0_sel:BYTE_0 src1_sel:DWORD
	s_and_b64 vcc, exec, s[0:1]
	s_cbranch_vccz .LBB15_1525
; %bb.1524:
	global_load_sbyte v5, v[10:11], off
	s_mov_b64 s[0:1], 0
	s_waitcnt vmcnt(0)
	v_cvt_f32_i32_e32 v12, v5
	s_branch .LBB15_1526
.LBB15_1525:
	s_mov_b64 s[0:1], -1
                                        ; implicit-def: $vgpr12
.LBB15_1526:
	s_andn2_b64 vcc, exec, s[0:1]
	s_cbranch_vccnz .LBB15_1528
; %bb.1527:
	global_load_ubyte v5, v[10:11], off
	s_waitcnt vmcnt(0)
	v_cvt_f32_ubyte0_e32 v12, v5
.LBB15_1528:
.LBB15_1529:
	v_mov_b32_e32 v5, s11
	v_add_co_u32_e32 v8, vcc, s10, v8
	v_addc_co_u32_e32 v9, vcc, 0, v5, vcc
	v_mov_b32_e32 v5, 11
	v_cmp_lt_i16_sdwa s[0:1], s16, v5 src0_sel:BYTE_0 src1_sel:DWORD
	s_and_b64 vcc, exec, s[0:1]
	s_cbranch_vccnz .LBB15_1536
; %bb.1530:
	v_mov_b32_e32 v5, 25
	v_cmp_gt_i16_sdwa s[0:1], s16, v5 src0_sel:BYTE_0 src1_sel:DWORD
	s_mov_b64 s[2:3], 0
	s_and_b64 vcc, exec, s[0:1]
	s_cbranch_vccz .LBB15_1537
; %bb.1531:
	v_mov_b32_e32 v5, 28
	v_cmp_gt_i16_sdwa s[0:1], s16, v5 src0_sel:BYTE_0 src1_sel:DWORD
	s_and_b64 vcc, exec, s[0:1]
	s_cbranch_vccz .LBB15_1538
; %bb.1532:
	v_mov_b32_e32 v5, 43
	v_cmp_gt_i16_sdwa s[0:1], s16, v5 src0_sel:BYTE_0 src1_sel:DWORD
	;; [unrolled: 5-line block ×3, first 2 shown]
	s_and_b64 vcc, exec, s[0:1]
	s_cbranch_vccz .LBB15_1541
; %bb.1534:
	v_mov_b32_e32 v5, 46
	v_cmp_eq_u16_sdwa s[0:1], s16, v5 src0_sel:BYTE_0 src1_sel:DWORD
	s_mov_b64 s[10:11], 0
	s_and_b64 vcc, exec, s[0:1]
	s_cbranch_vccz .LBB15_1542
; %bb.1535:
	global_load_dword v5, v[8:9], off
	s_mov_b64 s[0:1], 0
	s_mov_b64 s[6:7], -1
	s_waitcnt vmcnt(0)
	v_lshlrev_b32_e32 v10, 16, v5
	s_branch .LBB15_1543
.LBB15_1536:
	s_mov_b64 s[0:1], -1
	s_mov_b64 s[6:7], 0
                                        ; implicit-def: $vgpr10
	s_branch .LBB15_1609
.LBB15_1537:
	s_mov_b64 s[10:11], -1
	s_mov_b64 s[6:7], 0
	s_mov_b64 s[0:1], 0
                                        ; implicit-def: $vgpr10
	s_branch .LBB15_1572
.LBB15_1538:
	s_mov_b64 s[10:11], -1
	s_mov_b64 s[6:7], 0
	s_mov_b64 s[0:1], 0
                                        ; implicit-def: $vgpr10
	s_branch .LBB15_1553
.LBB15_1539:
	s_mov_b64 s[10:11], -1
	s_mov_b64 s[6:7], 0
	s_mov_b64 s[0:1], 0
                                        ; implicit-def: $vgpr10
	s_branch .LBB15_1548
.LBB15_1540:
	s_trap 2
	s_or_b64 s[4:5], s[4:5], exec
                                        ; implicit-def: $vgpr12
	s_cbranch_execz .LBB15_1479
	s_branch .LBB15_1480
.LBB15_1541:
	s_mov_b64 s[10:11], -1
	s_mov_b64 s[6:7], 0
	s_mov_b64 s[0:1], 0
                                        ; implicit-def: $vgpr10
	s_branch .LBB15_1543
.LBB15_1542:
	s_mov_b64 s[0:1], -1
                                        ; implicit-def: $vgpr10
	s_mov_b64 s[6:7], 0
.LBB15_1543:
	s_and_b64 vcc, exec, s[10:11]
	s_cbranch_vccz .LBB15_1547
; %bb.1544:
	v_mov_b32_e32 v5, 44
	v_cmp_eq_u16_sdwa s[0:1], s16, v5 src0_sel:BYTE_0 src1_sel:DWORD
	s_and_b64 vcc, exec, s[0:1]
	s_cbranch_vccz .LBB15_1546
; %bb.1545:
	global_load_ubyte v5, v[8:9], off
	s_movk_i32 s6, 0xff
	v_mov_b32_e32 v7, 0x7f800001
	v_mov_b32_e32 v10, 0x400000
	s_mov_b64 s[0:1], 0
	s_waitcnt vmcnt(0)
	v_lshlrev_b32_e32 v11, 23, v5
	v_cmp_ne_u32_e32 vcc, s6, v5
	v_cndmask_b32_e32 v7, v7, v11, vcc
	v_cmp_ne_u32_e32 vcc, 0, v5
	v_cndmask_b32_e32 v10, v10, v7, vcc
	s_mov_b64 s[6:7], -1
	s_branch .LBB15_1547
.LBB15_1546:
	s_mov_b64 s[0:1], -1
                                        ; implicit-def: $vgpr10
.LBB15_1547:
	s_mov_b64 s[10:11], 0
.LBB15_1548:
	s_and_b64 vcc, exec, s[10:11]
	s_cbranch_vccz .LBB15_1552
; %bb.1549:
	v_mov_b32_e32 v5, 29
	v_cmp_eq_u16_sdwa s[0:1], s16, v5 src0_sel:BYTE_0 src1_sel:DWORD
	s_and_b64 vcc, exec, s[0:1]
	s_cbranch_vccz .LBB15_1551
; %bb.1550:
	global_load_dwordx2 v[10:11], v[8:9], off
	s_mov_b64 s[0:1], 0
	s_mov_b64 s[6:7], -1
	s_mov_b64 s[10:11], 0
	s_waitcnt vmcnt(0)
	v_ffbh_u32_e32 v5, v11
	v_min_u32_e32 v5, 32, v5
	v_lshlrev_b64 v[10:11], v5, v[10:11]
	v_min_u32_e32 v7, 1, v10
	v_or_b32_e32 v7, v11, v7
	v_cvt_f32_u32_e32 v7, v7
	v_sub_u32_e32 v5, 32, v5
	v_ldexp_f32 v10, v7, v5
	s_branch .LBB15_1553
.LBB15_1551:
	s_mov_b64 s[0:1], -1
                                        ; implicit-def: $vgpr10
.LBB15_1552:
	s_mov_b64 s[10:11], 0
.LBB15_1553:
	s_and_b64 vcc, exec, s[10:11]
	s_cbranch_vccz .LBB15_1571
; %bb.1554:
	v_mov_b32_e32 v5, 27
	v_cmp_lt_i16_sdwa s[6:7], s16, v5 src0_sel:BYTE_0 src1_sel:DWORD
	s_and_b64 vcc, exec, s[6:7]
	s_cbranch_vccnz .LBB15_1557
; %bb.1555:
	v_cmp_gt_i16_sdwa s[6:7], s16, v5 src0_sel:BYTE_0 src1_sel:DWORD
	s_and_b64 vcc, exec, s[6:7]
	s_cbranch_vccz .LBB15_1558
; %bb.1556:
	global_load_dword v5, v[8:9], off
	s_mov_b64 s[6:7], 0
	s_waitcnt vmcnt(0)
	v_cvt_f32_u32_e32 v10, v5
	s_branch .LBB15_1559
.LBB15_1557:
	s_mov_b64 s[6:7], -1
                                        ; implicit-def: $vgpr10
	s_branch .LBB15_1562
.LBB15_1558:
	s_mov_b64 s[6:7], -1
                                        ; implicit-def: $vgpr10
.LBB15_1559:
	s_andn2_b64 vcc, exec, s[6:7]
	s_cbranch_vccnz .LBB15_1561
; %bb.1560:
	global_load_ushort v5, v[8:9], off
	s_waitcnt vmcnt(0)
	v_cvt_f32_u32_e32 v10, v5
.LBB15_1561:
	s_mov_b64 s[6:7], 0
.LBB15_1562:
	s_andn2_b64 vcc, exec, s[6:7]
	s_cbranch_vccnz .LBB15_1570
; %bb.1563:
	global_load_ubyte v5, v[8:9], off
	s_movk_i32 s6, 0x7f
                                        ; implicit-def: $sgpr14
	s_waitcnt vmcnt(0)
	v_cmp_lt_i16_e32 vcc, s6, v5
	s_mov_b64 s[6:7], 0
	s_and_saveexec_b64 s[10:11], vcc
	s_xor_b64 s[10:11], exec, s[10:11]
	s_cbranch_execz .LBB15_1584
; %bb.1564:
	s_movk_i32 s6, 0x80
	v_cmp_eq_u16_e32 vcc, s6, v5
	s_mov_b64 s[6:7], -1
                                        ; implicit-def: $sgpr14
	s_and_saveexec_b64 s[12:13], vcc
; %bb.1565:
	s_mov_b32 s14, 0x7f800001
	s_xor_b64 s[6:7], exec, -1
; %bb.1566:
	s_or_b64 exec, exec, s[12:13]
	s_and_b64 s[6:7], s[6:7], exec
	s_or_saveexec_b64 s[10:11], s[10:11]
	v_mov_b32_e32 v10, s14
	s_xor_b64 exec, exec, s[10:11]
	s_cbranch_execnz .LBB15_1585
.LBB15_1567:
	s_or_b64 exec, exec, s[10:11]
	s_and_saveexec_b64 s[10:11], s[6:7]
	s_cbranch_execz .LBB15_1569
.LBB15_1568:
	v_lshlrev_b32_e32 v7, 24, v5
	v_and_b32_e32 v5, 0xffff, v5
	v_and_b32_e32 v10, 7, v5
	v_ffbh_u32_e32 v13, v10
	v_min_u32_e32 v13, 32, v13
	v_subrev_u32_e32 v14, 28, v13
	v_bfe_u32 v11, v5, 3, 4
	v_lshlrev_b32_e32 v5, v14, v5
	v_sub_u32_e32 v13, 29, v13
	v_and_b32_e32 v5, 7, v5
	v_cmp_eq_u32_e32 vcc, 0, v11
	v_cndmask_b32_e32 v11, v11, v13, vcc
	v_cndmask_b32_e32 v5, v10, v5, vcc
	v_mov_b32_e32 v10, 0x3b800000
	v_lshlrev_b32_e32 v5, 20, v5
	v_and_b32_e32 v7, 0x80000000, v7
	v_lshl_add_u32 v10, v11, 23, v10
	v_or3_b32 v10, v7, v10, v5
.LBB15_1569:
	s_or_b64 exec, exec, s[10:11]
.LBB15_1570:
	s_mov_b64 s[6:7], -1
.LBB15_1571:
	s_mov_b64 s[10:11], 0
.LBB15_1572:
	s_and_b64 vcc, exec, s[10:11]
	s_cbranch_vccz .LBB15_1605
; %bb.1573:
	v_mov_b32_e32 v5, 22
	v_cmp_gt_i16_sdwa s[2:3], s16, v5 src0_sel:BYTE_0 src1_sel:DWORD
	s_and_b64 vcc, exec, s[2:3]
	s_cbranch_vccz .LBB15_1583
; %bb.1574:
	v_mov_b32_e32 v5, 24
	v_cmp_lt_i16_sdwa s[2:3], s16, v5 src0_sel:BYTE_0 src1_sel:DWORD
	s_and_b64 vcc, exec, s[2:3]
	s_cbranch_vccnz .LBB15_1586
; %bb.1575:
	v_cmp_gt_i16_sdwa s[2:3], s16, v5 src0_sel:BYTE_0 src1_sel:DWORD
	s_and_b64 vcc, exec, s[2:3]
	s_cbranch_vccz .LBB15_1587
; %bb.1576:
	global_load_ubyte v5, v[8:9], off
	s_movk_i32 s2, 0x7f
                                        ; implicit-def: $sgpr12
	s_waitcnt vmcnt(0)
	v_cmp_lt_i16_e32 vcc, s2, v5
	s_mov_b64 s[2:3], 0
	s_and_saveexec_b64 s[6:7], vcc
	s_xor_b64 s[6:7], exec, s[6:7]
	s_cbranch_execz .LBB15_1599
; %bb.1577:
	s_movk_i32 s2, 0x80
	v_cmp_eq_u16_e32 vcc, s2, v5
	s_mov_b64 s[2:3], -1
                                        ; implicit-def: $sgpr12
	s_and_saveexec_b64 s[10:11], vcc
; %bb.1578:
	s_mov_b32 s12, 0x7f800001
	s_xor_b64 s[2:3], exec, -1
; %bb.1579:
	s_or_b64 exec, exec, s[10:11]
	s_and_b64 s[2:3], s[2:3], exec
	s_or_saveexec_b64 s[6:7], s[6:7]
	v_mov_b32_e32 v10, s12
	s_xor_b64 exec, exec, s[6:7]
	s_cbranch_execnz .LBB15_1600
.LBB15_1580:
	s_or_b64 exec, exec, s[6:7]
	s_and_saveexec_b64 s[6:7], s[2:3]
	s_cbranch_execz .LBB15_1582
.LBB15_1581:
	v_lshlrev_b32_e32 v7, 24, v5
	v_and_b32_e32 v5, 0xffff, v5
	v_and_b32_e32 v10, 3, v5
	v_ffbh_u32_e32 v13, v10
	v_min_u32_e32 v13, 32, v13
	v_subrev_u32_e32 v14, 29, v13
	v_bfe_u32 v11, v5, 2, 5
	v_lshlrev_b32_e32 v5, v14, v5
	v_sub_u32_e32 v13, 30, v13
	v_and_b32_e32 v5, 3, v5
	v_cmp_eq_u32_e32 vcc, 0, v11
	v_cndmask_b32_e32 v11, v11, v13, vcc
	v_cndmask_b32_e32 v5, v10, v5, vcc
	v_mov_b32_e32 v10, 0x37800000
	v_lshlrev_b32_e32 v5, 21, v5
	v_and_b32_e32 v7, 0x80000000, v7
	v_lshl_add_u32 v10, v11, 23, v10
	v_or3_b32 v10, v7, v10, v5
.LBB15_1582:
	s_or_b64 exec, exec, s[6:7]
	s_mov_b64 s[2:3], 0
	s_branch .LBB15_1588
.LBB15_1583:
	s_mov_b64 s[2:3], -1
                                        ; implicit-def: $vgpr10
	s_branch .LBB15_1594
.LBB15_1584:
	s_or_saveexec_b64 s[10:11], s[10:11]
	v_mov_b32_e32 v10, s14
	s_xor_b64 exec, exec, s[10:11]
	s_cbranch_execz .LBB15_1567
.LBB15_1585:
	v_cmp_ne_u16_e32 vcc, 0, v5
	s_andn2_b64 s[6:7], s[6:7], exec
	s_and_b64 s[12:13], vcc, exec
	v_mov_b32_e32 v10, 0
	s_or_b64 s[6:7], s[6:7], s[12:13]
	s_or_b64 exec, exec, s[10:11]
	s_and_saveexec_b64 s[10:11], s[6:7]
	s_cbranch_execnz .LBB15_1568
	s_branch .LBB15_1569
.LBB15_1586:
	s_mov_b64 s[2:3], -1
                                        ; implicit-def: $vgpr10
	s_branch .LBB15_1591
.LBB15_1587:
	s_mov_b64 s[2:3], -1
                                        ; implicit-def: $vgpr10
.LBB15_1588:
	s_and_b64 vcc, exec, s[2:3]
	s_cbranch_vccz .LBB15_1590
; %bb.1589:
	global_load_ubyte v5, v[8:9], off
	s_mov_b32 s2, 0x7f800000
	s_waitcnt vmcnt(0)
	v_lshlrev_b32_e32 v5, 24, v5
	v_and_b32_e32 v7, 0x7f000000, v5
	v_ffbh_u32_e32 v10, v7
	v_min_u32_e32 v10, 32, v10
	v_sub_u32_e64 v10, v10, 4 clamp
	v_lshlrev_b32_e32 v13, v10, v7
	v_lshlrev_b32_e32 v10, 23, v10
	v_lshrrev_b32_e32 v13, 4, v13
	v_add_u32_e32 v11, 0x1000000, v7
	v_sub_u32_e32 v10, v13, v10
	v_ashrrev_i32_e32 v11, 8, v11
	v_add_u32_e32 v10, 0x3c000000, v10
	v_and_or_b32 v10, v11, s2, v10
	v_cmp_ne_u32_e32 vcc, 0, v7
	v_cndmask_b32_e32 v7, 0, v10, vcc
	s_brev_b32 s2, 1
	v_and_or_b32 v10, v5, s2, v7
.LBB15_1590:
	s_mov_b64 s[2:3], 0
.LBB15_1591:
	s_andn2_b64 vcc, exec, s[2:3]
	s_cbranch_vccnz .LBB15_1593
; %bb.1592:
	global_load_ubyte v5, v[8:9], off
	s_movk_i32 s2, 0x7f00
	s_brev_b32 s3, 16
	s_waitcnt vmcnt(0)
	v_lshlrev_b16_e32 v7, 8, v5
	v_lshlrev_b32_e32 v5, 25, v5
	v_lshrrev_b32_e32 v10, 4, v5
	v_and_or_b32 v11, v7, s2, 0.5
	v_or_b32_e32 v10, 0x70000000, v10
	v_add_f32_e32 v11, -0.5, v11
	v_mul_f32_e32 v10, 0x7800000, v10
	v_cmp_gt_u32_e32 vcc, s3, v5
	v_bfe_i32 v7, v7, 0, 16
	v_cndmask_b32_e32 v5, v10, v11, vcc
	s_brev_b32 s2, 1
	v_and_or_b32 v10, v7, s2, v5
.LBB15_1593:
	s_mov_b64 s[2:3], 0
	s_mov_b64 s[6:7], -1
.LBB15_1594:
	s_andn2_b64 vcc, exec, s[2:3]
	s_mov_b64 s[2:3], 0
	s_cbranch_vccnz .LBB15_1605
; %bb.1595:
	v_mov_b32_e32 v5, 14
	v_cmp_gt_i16_sdwa s[2:3], s16, v5 src0_sel:BYTE_0 src1_sel:DWORD
	s_and_b64 vcc, exec, s[2:3]
	s_cbranch_vccz .LBB15_1598
; %bb.1596:
	v_mov_b32_e32 v5, 15
	v_cmp_eq_u16_sdwa s[0:1], s16, v5 src0_sel:BYTE_0 src1_sel:DWORD
	s_and_b64 vcc, exec, s[0:1]
	s_cbranch_vccz .LBB15_1601
; %bb.1597:
	global_load_ushort v5, v[8:9], off
	s_mov_b64 s[0:1], 0
	s_mov_b64 s[6:7], -1
	s_waitcnt vmcnt(0)
	v_lshlrev_b32_e32 v10, 16, v5
	s_branch .LBB15_1602
.LBB15_1598:
	s_mov_b64 s[10:11], -1
                                        ; implicit-def: $vgpr10
	s_branch .LBB15_1603
.LBB15_1599:
	s_or_saveexec_b64 s[6:7], s[6:7]
	v_mov_b32_e32 v10, s12
	s_xor_b64 exec, exec, s[6:7]
	s_cbranch_execz .LBB15_1580
.LBB15_1600:
	v_cmp_ne_u16_e32 vcc, 0, v5
	s_andn2_b64 s[2:3], s[2:3], exec
	s_and_b64 s[10:11], vcc, exec
	v_mov_b32_e32 v10, 0
	s_or_b64 s[2:3], s[2:3], s[10:11]
	s_or_b64 exec, exec, s[6:7]
	s_and_saveexec_b64 s[6:7], s[2:3]
	s_cbranch_execnz .LBB15_1581
	s_branch .LBB15_1582
.LBB15_1601:
	s_mov_b64 s[0:1], -1
                                        ; implicit-def: $vgpr10
.LBB15_1602:
	s_mov_b64 s[10:11], 0
.LBB15_1603:
	s_mov_b64 s[2:3], 0
	s_and_b64 vcc, exec, s[10:11]
	s_cbranch_vccz .LBB15_1605
; %bb.1604:
	v_mov_b32_e32 v5, 11
	v_cmp_ne_u16_sdwa s[0:1], s16, v5 src0_sel:BYTE_0 src1_sel:DWORD
	s_mov_b64 s[2:3], -1
                                        ; implicit-def: $vgpr10
.LBB15_1605:
	s_and_b64 vcc, exec, s[0:1]
	s_cbranch_vccnz .LBB15_1669
; %bb.1606:
	s_andn2_b64 vcc, exec, s[2:3]
	s_cbranch_vccnz .LBB15_1608
.LBB15_1607:
	global_load_ubyte v5, v[8:9], off
	s_mov_b64 s[6:7], -1
	s_waitcnt vmcnt(0)
	v_cmp_ne_u16_e32 vcc, 0, v5
	v_cndmask_b32_e64 v10, 0, 1.0, vcc
.LBB15_1608:
	s_mov_b64 s[0:1], 0
.LBB15_1609:
	s_and_b64 vcc, exec, s[0:1]
	s_cbranch_vccz .LBB15_1658
; %bb.1610:
	v_mov_b32_e32 v5, 5
	v_cmp_lt_i16_sdwa s[0:1], s16, v5 src0_sel:BYTE_0 src1_sel:DWORD
	s_and_b64 vcc, exec, s[0:1]
	s_cbranch_vccnz .LBB15_1615
; %bb.1611:
	v_mov_b32_e32 v5, 8
	v_cmp_lt_i16_sdwa s[0:1], s16, v5 src0_sel:BYTE_0 src1_sel:DWORD
	s_and_b64 vcc, exec, s[0:1]
	s_cbranch_vccnz .LBB15_1616
	;; [unrolled: 5-line block ×3, first 2 shown]
; %bb.1613:
	v_cmp_gt_i16_sdwa s[0:1], s16, v5 src0_sel:BYTE_0 src1_sel:DWORD
	s_and_b64 vcc, exec, s[0:1]
	s_cbranch_vccz .LBB15_1618
; %bb.1614:
	global_load_dwordx2 v[10:11], v[8:9], off
	s_mov_b64 s[0:1], 0
	s_waitcnt vmcnt(0)
	v_cvt_f32_f64_e32 v10, v[10:11]
	s_branch .LBB15_1619
.LBB15_1615:
	s_mov_b64 s[0:1], -1
                                        ; implicit-def: $vgpr10
	s_branch .LBB15_1637
.LBB15_1616:
	s_mov_b64 s[0:1], -1
                                        ; implicit-def: $vgpr10
	s_branch .LBB15_1625
.LBB15_1617:
	s_mov_b64 s[0:1], -1
                                        ; implicit-def: $vgpr10
	s_branch .LBB15_1622
.LBB15_1618:
	s_mov_b64 s[0:1], -1
                                        ; implicit-def: $vgpr10
.LBB15_1619:
	s_andn2_b64 vcc, exec, s[0:1]
	s_cbranch_vccnz .LBB15_1621
; %bb.1620:
	global_load_dword v10, v[8:9], off
.LBB15_1621:
	s_mov_b64 s[0:1], 0
.LBB15_1622:
	s_andn2_b64 vcc, exec, s[0:1]
	s_cbranch_vccnz .LBB15_1624
; %bb.1623:
	global_load_dword v5, v[8:9], off
	s_waitcnt vmcnt(0)
	v_cvt_f32_f16_e32 v10, v5
.LBB15_1624:
	s_mov_b64 s[0:1], 0
.LBB15_1625:
	s_andn2_b64 vcc, exec, s[0:1]
	s_cbranch_vccnz .LBB15_1636
; %bb.1626:
	v_mov_b32_e32 v5, 6
	v_cmp_lt_i16_sdwa s[0:1], s16, v5 src0_sel:BYTE_0 src1_sel:DWORD
	s_and_b64 vcc, exec, s[0:1]
	s_cbranch_vccnz .LBB15_1629
; %bb.1627:
	v_cmp_gt_i16_sdwa s[0:1], s16, v5 src0_sel:BYTE_0 src1_sel:DWORD
	s_and_b64 vcc, exec, s[0:1]
	s_cbranch_vccz .LBB15_1630
; %bb.1628:
	global_load_dwordx2 v[10:11], v[8:9], off
	s_mov_b64 s[0:1], 0
	s_waitcnt vmcnt(0)
	v_cvt_f32_f64_e32 v10, v[10:11]
	s_branch .LBB15_1631
.LBB15_1629:
	s_mov_b64 s[0:1], -1
                                        ; implicit-def: $vgpr10
	s_branch .LBB15_1634
.LBB15_1630:
	s_mov_b64 s[0:1], -1
                                        ; implicit-def: $vgpr10
.LBB15_1631:
	s_andn2_b64 vcc, exec, s[0:1]
	s_cbranch_vccnz .LBB15_1633
; %bb.1632:
	global_load_dword v10, v[8:9], off
.LBB15_1633:
	s_mov_b64 s[0:1], 0
.LBB15_1634:
	s_andn2_b64 vcc, exec, s[0:1]
	s_cbranch_vccnz .LBB15_1636
; %bb.1635:
	global_load_ushort v5, v[8:9], off
	s_waitcnt vmcnt(0)
	v_cvt_f32_f16_e32 v10, v5
.LBB15_1636:
	s_mov_b64 s[0:1], 0
.LBB15_1637:
	s_andn2_b64 vcc, exec, s[0:1]
	s_cbranch_vccnz .LBB15_1657
; %bb.1638:
	v_mov_b32_e32 v5, 2
	v_cmp_lt_i16_sdwa s[0:1], s16, v5 src0_sel:BYTE_0 src1_sel:DWORD
	s_and_b64 vcc, exec, s[0:1]
	s_cbranch_vccnz .LBB15_1642
; %bb.1639:
	v_mov_b32_e32 v5, 3
	v_cmp_lt_i16_sdwa s[0:1], s16, v5 src0_sel:BYTE_0 src1_sel:DWORD
	s_and_b64 vcc, exec, s[0:1]
	s_cbranch_vccnz .LBB15_1643
; %bb.1640:
	v_cmp_gt_i16_sdwa s[0:1], s16, v5 src0_sel:BYTE_0 src1_sel:DWORD
	s_and_b64 vcc, exec, s[0:1]
	s_cbranch_vccz .LBB15_1644
; %bb.1641:
	global_load_dwordx2 v[10:11], v[8:9], off
	s_mov_b64 s[0:1], 0
	s_waitcnt vmcnt(0)
	v_xor_b32_e32 v7, v10, v11
	v_ffbh_i32_e32 v5, v11
	v_ashrrev_i32_e32 v7, 31, v7
	v_add_u32_e32 v5, -1, v5
	v_add_u32_e32 v7, 32, v7
	v_min_u32_e32 v5, v5, v7
	v_lshlrev_b64 v[10:11], v5, v[10:11]
	v_min_u32_e32 v7, 1, v10
	v_or_b32_e32 v7, v11, v7
	v_cvt_f32_i32_e32 v7, v7
	v_sub_u32_e32 v5, 32, v5
	v_ldexp_f32 v10, v7, v5
	s_branch .LBB15_1645
.LBB15_1642:
	s_mov_b64 s[0:1], -1
                                        ; implicit-def: $vgpr10
	s_branch .LBB15_1651
.LBB15_1643:
	s_mov_b64 s[0:1], -1
                                        ; implicit-def: $vgpr10
	s_branch .LBB15_1648
.LBB15_1644:
	s_mov_b64 s[0:1], -1
                                        ; implicit-def: $vgpr10
.LBB15_1645:
	s_andn2_b64 vcc, exec, s[0:1]
	s_cbranch_vccnz .LBB15_1647
; %bb.1646:
	global_load_dword v5, v[8:9], off
	s_waitcnt vmcnt(0)
	v_cvt_f32_i32_e32 v10, v5
.LBB15_1647:
	s_mov_b64 s[0:1], 0
.LBB15_1648:
	s_andn2_b64 vcc, exec, s[0:1]
	s_cbranch_vccnz .LBB15_1650
; %bb.1649:
	global_load_sshort v5, v[8:9], off
	s_waitcnt vmcnt(0)
	v_cvt_f32_i32_e32 v10, v5
.LBB15_1650:
	s_mov_b64 s[0:1], 0
.LBB15_1651:
	s_andn2_b64 vcc, exec, s[0:1]
	s_cbranch_vccnz .LBB15_1657
; %bb.1652:
	v_mov_b32_e32 v5, 0
	v_cmp_gt_i16_sdwa s[0:1], s16, v5 src0_sel:BYTE_0 src1_sel:DWORD
	s_and_b64 vcc, exec, s[0:1]
	s_cbranch_vccz .LBB15_1654
; %bb.1653:
	global_load_sbyte v5, v[8:9], off
	s_mov_b64 s[0:1], 0
	s_waitcnt vmcnt(0)
	v_cvt_f32_i32_e32 v10, v5
	s_branch .LBB15_1655
.LBB15_1654:
	s_mov_b64 s[0:1], -1
                                        ; implicit-def: $vgpr10
.LBB15_1655:
	s_andn2_b64 vcc, exec, s[0:1]
	s_cbranch_vccnz .LBB15_1657
; %bb.1656:
	global_load_ubyte v5, v[8:9], off
	s_waitcnt vmcnt(0)
	v_cvt_f32_ubyte0_e32 v10, v5
.LBB15_1657:
	s_mov_b64 s[6:7], -1
.LBB15_1658:
	s_andn2_b64 vcc, exec, s[6:7]
	s_cbranch_vccnz .LBB15_2044
; %bb.1659:
	s_load_dwordx2 s[6:7], s[34:35], 0x158
	v_mov_b32_e32 v5, s9
	s_waitcnt vmcnt(0) lgkmcnt(0)
	v_cmp_nge_f32_e64 s[0:1], v1, -s6
	v_cmp_nge_f32_e32 vcc, s6, v1
	s_and_b32 s20, s7, 0xff
	s_or_b64 s[0:1], s[0:1], vcc
	v_add_co_u32_e32 v6, vcc, s8, v6
	v_addc_co_u32_e32 v7, vcc, 0, v5, vcc
	v_cmp_lt_i16_e64 s[10:11], s20, 11
	v_cndmask_b32_e64 v8, 0, v1, s[0:1]
	s_and_b64 vcc, exec, s[10:11]
	s_cbranch_vccnz .LBB15_1666
; %bb.1660:
	v_cmp_gt_i16_e64 s[2:3], s20, 25
	s_mov_b64 s[16:17], -1
	s_mov_b64 s[12:13], 0
	s_and_b64 vcc, exec, s[2:3]
	s_mov_b64 s[14:15], 0
	s_mov_b64 s[2:3], 0
	s_cbranch_vccz .LBB15_1698
; %bb.1661:
	v_cmp_gt_i16_e64 s[2:3], s20, 28
	s_and_b64 vcc, exec, s[2:3]
	s_cbranch_vccz .LBB15_1667
; %bb.1662:
	v_cmp_gt_i16_e64 s[2:3], s20, 43
	s_and_b64 vcc, exec, s[2:3]
	;; [unrolled: 4-line block ×3, first 2 shown]
	s_cbranch_vccz .LBB15_1670
; %bb.1664:
	v_cmp_eq_u16_e64 s[14:15], s20, 46
	s_mov_b64 s[2:3], -1
	s_mov_b64 s[16:17], 0
	s_and_b64 vcc, exec, s[14:15]
	s_mov_b64 s[14:15], 0
	s_cbranch_vccz .LBB15_1671
; %bb.1665:
	v_bfe_u32 v5, v8, 16, 1
	s_movk_i32 s2, 0x7fff
	v_add3_u32 v5, v8, v5, s2
	v_lshrrev_b32_e32 v5, 16, v5
	v_mov_b32_e32 v9, 0x7fc0
	v_cmp_o_f32_e32 vcc, v8, v8
	v_cndmask_b32_e32 v5, v9, v5, vcc
	global_store_dword v[6:7], v5, off
	s_mov_b64 s[2:3], 0
	s_mov_b64 s[14:15], -1
	s_branch .LBB15_1671
.LBB15_1666:
	s_mov_b64 s[0:1], -1
	s_mov_b64 s[14:15], 0
	s_branch .LBB15_1742
.LBB15_1667:
	s_mov_b64 s[2:3], 0
	s_branch .LBB15_1681
.LBB15_1668:
	s_mov_b64 s[2:3], 0
	s_branch .LBB15_1677
.LBB15_1669:
	s_trap 2
	s_or_b64 s[4:5], s[4:5], exec
                                        ; implicit-def: $vgpr10
	s_cbranch_execz .LBB15_1607
	s_branch .LBB15_1608
.LBB15_1670:
	s_mov_b64 s[2:3], 0
.LBB15_1671:
	s_and_b64 vcc, exec, s[16:17]
	s_cbranch_vccz .LBB15_1676
; %bb.1672:
	v_cmp_eq_u16_e64 s[16:17], s20, 44
	s_mov_b64 s[2:3], -1
	s_and_b64 vcc, exec, s[16:17]
	s_cbranch_vccz .LBB15_1676
; %bb.1673:
	v_bfe_u32 v5, v8, 23, 8
	s_movk_i32 s2, 0xff
	v_cmp_ne_u32_e32 vcc, s2, v5
	v_mov_b32_e32 v9, 0xff
	s_and_saveexec_b64 s[14:15], vcc
; %bb.1674:
	s_mov_b32 s2, 0x3fffff
	v_and_b32_e32 v11, 0x400000, v8
	v_and_or_b32 v5, v8, s2, v5
	v_cmp_ne_u32_e32 vcc, 0, v11
	v_cmp_ne_u32_e64 s[2:3], 0, v5
	s_and_b64 s[2:3], vcc, s[2:3]
	v_lshrrev_b32_e32 v9, 23, v8
	v_cndmask_b32_e64 v5, 0, 1, s[2:3]
	v_add_u32_e32 v9, v9, v5
; %bb.1675:
	s_or_b64 exec, exec, s[14:15]
	s_mov_b64 s[2:3], 0
	s_mov_b64 s[14:15], -1
	global_store_byte v[6:7], v9, off
.LBB15_1676:
	s_mov_b64 s[16:17], 0
.LBB15_1677:
	s_and_b64 vcc, exec, s[16:17]
	s_cbranch_vccz .LBB15_1680
; %bb.1678:
	v_cmp_eq_u16_e64 s[16:17], s20, 29
	s_mov_b64 s[2:3], -1
	s_and_b64 vcc, exec, s[16:17]
	s_cbranch_vccz .LBB15_1680
; %bb.1679:
	v_trunc_f32_e32 v5, v8
	v_mul_f32_e32 v9, 0x2f800000, v5
	v_floor_f32_e32 v9, v9
	v_fmac_f32_e32 v5, 0xcf800000, v9
	v_cvt_u32_f32_e32 v15, v9
	v_cvt_u32_f32_e32 v14, v5
	s_mov_b64 s[2:3], 0
	s_mov_b64 s[14:15], -1
	s_mov_b64 s[16:17], 0
	global_store_dwordx2 v[6:7], v[14:15], off
	s_branch .LBB15_1681
.LBB15_1680:
	s_mov_b64 s[16:17], 0
.LBB15_1681:
	s_and_b64 vcc, exec, s[16:17]
	s_cbranch_vccz .LBB15_1697
; %bb.1682:
	v_cmp_lt_i16_e64 s[16:17], s20, 27
	s_mov_b64 s[14:15], -1
	s_and_b64 vcc, exec, s[16:17]
	s_cbranch_vccnz .LBB15_1688
; %bb.1683:
	v_cvt_u32_f32_e32 v5, v8
	v_cmp_gt_i16_e64 s[16:17], s20, 27
	s_and_b64 vcc, exec, s[16:17]
	s_cbranch_vccz .LBB15_1685
; %bb.1684:
	s_mov_b64 s[14:15], 0
	global_store_dword v[6:7], v5, off
.LBB15_1685:
	s_andn2_b64 vcc, exec, s[14:15]
	s_cbranch_vccnz .LBB15_1687
; %bb.1686:
	global_store_short v[6:7], v5, off
.LBB15_1687:
	s_mov_b64 s[14:15], 0
.LBB15_1688:
	s_andn2_b64 vcc, exec, s[14:15]
	s_cbranch_vccnz .LBB15_1696
; %bb.1689:
	v_cndmask_b32_e64 v9, 0, |v1|, s[0:1]
	s_mov_b32 s7, 0x43800000
	v_cmp_gt_u32_e32 vcc, s7, v9
	v_mov_b32_e32 v11, 0x80
	s_and_saveexec_b64 s[14:15], vcc
	s_cbranch_execz .LBB15_1695
; %bb.1690:
	s_mov_b32 s7, 0x3bffffff
	v_cmp_lt_u32_e32 vcc, s7, v9
	s_mov_b64 s[16:17], 0
                                        ; implicit-def: $vgpr5
	s_and_saveexec_b64 s[18:19], vcc
	s_xor_b64 s[18:19], exec, s[18:19]
	s_cbranch_execz .LBB15_1791
; %bb.1691:
	v_bfe_u32 v5, v8, 20, 1
	s_mov_b32 s7, 0x487ffff
	v_add3_u32 v5, v8, v5, s7
	s_mov_b64 s[16:17], exec
	v_lshrrev_b32_e32 v5, 20, v5
                                        ; implicit-def: $vgpr9
	s_or_saveexec_b64 s[18:19], s[18:19]
                                        ; implicit-def: $sgpr7
	s_xor_b64 exec, exec, s[18:19]
	s_cbranch_execnz .LBB15_1792
.LBB15_1692:
	s_or_b64 exec, exec, s[18:19]
	v_mov_b32_e32 v11, s7
	s_and_saveexec_b64 s[18:19], s[16:17]
.LBB15_1693:
	v_lshrrev_b32_e32 v9, 24, v8
	s_movk_i32 s7, 0x80
	v_and_or_b32 v11, v9, s7, v5
.LBB15_1694:
	s_or_b64 exec, exec, s[18:19]
.LBB15_1695:
	s_or_b64 exec, exec, s[14:15]
	global_store_byte v[6:7], v11, off
.LBB15_1696:
	s_mov_b64 s[14:15], -1
.LBB15_1697:
	s_mov_b64 s[16:17], 0
.LBB15_1698:
	s_and_b64 vcc, exec, s[16:17]
	s_cbranch_vccz .LBB15_1738
; %bb.1699:
	v_cmp_gt_i16_e64 s[16:17], s20, 22
	s_mov_b64 s[12:13], -1
	s_and_b64 vcc, exec, s[16:17]
	s_cbranch_vccz .LBB15_1731
; %bb.1700:
	v_cmp_lt_i16_e64 s[14:15], s20, 24
	s_and_b64 vcc, exec, s[14:15]
	s_cbranch_vccnz .LBB15_1720
; %bb.1701:
	v_cmp_gt_i16_e64 s[14:15], s20, 24
	s_and_b64 vcc, exec, s[14:15]
	s_cbranch_vccz .LBB15_1709
; %bb.1702:
	v_cndmask_b32_e64 v9, 0, |v1|, s[0:1]
	s_mov_b32 s7, 0x47800000
	v_cmp_gt_u32_e32 vcc, s7, v9
	v_mov_b32_e32 v11, 0x80
	s_and_saveexec_b64 s[12:13], vcc
	s_cbranch_execz .LBB15_1708
; %bb.1703:
	s_mov_b32 s7, 0x37ffffff
	v_cmp_lt_u32_e32 vcc, s7, v9
	s_mov_b64 s[14:15], 0
                                        ; implicit-def: $vgpr5
	s_and_saveexec_b64 s[16:17], vcc
	s_xor_b64 s[16:17], exec, s[16:17]
	s_cbranch_execz .LBB15_1795
; %bb.1704:
	v_bfe_u32 v5, v8, 21, 1
	s_mov_b32 s7, 0x88fffff
	v_add3_u32 v5, v8, v5, s7
	s_mov_b64 s[14:15], exec
	v_lshrrev_b32_e32 v5, 21, v5
                                        ; implicit-def: $vgpr9
	s_or_saveexec_b64 s[16:17], s[16:17]
                                        ; implicit-def: $sgpr7
	s_xor_b64 exec, exec, s[16:17]
	s_cbranch_execnz .LBB15_1796
.LBB15_1705:
	s_or_b64 exec, exec, s[16:17]
	v_mov_b32_e32 v11, s7
	s_and_saveexec_b64 s[16:17], s[14:15]
.LBB15_1706:
	v_lshrrev_b32_e32 v9, 24, v8
	s_movk_i32 s7, 0x80
	v_and_or_b32 v11, v9, s7, v5
.LBB15_1707:
	s_or_b64 exec, exec, s[16:17]
.LBB15_1708:
	s_or_b64 exec, exec, s[12:13]
	s_mov_b64 s[12:13], 0
	global_store_byte v[6:7], v11, off
.LBB15_1709:
	s_and_b64 vcc, exec, s[12:13]
	s_cbranch_vccz .LBB15_1719
; %bb.1710:
	v_cndmask_b32_e64 v9, 0, |v1|, s[0:1]
	s_mov_b32 s7, 0x43f00000
	v_cmp_gt_u32_e32 vcc, s7, v9
                                        ; implicit-def: $vgpr5
	s_and_saveexec_b64 s[12:13], vcc
	s_xor_b64 s[12:13], exec, s[12:13]
	s_cbranch_execz .LBB15_1716
; %bb.1711:
	s_mov_b32 s7, 0x3c7fffff
	v_cmp_lt_u32_e32 vcc, s7, v9
                                        ; implicit-def: $vgpr5
	s_and_saveexec_b64 s[14:15], vcc
	s_xor_b64 s[14:15], exec, s[14:15]
; %bb.1712:
	v_bfe_u32 v5, v8, 20, 1
	s_mov_b32 s7, 0x407ffff
	v_add3_u32 v5, v8, v5, s7
	v_lshrrev_b32_e32 v9, 20, v5
	v_and_b32_e32 v5, 0xff00000, v5
	s_mov_b32 s7, 0x7f00000
	v_mov_b32_e32 v11, 0x7e
	v_cmp_ne_u32_e32 vcc, s7, v5
	v_cndmask_b32_e32 v5, v11, v9, vcc
                                        ; implicit-def: $vgpr9
; %bb.1713:
	s_andn2_saveexec_b64 s[14:15], s[14:15]
; %bb.1714:
	v_add_f32_e32 v5, 0x46800000, v9
; %bb.1715:
	s_or_b64 exec, exec, s[14:15]
                                        ; implicit-def: $vgpr9
.LBB15_1716:
	s_andn2_saveexec_b64 s[12:13], s[12:13]
; %bb.1717:
	s_mov_b32 s7, 0x7f800000
	v_mov_b32_e32 v5, 0x7e
	v_mov_b32_e32 v11, 0x7f
	v_cmp_lt_u32_e32 vcc, s7, v9
	v_cndmask_b32_e32 v5, v5, v11, vcc
; %bb.1718:
	s_or_b64 exec, exec, s[12:13]
	v_lshrrev_b32_e32 v9, 24, v8
	s_movk_i32 s7, 0x80
	v_and_or_b32 v5, v9, s7, v5
	global_store_byte v[6:7], v5, off
.LBB15_1719:
	s_mov_b64 s[12:13], 0
.LBB15_1720:
	s_andn2_b64 vcc, exec, s[12:13]
	s_cbranch_vccnz .LBB15_1730
; %bb.1721:
	v_cndmask_b32_e64 v5, 0, |v1|, s[0:1]
	s_mov_b32 s0, 0x47800000
	v_cmp_gt_u32_e32 vcc, s0, v5
                                        ; implicit-def: $vgpr1
	s_and_saveexec_b64 s[0:1], vcc
	s_xor_b64 s[0:1], exec, s[0:1]
	s_cbranch_execz .LBB15_1727
; %bb.1722:
	s_mov_b32 s7, 0x387fffff
	v_cmp_lt_u32_e32 vcc, s7, v5
                                        ; implicit-def: $vgpr1
	s_and_saveexec_b64 s[12:13], vcc
	s_xor_b64 s[12:13], exec, s[12:13]
; %bb.1723:
	v_bfe_u32 v1, v8, 21, 1
	s_mov_b32 s7, 0x80fffff
	v_add3_u32 v1, v8, v1, s7
	v_lshrrev_b32_e32 v1, 21, v1
                                        ; implicit-def: $vgpr5
; %bb.1724:
	s_andn2_saveexec_b64 s[12:13], s[12:13]
; %bb.1725:
	v_add_f32_e32 v1, 0x43000000, v5
; %bb.1726:
	s_or_b64 exec, exec, s[12:13]
                                        ; implicit-def: $vgpr5
.LBB15_1727:
	s_andn2_saveexec_b64 s[0:1], s[0:1]
; %bb.1728:
	s_mov_b32 s7, 0x7f800000
	v_mov_b32_e32 v1, 0x7c
	v_mov_b32_e32 v9, 0x7f
	v_cmp_lt_u32_e32 vcc, s7, v5
	v_cndmask_b32_e32 v1, v1, v9, vcc
; %bb.1729:
	s_or_b64 exec, exec, s[0:1]
	v_lshrrev_b32_e32 v5, 24, v8
	s_movk_i32 s0, 0x80
	v_and_or_b32 v1, v5, s0, v1
	global_store_byte v[6:7], v1, off
.LBB15_1730:
	s_mov_b64 s[12:13], 0
	s_mov_b64 s[14:15], -1
.LBB15_1731:
	s_andn2_b64 vcc, exec, s[12:13]
	s_mov_b64 s[12:13], 0
	s_cbranch_vccnz .LBB15_1738
; %bb.1732:
	v_cmp_gt_i16_e64 s[12:13], s20, 14
	s_mov_b64 s[0:1], -1
	s_and_b64 vcc, exec, s[12:13]
	s_cbranch_vccz .LBB15_1736
; %bb.1733:
	v_cmp_eq_u16_e64 s[0:1], s20, 15
	s_mov_b64 s[2:3], -1
	s_and_b64 vcc, exec, s[0:1]
	s_cbranch_vccz .LBB15_1735
; %bb.1734:
	v_bfe_u32 v1, v8, 16, 1
	s_movk_i32 s0, 0x7fff
	v_add3_u32 v1, v8, v1, s0
	v_lshrrev_b32_e32 v1, 16, v1
	v_mov_b32_e32 v5, 0x7fc0
	v_cmp_o_f32_e32 vcc, v8, v8
	v_cndmask_b32_e32 v1, v5, v1, vcc
	global_store_short v[6:7], v1, off
	s_mov_b64 s[2:3], 0
	s_mov_b64 s[14:15], -1
.LBB15_1735:
	s_mov_b64 s[0:1], 0
.LBB15_1736:
	s_mov_b64 s[12:13], 0
	s_and_b64 vcc, exec, s[0:1]
	s_cbranch_vccz .LBB15_1738
; %bb.1737:
	v_cmp_ne_u16_e64 s[2:3], s20, 11
	s_mov_b64 s[12:13], -1
.LBB15_1738:
	s_and_b64 vcc, exec, s[2:3]
	s_cbranch_vccnz .LBB15_1794
; %bb.1739:
	s_andn2_b64 vcc, exec, s[12:13]
	s_cbranch_vccnz .LBB15_1741
.LBB15_1740:
	v_cmp_neq_f32_e32 vcc, 0, v8
	v_cndmask_b32_e64 v1, 0, 1, vcc
	s_mov_b64 s[14:15], -1
	global_store_byte v[6:7], v1, off
.LBB15_1741:
	s_mov_b64 s[0:1], 0
.LBB15_1742:
	s_and_b64 vcc, exec, s[0:1]
	s_cbranch_vccz .LBB15_1781
; %bb.1743:
	v_cmp_lt_i16_e64 s[2:3], s20, 5
	s_mov_b64 s[0:1], -1
	s_and_b64 vcc, exec, s[2:3]
	s_cbranch_vccnz .LBB15_1764
; %bb.1744:
	v_cmp_lt_i16_e64 s[2:3], s20, 8
	s_and_b64 vcc, exec, s[2:3]
	s_cbranch_vccnz .LBB15_1754
; %bb.1745:
	v_cmp_lt_i16_e64 s[2:3], s20, 9
	s_and_b64 vcc, exec, s[2:3]
	s_cbranch_vccnz .LBB15_1751
; %bb.1746:
	v_cmp_gt_i16_e64 s[2:3], s20, 9
	s_and_b64 vcc, exec, s[2:3]
	s_cbranch_vccz .LBB15_1748
; %bb.1747:
	v_mov_b32_e32 v16, 0
	v_cvt_f64_f32_e32 v[14:15], v8
	v_mov_b32_e32 v17, v16
	global_store_dwordx4 v[6:7], v[14:17], off
	s_mov_b64 s[0:1], 0
.LBB15_1748:
	s_andn2_b64 vcc, exec, s[0:1]
	s_cbranch_vccnz .LBB15_1750
; %bb.1749:
	v_mov_b32_e32 v9, 0
	global_store_dwordx2 v[6:7], v[8:9], off
.LBB15_1750:
	s_mov_b64 s[0:1], 0
.LBB15_1751:
	s_andn2_b64 vcc, exec, s[0:1]
	s_cbranch_vccnz .LBB15_1753
; %bb.1752:
	v_cvt_f16_f32_e32 v1, v8
	global_store_dword v[6:7], v1, off
.LBB15_1753:
	s_mov_b64 s[0:1], 0
.LBB15_1754:
	s_andn2_b64 vcc, exec, s[0:1]
	s_cbranch_vccnz .LBB15_1763
; %bb.1755:
	v_cmp_lt_i16_e64 s[2:3], s20, 6
	s_mov_b64 s[0:1], -1
	s_and_b64 vcc, exec, s[2:3]
	s_cbranch_vccnz .LBB15_1761
; %bb.1756:
	v_cmp_gt_i16_e64 s[2:3], s20, 6
	s_and_b64 vcc, exec, s[2:3]
	s_cbranch_vccz .LBB15_1758
; %bb.1757:
	v_cvt_f64_f32_e32 v[14:15], v8
	global_store_dwordx2 v[6:7], v[14:15], off
	s_mov_b64 s[0:1], 0
.LBB15_1758:
	s_andn2_b64 vcc, exec, s[0:1]
	s_cbranch_vccnz .LBB15_1760
; %bb.1759:
	global_store_dword v[6:7], v8, off
.LBB15_1760:
	s_mov_b64 s[0:1], 0
.LBB15_1761:
	s_andn2_b64 vcc, exec, s[0:1]
	s_cbranch_vccnz .LBB15_1763
; %bb.1762:
	v_cvt_f16_f32_e32 v1, v8
	global_store_short v[6:7], v1, off
.LBB15_1763:
	s_mov_b64 s[0:1], 0
.LBB15_1764:
	s_andn2_b64 vcc, exec, s[0:1]
	s_cbranch_vccnz .LBB15_1780
; %bb.1765:
	v_cmp_lt_i16_e64 s[2:3], s20, 2
	s_mov_b64 s[0:1], -1
	s_and_b64 vcc, exec, s[2:3]
	s_cbranch_vccnz .LBB15_1775
; %bb.1766:
	v_cmp_lt_i16_e64 s[2:3], s20, 3
	s_and_b64 vcc, exec, s[2:3]
	s_cbranch_vccnz .LBB15_1772
; %bb.1767:
	v_cmp_gt_i16_e64 s[2:3], s20, 3
	s_and_b64 vcc, exec, s[2:3]
	s_cbranch_vccz .LBB15_1769
; %bb.1768:
	v_trunc_f32_e32 v1, v8
	s_mov_b32 s0, 0x2f800000
	v_mul_f32_e64 v5, |v1|, s0
	v_floor_f32_e32 v5, v5
	s_mov_b32 s0, 0xcf800000
	v_cvt_u32_f32_e32 v9, v5
	v_fma_f32 v5, v5, s0, |v1|
	v_cvt_u32_f32_e32 v5, v5
	v_ashrrev_i32_e32 v1, 31, v1
	v_xor_b32_e32 v9, v9, v1
	s_mov_b64 s[0:1], 0
	v_xor_b32_e32 v5, v5, v1
	v_sub_co_u32_e32 v14, vcc, v5, v1
	v_subb_co_u32_e32 v15, vcc, v9, v1, vcc
	global_store_dwordx2 v[6:7], v[14:15], off
.LBB15_1769:
	s_andn2_b64 vcc, exec, s[0:1]
	s_cbranch_vccnz .LBB15_1771
; %bb.1770:
	v_cvt_i32_f32_e32 v1, v8
	global_store_dword v[6:7], v1, off
.LBB15_1771:
	s_mov_b64 s[0:1], 0
.LBB15_1772:
	s_andn2_b64 vcc, exec, s[0:1]
	s_cbranch_vccnz .LBB15_1774
; %bb.1773:
	v_cvt_i32_f32_e32 v1, v8
	global_store_short v[6:7], v1, off
.LBB15_1774:
	s_mov_b64 s[0:1], 0
.LBB15_1775:
	s_andn2_b64 vcc, exec, s[0:1]
	s_cbranch_vccnz .LBB15_1780
; %bb.1776:
	v_cmp_gt_i16_e64 s[2:3], s20, 0
	s_mov_b64 s[0:1], -1
	s_and_b64 vcc, exec, s[2:3]
	s_cbranch_vccz .LBB15_1778
; %bb.1777:
	v_cvt_i32_f32_e32 v1, v8
	s_mov_b64 s[0:1], 0
	global_store_byte v[6:7], v1, off
.LBB15_1778:
	s_andn2_b64 vcc, exec, s[0:1]
	s_cbranch_vccnz .LBB15_1780
; %bb.1779:
	v_trunc_f32_e32 v1, v8
	s_mov_b32 s0, 0x2f800000
	v_mul_f32_e64 v5, |v1|, s0
	v_floor_f32_e32 v5, v5
	s_mov_b32 s0, 0xcf800000
	v_fma_f32 v5, v5, s0, |v1|
	v_cvt_u32_f32_e32 v5, v5
	v_ashrrev_i32_e32 v1, 31, v1
	v_xor_b32_e32 v5, v5, v1
	v_sub_u32_e32 v1, v5, v1
	global_store_byte v[6:7], v1, off
.LBB15_1780:
	s_mov_b64 s[14:15], -1
.LBB15_1781:
	s_andn2_b64 vcc, exec, s[14:15]
	s_cbranch_vccnz .LBB15_2044
; %bb.1782:
	v_cmp_nge_f32_e64 s[0:1], v3, -s6
	v_cmp_nge_f32_e32 vcc, s6, v3
	s_or_b64 s[0:1], s[0:1], vcc
	v_mov_b32_e32 v1, s9
	v_add_co_u32_e32 v4, vcc, s8, v4
	v_addc_co_u32_e32 v5, vcc, 0, v1, vcc
	v_cndmask_b32_e64 v6, 0, v3, s[0:1]
	s_and_b64 vcc, exec, s[10:11]
	s_cbranch_vccnz .LBB15_1789
; %bb.1783:
	v_cmp_gt_i16_e64 s[2:3], s20, 25
	s_mov_b64 s[16:17], -1
	s_mov_b64 s[12:13], 0
	s_and_b64 vcc, exec, s[2:3]
	s_mov_b64 s[14:15], 0
	s_mov_b64 s[2:3], 0
	s_cbranch_vccz .LBB15_1825
; %bb.1784:
	v_cmp_gt_i16_e64 s[2:3], s20, 28
	s_and_b64 vcc, exec, s[2:3]
	s_cbranch_vccz .LBB15_1790
; %bb.1785:
	v_cmp_gt_i16_e64 s[2:3], s20, 43
	s_and_b64 vcc, exec, s[2:3]
	;; [unrolled: 4-line block ×3, first 2 shown]
	s_cbranch_vccz .LBB15_1797
; %bb.1787:
	v_cmp_eq_u16_e64 s[14:15], s20, 46
	s_mov_b64 s[2:3], -1
	s_mov_b64 s[16:17], 0
	s_and_b64 vcc, exec, s[14:15]
	s_mov_b64 s[14:15], 0
	s_cbranch_vccz .LBB15_1798
; %bb.1788:
	v_bfe_u32 v1, v6, 16, 1
	s_movk_i32 s2, 0x7fff
	v_add3_u32 v1, v6, v1, s2
	v_lshrrev_b32_e32 v1, 16, v1
	v_mov_b32_e32 v7, 0x7fc0
	v_cmp_o_f32_e32 vcc, v6, v6
	v_cndmask_b32_e32 v1, v7, v1, vcc
	global_store_dword v[4:5], v1, off
	s_mov_b64 s[2:3], 0
	s_mov_b64 s[14:15], -1
	s_branch .LBB15_1798
.LBB15_1789:
	s_mov_b64 s[0:1], -1
	s_mov_b64 s[14:15], 0
	s_branch .LBB15_1869
.LBB15_1790:
	s_mov_b64 s[2:3], 0
	s_branch .LBB15_1808
.LBB15_1791:
	s_or_saveexec_b64 s[18:19], s[18:19]
                                        ; implicit-def: $sgpr7
	s_xor_b64 exec, exec, s[18:19]
	s_cbranch_execz .LBB15_1692
.LBB15_1792:
	v_add_f32_e32 v5, 0x46000000, v9
	v_and_b32_e32 v5, 0xff, v5
	v_cmp_ne_u32_e32 vcc, 0, v5
	s_andn2_b64 s[16:17], s[16:17], exec
	s_and_b64 s[22:23], vcc, exec
	s_mov_b32 s7, 0
	s_or_b64 s[16:17], s[16:17], s[22:23]
	s_or_b64 exec, exec, s[18:19]
	v_mov_b32_e32 v11, s7
	s_and_saveexec_b64 s[18:19], s[16:17]
	s_cbranch_execnz .LBB15_1693
	s_branch .LBB15_1694
.LBB15_1793:
	s_mov_b64 s[2:3], 0
	s_branch .LBB15_1804
.LBB15_1794:
	s_trap 2
	s_or_b64 s[4:5], s[4:5], exec
	s_cbranch_execz .LBB15_1740
	s_branch .LBB15_1741
.LBB15_1795:
	s_or_saveexec_b64 s[16:17], s[16:17]
                                        ; implicit-def: $sgpr7
	s_xor_b64 exec, exec, s[16:17]
	s_cbranch_execz .LBB15_1705
.LBB15_1796:
	v_add_f32_e32 v5, 0x42800000, v9
	v_and_b32_e32 v5, 0xff, v5
	v_cmp_ne_u32_e32 vcc, 0, v5
	s_andn2_b64 s[14:15], s[14:15], exec
	s_and_b64 s[18:19], vcc, exec
	s_mov_b32 s7, 0
	s_or_b64 s[14:15], s[14:15], s[18:19]
	s_or_b64 exec, exec, s[16:17]
	v_mov_b32_e32 v11, s7
	s_and_saveexec_b64 s[16:17], s[14:15]
	s_cbranch_execnz .LBB15_1706
	s_branch .LBB15_1707
.LBB15_1797:
	s_mov_b64 s[2:3], 0
.LBB15_1798:
	s_and_b64 vcc, exec, s[16:17]
	s_cbranch_vccz .LBB15_1803
; %bb.1799:
	v_cmp_eq_u16_e64 s[16:17], s20, 44
	s_mov_b64 s[2:3], -1
	s_and_b64 vcc, exec, s[16:17]
	s_cbranch_vccz .LBB15_1803
; %bb.1800:
	v_bfe_u32 v1, v6, 23, 8
	s_movk_i32 s2, 0xff
	v_cmp_ne_u32_e32 vcc, s2, v1
	v_mov_b32_e32 v7, 0xff
	s_and_saveexec_b64 s[14:15], vcc
; %bb.1801:
	s_mov_b32 s2, 0x3fffff
	v_and_b32_e32 v8, 0x400000, v6
	v_and_or_b32 v1, v6, s2, v1
	v_cmp_ne_u32_e32 vcc, 0, v8
	v_cmp_ne_u32_e64 s[2:3], 0, v1
	s_and_b64 s[2:3], vcc, s[2:3]
	v_lshrrev_b32_e32 v7, 23, v6
	v_cndmask_b32_e64 v1, 0, 1, s[2:3]
	v_add_u32_e32 v7, v7, v1
; %bb.1802:
	s_or_b64 exec, exec, s[14:15]
	s_mov_b64 s[2:3], 0
	s_mov_b64 s[14:15], -1
	global_store_byte v[4:5], v7, off
.LBB15_1803:
	s_mov_b64 s[16:17], 0
.LBB15_1804:
	s_and_b64 vcc, exec, s[16:17]
	s_cbranch_vccz .LBB15_1807
; %bb.1805:
	v_cmp_eq_u16_e64 s[16:17], s20, 29
	s_mov_b64 s[2:3], -1
	s_and_b64 vcc, exec, s[16:17]
	s_cbranch_vccz .LBB15_1807
; %bb.1806:
	v_trunc_f32_e32 v1, v6
	v_mul_f32_e32 v7, 0x2f800000, v1
	v_floor_f32_e32 v7, v7
	v_fmac_f32_e32 v1, 0xcf800000, v7
	v_cvt_u32_f32_e32 v9, v7
	v_cvt_u32_f32_e32 v8, v1
	s_mov_b64 s[2:3], 0
	s_mov_b64 s[14:15], -1
	s_mov_b64 s[16:17], 0
	global_store_dwordx2 v[4:5], v[8:9], off
	s_branch .LBB15_1808
.LBB15_1807:
	s_mov_b64 s[16:17], 0
.LBB15_1808:
	s_and_b64 vcc, exec, s[16:17]
	s_cbranch_vccz .LBB15_1824
; %bb.1809:
	v_cmp_lt_i16_e64 s[16:17], s20, 27
	s_mov_b64 s[14:15], -1
	s_and_b64 vcc, exec, s[16:17]
	s_cbranch_vccnz .LBB15_1815
; %bb.1810:
	v_cmp_gt_i16_e64 s[16:17], s20, 27
	s_and_b64 vcc, exec, s[16:17]
	s_cbranch_vccz .LBB15_1812
; %bb.1811:
	v_cvt_u32_f32_e32 v1, v6
	s_mov_b64 s[14:15], 0
	global_store_dword v[4:5], v1, off
.LBB15_1812:
	s_andn2_b64 vcc, exec, s[14:15]
	s_cbranch_vccnz .LBB15_1814
; %bb.1813:
	v_cvt_u32_f32_e32 v1, v6
	global_store_short v[4:5], v1, off
.LBB15_1814:
	s_mov_b64 s[14:15], 0
.LBB15_1815:
	s_andn2_b64 vcc, exec, s[14:15]
	s_cbranch_vccnz .LBB15_1823
; %bb.1816:
	v_cndmask_b32_e64 v7, 0, |v3|, s[0:1]
	s_mov_b32 s7, 0x43800000
	v_cmp_gt_u32_e32 vcc, s7, v7
	v_mov_b32_e32 v8, 0x80
	s_and_saveexec_b64 s[14:15], vcc
	s_cbranch_execz .LBB15_1822
; %bb.1817:
	s_mov_b32 s7, 0x3bffffff
	v_cmp_lt_u32_e32 vcc, s7, v7
	s_mov_b64 s[16:17], 0
                                        ; implicit-def: $vgpr1
	s_and_saveexec_b64 s[18:19], vcc
	s_xor_b64 s[18:19], exec, s[18:19]
	s_cbranch_execz .LBB15_1918
; %bb.1818:
	v_bfe_u32 v1, v6, 20, 1
	s_mov_b32 s7, 0x487ffff
	v_add3_u32 v1, v6, v1, s7
	s_mov_b64 s[16:17], exec
	v_lshrrev_b32_e32 v1, 20, v1
                                        ; implicit-def: $vgpr7
	s_or_saveexec_b64 s[18:19], s[18:19]
                                        ; implicit-def: $sgpr7
	s_xor_b64 exec, exec, s[18:19]
	s_cbranch_execnz .LBB15_1919
.LBB15_1819:
	s_or_b64 exec, exec, s[18:19]
	v_mov_b32_e32 v8, s7
	s_and_saveexec_b64 s[18:19], s[16:17]
.LBB15_1820:
	v_lshrrev_b32_e32 v7, 24, v6
	s_movk_i32 s7, 0x80
	v_and_or_b32 v8, v7, s7, v1
.LBB15_1821:
	s_or_b64 exec, exec, s[18:19]
.LBB15_1822:
	s_or_b64 exec, exec, s[14:15]
	global_store_byte v[4:5], v8, off
.LBB15_1823:
	s_mov_b64 s[14:15], -1
.LBB15_1824:
	s_mov_b64 s[16:17], 0
.LBB15_1825:
	s_and_b64 vcc, exec, s[16:17]
	s_cbranch_vccz .LBB15_1865
; %bb.1826:
	v_cmp_gt_i16_e64 s[16:17], s20, 22
	s_mov_b64 s[12:13], -1
	s_and_b64 vcc, exec, s[16:17]
	s_cbranch_vccz .LBB15_1858
; %bb.1827:
	v_cmp_lt_i16_e64 s[14:15], s20, 24
	s_and_b64 vcc, exec, s[14:15]
	s_cbranch_vccnz .LBB15_1847
; %bb.1828:
	v_cmp_gt_i16_e64 s[14:15], s20, 24
	s_and_b64 vcc, exec, s[14:15]
	s_cbranch_vccz .LBB15_1836
; %bb.1829:
	v_cndmask_b32_e64 v7, 0, |v3|, s[0:1]
	s_mov_b32 s7, 0x47800000
	v_cmp_gt_u32_e32 vcc, s7, v7
	v_mov_b32_e32 v8, 0x80
	s_and_saveexec_b64 s[12:13], vcc
	s_cbranch_execz .LBB15_1835
; %bb.1830:
	s_mov_b32 s7, 0x37ffffff
	v_cmp_lt_u32_e32 vcc, s7, v7
	s_mov_b64 s[14:15], 0
                                        ; implicit-def: $vgpr1
	s_and_saveexec_b64 s[16:17], vcc
	s_xor_b64 s[16:17], exec, s[16:17]
	s_cbranch_execz .LBB15_1922
; %bb.1831:
	v_bfe_u32 v1, v6, 21, 1
	s_mov_b32 s7, 0x88fffff
	v_add3_u32 v1, v6, v1, s7
	s_mov_b64 s[14:15], exec
	v_lshrrev_b32_e32 v1, 21, v1
                                        ; implicit-def: $vgpr7
	s_or_saveexec_b64 s[16:17], s[16:17]
                                        ; implicit-def: $sgpr7
	s_xor_b64 exec, exec, s[16:17]
	s_cbranch_execnz .LBB15_1923
.LBB15_1832:
	s_or_b64 exec, exec, s[16:17]
	v_mov_b32_e32 v8, s7
	s_and_saveexec_b64 s[16:17], s[14:15]
.LBB15_1833:
	v_lshrrev_b32_e32 v7, 24, v6
	s_movk_i32 s7, 0x80
	v_and_or_b32 v8, v7, s7, v1
.LBB15_1834:
	s_or_b64 exec, exec, s[16:17]
.LBB15_1835:
	s_or_b64 exec, exec, s[12:13]
	s_mov_b64 s[12:13], 0
	global_store_byte v[4:5], v8, off
.LBB15_1836:
	s_and_b64 vcc, exec, s[12:13]
	s_cbranch_vccz .LBB15_1846
; %bb.1837:
	v_cndmask_b32_e64 v7, 0, |v3|, s[0:1]
	s_mov_b32 s7, 0x43f00000
	v_cmp_gt_u32_e32 vcc, s7, v7
                                        ; implicit-def: $vgpr1
	s_and_saveexec_b64 s[12:13], vcc
	s_xor_b64 s[12:13], exec, s[12:13]
	s_cbranch_execz .LBB15_1843
; %bb.1838:
	s_mov_b32 s7, 0x3c7fffff
	v_cmp_lt_u32_e32 vcc, s7, v7
                                        ; implicit-def: $vgpr1
	s_and_saveexec_b64 s[14:15], vcc
	s_xor_b64 s[14:15], exec, s[14:15]
; %bb.1839:
	v_bfe_u32 v1, v6, 20, 1
	s_mov_b32 s7, 0x407ffff
	v_add3_u32 v1, v6, v1, s7
	v_lshrrev_b32_e32 v7, 20, v1
	v_and_b32_e32 v1, 0xff00000, v1
	s_mov_b32 s7, 0x7f00000
	v_mov_b32_e32 v8, 0x7e
	v_cmp_ne_u32_e32 vcc, s7, v1
	v_cndmask_b32_e32 v1, v8, v7, vcc
                                        ; implicit-def: $vgpr7
; %bb.1840:
	s_andn2_saveexec_b64 s[14:15], s[14:15]
; %bb.1841:
	v_add_f32_e32 v1, 0x46800000, v7
; %bb.1842:
	s_or_b64 exec, exec, s[14:15]
                                        ; implicit-def: $vgpr7
.LBB15_1843:
	s_andn2_saveexec_b64 s[12:13], s[12:13]
; %bb.1844:
	s_mov_b32 s7, 0x7f800000
	v_mov_b32_e32 v1, 0x7e
	v_mov_b32_e32 v8, 0x7f
	v_cmp_lt_u32_e32 vcc, s7, v7
	v_cndmask_b32_e32 v1, v1, v8, vcc
; %bb.1845:
	s_or_b64 exec, exec, s[12:13]
	v_lshrrev_b32_e32 v7, 24, v6
	s_movk_i32 s7, 0x80
	v_and_or_b32 v1, v7, s7, v1
	global_store_byte v[4:5], v1, off
.LBB15_1846:
	s_mov_b64 s[12:13], 0
.LBB15_1847:
	s_andn2_b64 vcc, exec, s[12:13]
	s_cbranch_vccnz .LBB15_1857
; %bb.1848:
	v_cndmask_b32_e64 v3, 0, |v3|, s[0:1]
	s_mov_b32 s0, 0x47800000
	v_cmp_gt_u32_e32 vcc, s0, v3
                                        ; implicit-def: $vgpr1
	s_and_saveexec_b64 s[0:1], vcc
	s_xor_b64 s[0:1], exec, s[0:1]
	s_cbranch_execz .LBB15_1854
; %bb.1849:
	s_mov_b32 s7, 0x387fffff
	v_cmp_lt_u32_e32 vcc, s7, v3
                                        ; implicit-def: $vgpr1
	s_and_saveexec_b64 s[12:13], vcc
	s_xor_b64 s[12:13], exec, s[12:13]
; %bb.1850:
	v_bfe_u32 v1, v6, 21, 1
	s_mov_b32 s7, 0x80fffff
	v_add3_u32 v1, v6, v1, s7
	v_lshrrev_b32_e32 v1, 21, v1
                                        ; implicit-def: $vgpr3
; %bb.1851:
	s_andn2_saveexec_b64 s[12:13], s[12:13]
; %bb.1852:
	v_add_f32_e32 v1, 0x43000000, v3
; %bb.1853:
	s_or_b64 exec, exec, s[12:13]
                                        ; implicit-def: $vgpr3
.LBB15_1854:
	s_andn2_saveexec_b64 s[0:1], s[0:1]
; %bb.1855:
	s_mov_b32 s7, 0x7f800000
	v_mov_b32_e32 v1, 0x7c
	v_mov_b32_e32 v7, 0x7f
	v_cmp_lt_u32_e32 vcc, s7, v3
	v_cndmask_b32_e32 v1, v1, v7, vcc
; %bb.1856:
	s_or_b64 exec, exec, s[0:1]
	v_lshrrev_b32_e32 v3, 24, v6
	s_movk_i32 s0, 0x80
	v_and_or_b32 v1, v3, s0, v1
	global_store_byte v[4:5], v1, off
.LBB15_1857:
	s_mov_b64 s[12:13], 0
	s_mov_b64 s[14:15], -1
.LBB15_1858:
	s_andn2_b64 vcc, exec, s[12:13]
	s_mov_b64 s[12:13], 0
	s_cbranch_vccnz .LBB15_1865
; %bb.1859:
	v_cmp_gt_i16_e64 s[12:13], s20, 14
	s_mov_b64 s[0:1], -1
	s_and_b64 vcc, exec, s[12:13]
	s_cbranch_vccz .LBB15_1863
; %bb.1860:
	v_cmp_eq_u16_e64 s[0:1], s20, 15
	s_mov_b64 s[2:3], -1
	s_and_b64 vcc, exec, s[0:1]
	s_cbranch_vccz .LBB15_1862
; %bb.1861:
	v_bfe_u32 v1, v6, 16, 1
	s_movk_i32 s0, 0x7fff
	v_add3_u32 v1, v6, v1, s0
	v_lshrrev_b32_e32 v1, 16, v1
	v_mov_b32_e32 v3, 0x7fc0
	v_cmp_o_f32_e32 vcc, v6, v6
	v_cndmask_b32_e32 v1, v3, v1, vcc
	global_store_short v[4:5], v1, off
	s_mov_b64 s[2:3], 0
	s_mov_b64 s[14:15], -1
.LBB15_1862:
	s_mov_b64 s[0:1], 0
.LBB15_1863:
	s_mov_b64 s[12:13], 0
	s_and_b64 vcc, exec, s[0:1]
	s_cbranch_vccz .LBB15_1865
; %bb.1864:
	v_cmp_ne_u16_e64 s[2:3], s20, 11
	s_mov_b64 s[12:13], -1
.LBB15_1865:
	s_and_b64 vcc, exec, s[2:3]
	s_cbranch_vccnz .LBB15_1921
; %bb.1866:
	s_andn2_b64 vcc, exec, s[12:13]
	s_cbranch_vccnz .LBB15_1868
.LBB15_1867:
	v_cmp_neq_f32_e32 vcc, 0, v6
	v_cndmask_b32_e64 v1, 0, 1, vcc
	s_mov_b64 s[14:15], -1
	global_store_byte v[4:5], v1, off
.LBB15_1868:
	s_mov_b64 s[0:1], 0
.LBB15_1869:
	s_and_b64 vcc, exec, s[0:1]
	s_cbranch_vccz .LBB15_1908
; %bb.1870:
	v_cmp_lt_i16_e64 s[2:3], s20, 5
	s_mov_b64 s[0:1], -1
	s_and_b64 vcc, exec, s[2:3]
	s_cbranch_vccnz .LBB15_1891
; %bb.1871:
	v_cmp_lt_i16_e64 s[2:3], s20, 8
	s_and_b64 vcc, exec, s[2:3]
	s_cbranch_vccnz .LBB15_1881
; %bb.1872:
	v_cmp_lt_i16_e64 s[2:3], s20, 9
	s_and_b64 vcc, exec, s[2:3]
	s_cbranch_vccnz .LBB15_1878
; %bb.1873:
	v_cmp_gt_i16_e64 s[2:3], s20, 9
	s_and_b64 vcc, exec, s[2:3]
	s_cbranch_vccz .LBB15_1875
; %bb.1874:
	v_mov_b32_e32 v16, 0
	v_cvt_f64_f32_e32 v[14:15], v6
	v_mov_b32_e32 v17, v16
	global_store_dwordx4 v[4:5], v[14:17], off
	s_mov_b64 s[0:1], 0
.LBB15_1875:
	s_andn2_b64 vcc, exec, s[0:1]
	s_cbranch_vccnz .LBB15_1877
; %bb.1876:
	v_mov_b32_e32 v7, 0
	global_store_dwordx2 v[4:5], v[6:7], off
.LBB15_1877:
	s_mov_b64 s[0:1], 0
.LBB15_1878:
	s_andn2_b64 vcc, exec, s[0:1]
	s_cbranch_vccnz .LBB15_1880
; %bb.1879:
	v_cvt_f16_f32_e32 v1, v6
	global_store_dword v[4:5], v1, off
.LBB15_1880:
	s_mov_b64 s[0:1], 0
.LBB15_1881:
	s_andn2_b64 vcc, exec, s[0:1]
	s_cbranch_vccnz .LBB15_1890
; %bb.1882:
	v_cmp_lt_i16_e64 s[2:3], s20, 6
	s_mov_b64 s[0:1], -1
	s_and_b64 vcc, exec, s[2:3]
	s_cbranch_vccnz .LBB15_1888
; %bb.1883:
	v_cmp_gt_i16_e64 s[2:3], s20, 6
	s_and_b64 vcc, exec, s[2:3]
	s_cbranch_vccz .LBB15_1885
; %bb.1884:
	v_cvt_f64_f32_e32 v[8:9], v6
	global_store_dwordx2 v[4:5], v[8:9], off
	s_mov_b64 s[0:1], 0
.LBB15_1885:
	s_andn2_b64 vcc, exec, s[0:1]
	s_cbranch_vccnz .LBB15_1887
; %bb.1886:
	global_store_dword v[4:5], v6, off
.LBB15_1887:
	s_mov_b64 s[0:1], 0
.LBB15_1888:
	s_andn2_b64 vcc, exec, s[0:1]
	s_cbranch_vccnz .LBB15_1890
; %bb.1889:
	v_cvt_f16_f32_e32 v1, v6
	global_store_short v[4:5], v1, off
.LBB15_1890:
	s_mov_b64 s[0:1], 0
.LBB15_1891:
	s_andn2_b64 vcc, exec, s[0:1]
	s_cbranch_vccnz .LBB15_1907
; %bb.1892:
	v_cmp_lt_i16_e64 s[2:3], s20, 2
	s_mov_b64 s[0:1], -1
	s_and_b64 vcc, exec, s[2:3]
	s_cbranch_vccnz .LBB15_1902
; %bb.1893:
	v_cmp_lt_i16_e64 s[2:3], s20, 3
	s_and_b64 vcc, exec, s[2:3]
	s_cbranch_vccnz .LBB15_1899
; %bb.1894:
	v_cmp_gt_i16_e64 s[2:3], s20, 3
	s_and_b64 vcc, exec, s[2:3]
	s_cbranch_vccz .LBB15_1896
; %bb.1895:
	v_trunc_f32_e32 v1, v6
	s_mov_b32 s0, 0x2f800000
	v_mul_f32_e64 v3, |v1|, s0
	v_floor_f32_e32 v3, v3
	s_mov_b32 s0, 0xcf800000
	v_cvt_u32_f32_e32 v7, v3
	v_fma_f32 v3, v3, s0, |v1|
	v_cvt_u32_f32_e32 v3, v3
	v_ashrrev_i32_e32 v1, 31, v1
	v_xor_b32_e32 v7, v7, v1
	s_mov_b64 s[0:1], 0
	v_xor_b32_e32 v3, v3, v1
	v_sub_co_u32_e32 v8, vcc, v3, v1
	v_subb_co_u32_e32 v9, vcc, v7, v1, vcc
	global_store_dwordx2 v[4:5], v[8:9], off
.LBB15_1896:
	s_andn2_b64 vcc, exec, s[0:1]
	s_cbranch_vccnz .LBB15_1898
; %bb.1897:
	v_cvt_i32_f32_e32 v1, v6
	global_store_dword v[4:5], v1, off
.LBB15_1898:
	s_mov_b64 s[0:1], 0
.LBB15_1899:
	s_andn2_b64 vcc, exec, s[0:1]
	s_cbranch_vccnz .LBB15_1901
; %bb.1900:
	v_cvt_i32_f32_e32 v1, v6
	global_store_short v[4:5], v1, off
.LBB15_1901:
	s_mov_b64 s[0:1], 0
.LBB15_1902:
	s_andn2_b64 vcc, exec, s[0:1]
	s_cbranch_vccnz .LBB15_1907
; %bb.1903:
	v_cmp_gt_i16_e64 s[2:3], s20, 0
	s_mov_b64 s[0:1], -1
	s_and_b64 vcc, exec, s[2:3]
	s_cbranch_vccz .LBB15_1905
; %bb.1904:
	v_cvt_i32_f32_e32 v1, v6
	s_mov_b64 s[0:1], 0
	global_store_byte v[4:5], v1, off
.LBB15_1905:
	s_andn2_b64 vcc, exec, s[0:1]
	s_cbranch_vccnz .LBB15_1907
; %bb.1906:
	v_trunc_f32_e32 v1, v6
	s_mov_b32 s0, 0x2f800000
	v_mul_f32_e64 v3, |v1|, s0
	v_floor_f32_e32 v3, v3
	s_mov_b32 s0, 0xcf800000
	v_fma_f32 v3, v3, s0, |v1|
	v_cvt_u32_f32_e32 v3, v3
	v_ashrrev_i32_e32 v1, 31, v1
	v_xor_b32_e32 v3, v3, v1
	v_sub_u32_e32 v1, v3, v1
	global_store_byte v[4:5], v1, off
.LBB15_1907:
	s_mov_b64 s[14:15], -1
.LBB15_1908:
	s_andn2_b64 vcc, exec, s[14:15]
	s_cbranch_vccnz .LBB15_2044
; %bb.1909:
	v_cmp_nge_f32_e64 s[0:1], v12, -s6
	v_cmp_nge_f32_e32 vcc, s6, v12
	s_or_b64 s[0:1], s[0:1], vcc
	v_mov_b32_e32 v1, s9
	v_add_co_u32_e32 v2, vcc, s8, v2
	v_addc_co_u32_e32 v3, vcc, 0, v1, vcc
	v_cndmask_b32_e64 v4, 0, v12, s[0:1]
	s_and_b64 vcc, exec, s[10:11]
	s_cbranch_vccnz .LBB15_1916
; %bb.1910:
	v_cmp_gt_i16_e64 s[2:3], s20, 25
	s_mov_b64 s[16:17], -1
	s_mov_b64 s[12:13], 0
	s_and_b64 vcc, exec, s[2:3]
	s_mov_b64 s[14:15], 0
	s_mov_b64 s[2:3], 0
	s_cbranch_vccz .LBB15_1952
; %bb.1911:
	v_cmp_gt_i16_e64 s[2:3], s20, 28
	s_and_b64 vcc, exec, s[2:3]
	s_cbranch_vccz .LBB15_1917
; %bb.1912:
	v_cmp_gt_i16_e64 s[2:3], s20, 43
	s_and_b64 vcc, exec, s[2:3]
	;; [unrolled: 4-line block ×3, first 2 shown]
	s_cbranch_vccz .LBB15_1924
; %bb.1914:
	v_cmp_eq_u16_e64 s[14:15], s20, 46
	s_mov_b64 s[2:3], -1
	s_mov_b64 s[16:17], 0
	s_and_b64 vcc, exec, s[14:15]
	s_mov_b64 s[14:15], 0
	s_cbranch_vccz .LBB15_1925
; %bb.1915:
	v_bfe_u32 v1, v4, 16, 1
	s_movk_i32 s2, 0x7fff
	v_add3_u32 v1, v4, v1, s2
	v_lshrrev_b32_e32 v1, 16, v1
	v_mov_b32_e32 v5, 0x7fc0
	v_cmp_o_f32_e32 vcc, v4, v4
	v_cndmask_b32_e32 v1, v5, v1, vcc
	global_store_dword v[2:3], v1, off
	s_mov_b64 s[2:3], 0
	s_mov_b64 s[14:15], -1
	s_branch .LBB15_1925
.LBB15_1916:
	s_mov_b64 s[0:1], -1
	s_mov_b64 s[14:15], 0
	s_branch .LBB15_1996
.LBB15_1917:
	s_mov_b64 s[2:3], 0
	s_branch .LBB15_1935
.LBB15_1918:
	s_or_saveexec_b64 s[18:19], s[18:19]
                                        ; implicit-def: $sgpr7
	s_xor_b64 exec, exec, s[18:19]
	s_cbranch_execz .LBB15_1819
.LBB15_1919:
	v_add_f32_e32 v1, 0x46000000, v7
	v_and_b32_e32 v1, 0xff, v1
	v_cmp_ne_u32_e32 vcc, 0, v1
	s_andn2_b64 s[16:17], s[16:17], exec
	s_and_b64 s[22:23], vcc, exec
	s_mov_b32 s7, 0
	s_or_b64 s[16:17], s[16:17], s[22:23]
	s_or_b64 exec, exec, s[18:19]
	v_mov_b32_e32 v8, s7
	s_and_saveexec_b64 s[18:19], s[16:17]
	s_cbranch_execnz .LBB15_1820
	s_branch .LBB15_1821
.LBB15_1920:
	s_mov_b64 s[2:3], 0
	s_branch .LBB15_1931
.LBB15_1921:
	s_trap 2
	s_or_b64 s[4:5], s[4:5], exec
	s_cbranch_execz .LBB15_1867
	s_branch .LBB15_1868
.LBB15_1922:
	s_or_saveexec_b64 s[16:17], s[16:17]
                                        ; implicit-def: $sgpr7
	s_xor_b64 exec, exec, s[16:17]
	s_cbranch_execz .LBB15_1832
.LBB15_1923:
	v_add_f32_e32 v1, 0x42800000, v7
	v_and_b32_e32 v1, 0xff, v1
	v_cmp_ne_u32_e32 vcc, 0, v1
	s_andn2_b64 s[14:15], s[14:15], exec
	s_and_b64 s[18:19], vcc, exec
	s_mov_b32 s7, 0
	s_or_b64 s[14:15], s[14:15], s[18:19]
	s_or_b64 exec, exec, s[16:17]
	v_mov_b32_e32 v8, s7
	s_and_saveexec_b64 s[16:17], s[14:15]
	s_cbranch_execnz .LBB15_1833
	s_branch .LBB15_1834
.LBB15_1924:
	s_mov_b64 s[2:3], 0
.LBB15_1925:
	s_and_b64 vcc, exec, s[16:17]
	s_cbranch_vccz .LBB15_1930
; %bb.1926:
	v_cmp_eq_u16_e64 s[16:17], s20, 44
	s_mov_b64 s[2:3], -1
	s_and_b64 vcc, exec, s[16:17]
	s_cbranch_vccz .LBB15_1930
; %bb.1927:
	v_bfe_u32 v1, v4, 23, 8
	s_movk_i32 s2, 0xff
	v_cmp_ne_u32_e32 vcc, s2, v1
	v_mov_b32_e32 v5, 0xff
	s_and_saveexec_b64 s[14:15], vcc
; %bb.1928:
	s_mov_b32 s2, 0x3fffff
	v_and_b32_e32 v6, 0x400000, v4
	v_and_or_b32 v1, v4, s2, v1
	v_cmp_ne_u32_e32 vcc, 0, v6
	v_cmp_ne_u32_e64 s[2:3], 0, v1
	s_and_b64 s[2:3], vcc, s[2:3]
	v_lshrrev_b32_e32 v5, 23, v4
	v_cndmask_b32_e64 v1, 0, 1, s[2:3]
	v_add_u32_e32 v5, v5, v1
; %bb.1929:
	s_or_b64 exec, exec, s[14:15]
	s_mov_b64 s[2:3], 0
	s_mov_b64 s[14:15], -1
	global_store_byte v[2:3], v5, off
.LBB15_1930:
	s_mov_b64 s[16:17], 0
.LBB15_1931:
	s_and_b64 vcc, exec, s[16:17]
	s_cbranch_vccz .LBB15_1934
; %bb.1932:
	v_cmp_eq_u16_e64 s[16:17], s20, 29
	s_mov_b64 s[2:3], -1
	s_and_b64 vcc, exec, s[16:17]
	s_cbranch_vccz .LBB15_1934
; %bb.1933:
	v_trunc_f32_e32 v1, v4
	v_mul_f32_e32 v5, 0x2f800000, v1
	v_floor_f32_e32 v5, v5
	v_fmac_f32_e32 v1, 0xcf800000, v5
	v_cvt_u32_f32_e32 v7, v5
	v_cvt_u32_f32_e32 v6, v1
	s_mov_b64 s[2:3], 0
	s_mov_b64 s[14:15], -1
	s_mov_b64 s[16:17], 0
	global_store_dwordx2 v[2:3], v[6:7], off
	s_branch .LBB15_1935
.LBB15_1934:
	s_mov_b64 s[16:17], 0
.LBB15_1935:
	s_and_b64 vcc, exec, s[16:17]
	s_cbranch_vccz .LBB15_1951
; %bb.1936:
	v_cmp_lt_i16_e64 s[16:17], s20, 27
	s_mov_b64 s[14:15], -1
	s_and_b64 vcc, exec, s[16:17]
	s_cbranch_vccnz .LBB15_1942
; %bb.1937:
	v_cvt_u32_f32_e32 v1, v4
	v_cmp_gt_i16_e64 s[16:17], s20, 27
	s_and_b64 vcc, exec, s[16:17]
	s_cbranch_vccz .LBB15_1939
; %bb.1938:
	s_mov_b64 s[14:15], 0
	global_store_dword v[2:3], v1, off
.LBB15_1939:
	s_andn2_b64 vcc, exec, s[14:15]
	s_cbranch_vccnz .LBB15_1941
; %bb.1940:
	global_store_short v[2:3], v1, off
.LBB15_1941:
	s_mov_b64 s[14:15], 0
.LBB15_1942:
	s_andn2_b64 vcc, exec, s[14:15]
	s_cbranch_vccnz .LBB15_1950
; %bb.1943:
	v_cndmask_b32_e64 v5, 0, |v12|, s[0:1]
	s_mov_b32 s7, 0x43800000
	v_cmp_gt_u32_e32 vcc, s7, v5
	v_mov_b32_e32 v6, 0x80
	s_and_saveexec_b64 s[14:15], vcc
	s_cbranch_execz .LBB15_1949
; %bb.1944:
	s_mov_b32 s7, 0x3bffffff
	v_cmp_lt_u32_e32 vcc, s7, v5
	s_mov_b64 s[16:17], 0
                                        ; implicit-def: $vgpr1
	s_and_saveexec_b64 s[18:19], vcc
	s_xor_b64 s[18:19], exec, s[18:19]
	s_cbranch_execz .LBB15_2091
; %bb.1945:
	v_bfe_u32 v1, v4, 20, 1
	s_mov_b32 s7, 0x487ffff
	v_add3_u32 v1, v4, v1, s7
	s_mov_b64 s[16:17], exec
	v_lshrrev_b32_e32 v1, 20, v1
                                        ; implicit-def: $vgpr5
	s_or_saveexec_b64 s[18:19], s[18:19]
                                        ; implicit-def: $sgpr7
	s_xor_b64 exec, exec, s[18:19]
	s_cbranch_execnz .LBB15_2092
.LBB15_1946:
	s_or_b64 exec, exec, s[18:19]
	v_mov_b32_e32 v6, s7
	s_and_saveexec_b64 s[18:19], s[16:17]
.LBB15_1947:
	v_lshrrev_b32_e32 v5, 24, v4
	s_movk_i32 s7, 0x80
	v_and_or_b32 v6, v5, s7, v1
.LBB15_1948:
	s_or_b64 exec, exec, s[18:19]
.LBB15_1949:
	s_or_b64 exec, exec, s[14:15]
	global_store_byte v[2:3], v6, off
.LBB15_1950:
	s_mov_b64 s[14:15], -1
.LBB15_1951:
	s_mov_b64 s[16:17], 0
.LBB15_1952:
	s_and_b64 vcc, exec, s[16:17]
	s_cbranch_vccz .LBB15_1992
; %bb.1953:
	v_cmp_gt_i16_e64 s[16:17], s20, 22
	s_mov_b64 s[12:13], -1
	s_and_b64 vcc, exec, s[16:17]
	s_cbranch_vccz .LBB15_1985
; %bb.1954:
	v_cmp_lt_i16_e64 s[14:15], s20, 24
	s_and_b64 vcc, exec, s[14:15]
	s_cbranch_vccnz .LBB15_1974
; %bb.1955:
	v_cmp_gt_i16_e64 s[14:15], s20, 24
	s_and_b64 vcc, exec, s[14:15]
	s_cbranch_vccz .LBB15_1963
; %bb.1956:
	v_cndmask_b32_e64 v5, 0, |v12|, s[0:1]
	s_mov_b32 s7, 0x47800000
	v_cmp_gt_u32_e32 vcc, s7, v5
	v_mov_b32_e32 v6, 0x80
	s_and_saveexec_b64 s[12:13], vcc
	s_cbranch_execz .LBB15_1962
; %bb.1957:
	s_mov_b32 s7, 0x37ffffff
	v_cmp_lt_u32_e32 vcc, s7, v5
	s_mov_b64 s[14:15], 0
                                        ; implicit-def: $vgpr1
	s_and_saveexec_b64 s[16:17], vcc
	s_xor_b64 s[16:17], exec, s[16:17]
	s_cbranch_execz .LBB15_2095
; %bb.1958:
	v_bfe_u32 v1, v4, 21, 1
	s_mov_b32 s7, 0x88fffff
	v_add3_u32 v1, v4, v1, s7
	s_mov_b64 s[14:15], exec
	v_lshrrev_b32_e32 v1, 21, v1
                                        ; implicit-def: $vgpr5
	s_or_saveexec_b64 s[16:17], s[16:17]
                                        ; implicit-def: $sgpr7
	s_xor_b64 exec, exec, s[16:17]
	s_cbranch_execnz .LBB15_2096
.LBB15_1959:
	s_or_b64 exec, exec, s[16:17]
	v_mov_b32_e32 v6, s7
	s_and_saveexec_b64 s[16:17], s[14:15]
.LBB15_1960:
	v_lshrrev_b32_e32 v5, 24, v4
	s_movk_i32 s7, 0x80
	v_and_or_b32 v6, v5, s7, v1
.LBB15_1961:
	s_or_b64 exec, exec, s[16:17]
.LBB15_1962:
	s_or_b64 exec, exec, s[12:13]
	s_mov_b64 s[12:13], 0
	global_store_byte v[2:3], v6, off
.LBB15_1963:
	s_and_b64 vcc, exec, s[12:13]
	s_cbranch_vccz .LBB15_1973
; %bb.1964:
	v_cndmask_b32_e64 v5, 0, |v12|, s[0:1]
	s_mov_b32 s7, 0x43f00000
	v_cmp_gt_u32_e32 vcc, s7, v5
                                        ; implicit-def: $vgpr1
	s_and_saveexec_b64 s[12:13], vcc
	s_xor_b64 s[12:13], exec, s[12:13]
	s_cbranch_execz .LBB15_1970
; %bb.1965:
	s_mov_b32 s7, 0x3c7fffff
	v_cmp_lt_u32_e32 vcc, s7, v5
                                        ; implicit-def: $vgpr1
	s_and_saveexec_b64 s[14:15], vcc
	s_xor_b64 s[14:15], exec, s[14:15]
; %bb.1966:
	v_bfe_u32 v1, v4, 20, 1
	s_mov_b32 s7, 0x407ffff
	v_add3_u32 v1, v4, v1, s7
	v_lshrrev_b32_e32 v5, 20, v1
	v_and_b32_e32 v1, 0xff00000, v1
	s_mov_b32 s7, 0x7f00000
	v_mov_b32_e32 v6, 0x7e
	v_cmp_ne_u32_e32 vcc, s7, v1
	v_cndmask_b32_e32 v1, v6, v5, vcc
                                        ; implicit-def: $vgpr5
; %bb.1967:
	s_andn2_saveexec_b64 s[14:15], s[14:15]
; %bb.1968:
	v_add_f32_e32 v1, 0x46800000, v5
; %bb.1969:
	s_or_b64 exec, exec, s[14:15]
                                        ; implicit-def: $vgpr5
.LBB15_1970:
	s_andn2_saveexec_b64 s[12:13], s[12:13]
; %bb.1971:
	s_mov_b32 s7, 0x7f800000
	v_mov_b32_e32 v1, 0x7e
	v_mov_b32_e32 v6, 0x7f
	v_cmp_lt_u32_e32 vcc, s7, v5
	v_cndmask_b32_e32 v1, v1, v6, vcc
; %bb.1972:
	s_or_b64 exec, exec, s[12:13]
	v_lshrrev_b32_e32 v5, 24, v4
	s_movk_i32 s7, 0x80
	v_and_or_b32 v1, v5, s7, v1
	global_store_byte v[2:3], v1, off
.LBB15_1973:
	s_mov_b64 s[12:13], 0
.LBB15_1974:
	s_andn2_b64 vcc, exec, s[12:13]
	s_cbranch_vccnz .LBB15_1984
; %bb.1975:
	v_cndmask_b32_e64 v5, 0, |v12|, s[0:1]
	s_mov_b32 s0, 0x47800000
	v_cmp_gt_u32_e32 vcc, s0, v5
                                        ; implicit-def: $vgpr1
	s_and_saveexec_b64 s[0:1], vcc
	s_xor_b64 s[0:1], exec, s[0:1]
	s_cbranch_execz .LBB15_1981
; %bb.1976:
	s_mov_b32 s7, 0x387fffff
	v_cmp_lt_u32_e32 vcc, s7, v5
                                        ; implicit-def: $vgpr1
	s_and_saveexec_b64 s[12:13], vcc
	s_xor_b64 s[12:13], exec, s[12:13]
; %bb.1977:
	v_bfe_u32 v1, v4, 21, 1
	s_mov_b32 s7, 0x80fffff
	v_add3_u32 v1, v4, v1, s7
	v_lshrrev_b32_e32 v1, 21, v1
                                        ; implicit-def: $vgpr5
; %bb.1978:
	s_andn2_saveexec_b64 s[12:13], s[12:13]
; %bb.1979:
	v_add_f32_e32 v1, 0x43000000, v5
; %bb.1980:
	s_or_b64 exec, exec, s[12:13]
                                        ; implicit-def: $vgpr5
.LBB15_1981:
	s_andn2_saveexec_b64 s[0:1], s[0:1]
; %bb.1982:
	s_mov_b32 s7, 0x7f800000
	v_mov_b32_e32 v1, 0x7c
	v_mov_b32_e32 v6, 0x7f
	v_cmp_lt_u32_e32 vcc, s7, v5
	v_cndmask_b32_e32 v1, v1, v6, vcc
; %bb.1983:
	s_or_b64 exec, exec, s[0:1]
	v_lshrrev_b32_e32 v5, 24, v4
	s_movk_i32 s0, 0x80
	v_and_or_b32 v1, v5, s0, v1
	global_store_byte v[2:3], v1, off
.LBB15_1984:
	s_mov_b64 s[12:13], 0
	s_mov_b64 s[14:15], -1
.LBB15_1985:
	s_andn2_b64 vcc, exec, s[12:13]
	s_mov_b64 s[12:13], 0
	s_cbranch_vccnz .LBB15_1992
; %bb.1986:
	v_cmp_gt_i16_e64 s[12:13], s20, 14
	s_mov_b64 s[0:1], -1
	s_and_b64 vcc, exec, s[12:13]
	s_cbranch_vccz .LBB15_1990
; %bb.1987:
	v_cmp_eq_u16_e64 s[0:1], s20, 15
	s_mov_b64 s[2:3], -1
	s_and_b64 vcc, exec, s[0:1]
	s_cbranch_vccz .LBB15_1989
; %bb.1988:
	v_bfe_u32 v1, v4, 16, 1
	s_movk_i32 s0, 0x7fff
	v_add3_u32 v1, v4, v1, s0
	v_lshrrev_b32_e32 v1, 16, v1
	v_mov_b32_e32 v5, 0x7fc0
	v_cmp_o_f32_e32 vcc, v4, v4
	v_cndmask_b32_e32 v1, v5, v1, vcc
	global_store_short v[2:3], v1, off
	s_mov_b64 s[2:3], 0
	s_mov_b64 s[14:15], -1
.LBB15_1989:
	s_mov_b64 s[0:1], 0
.LBB15_1990:
	s_mov_b64 s[12:13], 0
	s_and_b64 vcc, exec, s[0:1]
	s_cbranch_vccz .LBB15_1992
; %bb.1991:
	v_cmp_ne_u16_e64 s[2:3], s20, 11
	s_mov_b64 s[12:13], -1
.LBB15_1992:
	s_and_b64 vcc, exec, s[2:3]
	s_cbranch_vccnz .LBB15_2094
; %bb.1993:
	s_andn2_b64 vcc, exec, s[12:13]
	s_cbranch_vccnz .LBB15_1995
.LBB15_1994:
	v_cmp_neq_f32_e32 vcc, 0, v4
	v_cndmask_b32_e64 v1, 0, 1, vcc
	s_mov_b64 s[14:15], -1
	global_store_byte v[2:3], v1, off
.LBB15_1995:
	s_mov_b64 s[0:1], 0
.LBB15_1996:
	s_and_b64 vcc, exec, s[0:1]
	s_cbranch_vccz .LBB15_2035
; %bb.1997:
	v_cmp_lt_i16_e64 s[2:3], s20, 5
	s_mov_b64 s[0:1], -1
	s_and_b64 vcc, exec, s[2:3]
	s_cbranch_vccnz .LBB15_2018
; %bb.1998:
	v_cmp_lt_i16_e64 s[2:3], s20, 8
	s_and_b64 vcc, exec, s[2:3]
	s_cbranch_vccnz .LBB15_2008
; %bb.1999:
	v_cmp_lt_i16_e64 s[2:3], s20, 9
	s_and_b64 vcc, exec, s[2:3]
	s_cbranch_vccnz .LBB15_2005
; %bb.2000:
	v_cmp_gt_i16_e64 s[2:3], s20, 9
	s_and_b64 vcc, exec, s[2:3]
	s_cbranch_vccz .LBB15_2002
; %bb.2001:
	v_mov_b32_e32 v8, 0
	v_cvt_f64_f32_e32 v[6:7], v4
	v_mov_b32_e32 v9, v8
	global_store_dwordx4 v[2:3], v[6:9], off
	s_mov_b64 s[0:1], 0
.LBB15_2002:
	s_andn2_b64 vcc, exec, s[0:1]
	s_cbranch_vccnz .LBB15_2004
; %bb.2003:
	v_mov_b32_e32 v5, 0
	global_store_dwordx2 v[2:3], v[4:5], off
.LBB15_2004:
	s_mov_b64 s[0:1], 0
.LBB15_2005:
	s_andn2_b64 vcc, exec, s[0:1]
	s_cbranch_vccnz .LBB15_2007
; %bb.2006:
	v_cvt_f16_f32_e32 v1, v4
	global_store_dword v[2:3], v1, off
.LBB15_2007:
	s_mov_b64 s[0:1], 0
.LBB15_2008:
	s_andn2_b64 vcc, exec, s[0:1]
	s_cbranch_vccnz .LBB15_2017
; %bb.2009:
	v_cmp_lt_i16_e64 s[2:3], s20, 6
	s_mov_b64 s[0:1], -1
	s_and_b64 vcc, exec, s[2:3]
	s_cbranch_vccnz .LBB15_2015
; %bb.2010:
	v_cmp_gt_i16_e64 s[2:3], s20, 6
	s_and_b64 vcc, exec, s[2:3]
	s_cbranch_vccz .LBB15_2012
; %bb.2011:
	v_cvt_f64_f32_e32 v[6:7], v4
	global_store_dwordx2 v[2:3], v[6:7], off
	s_mov_b64 s[0:1], 0
.LBB15_2012:
	s_andn2_b64 vcc, exec, s[0:1]
	s_cbranch_vccnz .LBB15_2014
; %bb.2013:
	global_store_dword v[2:3], v4, off
.LBB15_2014:
	s_mov_b64 s[0:1], 0
.LBB15_2015:
	s_andn2_b64 vcc, exec, s[0:1]
	s_cbranch_vccnz .LBB15_2017
; %bb.2016:
	v_cvt_f16_f32_e32 v1, v4
	global_store_short v[2:3], v1, off
.LBB15_2017:
	s_mov_b64 s[0:1], 0
.LBB15_2018:
	s_andn2_b64 vcc, exec, s[0:1]
	s_cbranch_vccnz .LBB15_2034
; %bb.2019:
	v_cmp_lt_i16_e64 s[2:3], s20, 2
	s_mov_b64 s[0:1], -1
	s_and_b64 vcc, exec, s[2:3]
	s_cbranch_vccnz .LBB15_2029
; %bb.2020:
	v_cmp_lt_i16_e64 s[2:3], s20, 3
	s_and_b64 vcc, exec, s[2:3]
	s_cbranch_vccnz .LBB15_2026
; %bb.2021:
	v_cmp_gt_i16_e64 s[2:3], s20, 3
	s_and_b64 vcc, exec, s[2:3]
	s_cbranch_vccz .LBB15_2023
; %bb.2022:
	v_trunc_f32_e32 v1, v4
	s_mov_b32 s0, 0x2f800000
	v_mul_f32_e64 v5, |v1|, s0
	v_floor_f32_e32 v5, v5
	s_mov_b32 s0, 0xcf800000
	v_cvt_u32_f32_e32 v6, v5
	v_fma_f32 v5, v5, s0, |v1|
	v_cvt_u32_f32_e32 v5, v5
	v_ashrrev_i32_e32 v1, 31, v1
	v_xor_b32_e32 v7, v6, v1
	s_mov_b64 s[0:1], 0
	v_xor_b32_e32 v5, v5, v1
	v_sub_co_u32_e32 v6, vcc, v5, v1
	v_subb_co_u32_e32 v7, vcc, v7, v1, vcc
	global_store_dwordx2 v[2:3], v[6:7], off
.LBB15_2023:
	s_andn2_b64 vcc, exec, s[0:1]
	s_cbranch_vccnz .LBB15_2025
; %bb.2024:
	v_cvt_i32_f32_e32 v1, v4
	global_store_dword v[2:3], v1, off
.LBB15_2025:
	s_mov_b64 s[0:1], 0
.LBB15_2026:
	s_andn2_b64 vcc, exec, s[0:1]
	s_cbranch_vccnz .LBB15_2028
; %bb.2027:
	v_cvt_i32_f32_e32 v1, v4
	global_store_short v[2:3], v1, off
.LBB15_2028:
	s_mov_b64 s[0:1], 0
.LBB15_2029:
	s_andn2_b64 vcc, exec, s[0:1]
	s_cbranch_vccnz .LBB15_2034
; %bb.2030:
	v_cmp_gt_i16_e64 s[2:3], s20, 0
	s_mov_b64 s[0:1], -1
	s_and_b64 vcc, exec, s[2:3]
	s_cbranch_vccz .LBB15_2032
; %bb.2031:
	v_cvt_i32_f32_e32 v1, v4
	s_mov_b64 s[0:1], 0
	global_store_byte v[2:3], v1, off
.LBB15_2032:
	s_andn2_b64 vcc, exec, s[0:1]
	s_cbranch_vccnz .LBB15_2034
; %bb.2033:
	v_trunc_f32_e32 v1, v4
	s_mov_b32 s0, 0x2f800000
	v_mul_f32_e64 v4, |v1|, s0
	v_floor_f32_e32 v4, v4
	s_mov_b32 s0, 0xcf800000
	v_fma_f32 v4, v4, s0, |v1|
	v_cvt_u32_f32_e32 v4, v4
	v_ashrrev_i32_e32 v1, 31, v1
	v_xor_b32_e32 v4, v4, v1
	v_sub_u32_e32 v1, v4, v1
	global_store_byte v[2:3], v1, off
.LBB15_2034:
	s_mov_b64 s[14:15], -1
.LBB15_2035:
	s_andn2_b64 vcc, exec, s[14:15]
	s_cbranch_vccnz .LBB15_2044
; %bb.2036:
	v_cmp_nge_f32_e64 s[0:1], v10, -s6
	v_cmp_nge_f32_e32 vcc, s6, v10
	s_or_b64 s[0:1], s[0:1], vcc
	v_mov_b32_e32 v1, s9
	v_add_co_u32_e32 v0, vcc, s8, v0
	v_addc_co_u32_e32 v1, vcc, 0, v1, vcc
	v_cndmask_b32_e64 v2, 0, v10, s[0:1]
	s_and_b64 vcc, exec, s[10:11]
	s_cbranch_vccnz .LBB15_2089
; %bb.2037:
	v_cmp_gt_i16_e64 s[2:3], s20, 25
	s_mov_b64 s[8:9], -1
	s_mov_b64 s[6:7], 0
	s_and_b64 vcc, exec, s[2:3]
	s_mov_b64 s[2:3], 0
	s_cbranch_vccz .LBB15_2124
; %bb.2038:
	v_cmp_gt_i16_e64 s[2:3], s20, 28
	s_and_b64 vcc, exec, s[2:3]
	s_cbranch_vccz .LBB15_2090
; %bb.2039:
	v_cmp_gt_i16_e64 s[2:3], s20, 43
	s_and_b64 vcc, exec, s[2:3]
	s_cbranch_vccz .LBB15_2093
; %bb.2040:
	v_cmp_gt_i16_e64 s[2:3], s20, 45
	s_and_b64 vcc, exec, s[2:3]
	s_cbranch_vccz .LBB15_2097
; %bb.2041:
	v_cmp_eq_u16_e64 s[8:9], s20, 46
	s_mov_b64 s[2:3], -1
	s_and_b64 vcc, exec, s[8:9]
	s_cbranch_vccz .LBB15_2043
; %bb.2042:
	v_bfe_u32 v3, v2, 16, 1
	s_movk_i32 s2, 0x7fff
	v_add3_u32 v3, v2, v3, s2
	v_lshrrev_b32_e32 v3, 16, v3
	v_mov_b32_e32 v4, 0x7fc0
	v_cmp_o_f32_e32 vcc, v2, v2
	v_cndmask_b32_e32 v3, v4, v3, vcc
	global_store_dword v[0:1], v3, off
	s_mov_b64 s[2:3], 0
.LBB15_2043:
	s_mov_b64 s[8:9], 0
	s_branch .LBB15_2098
.LBB15_2044:
	s_mov_b64 s[0:1], 0
	s_mov_b64 s[6:7], 0
                                        ; implicit-def: $vgpr0_vgpr1
                                        ; implicit-def: $sgpr20
                                        ; implicit-def: $vgpr2
.LBB15_2045:
	s_andn2_b64 s[2:3], s[28:29], exec
	s_and_b64 s[4:5], s[4:5], exec
	s_and_b64 s[0:1], s[0:1], exec
	;; [unrolled: 1-line block ×3, first 2 shown]
	s_or_b64 s[28:29], s[2:3], s[4:5]
.LBB15_2046:
	s_or_b64 exec, exec, s[30:31]
	s_and_saveexec_b64 s[2:3], s[28:29]
	s_cbranch_execz .LBB15_2049
; %bb.2047:
	; divergent unreachable
	s_or_b64 exec, exec, s[2:3]
	s_and_saveexec_b64 s[2:3], s[6:7]
	s_xor_b64 s[2:3], exec, s[2:3]
	s_cbranch_execnz .LBB15_2050
.LBB15_2048:
	s_or_b64 exec, exec, s[2:3]
	s_and_saveexec_b64 s[2:3], s[0:1]
	s_cbranch_execnz .LBB15_2051
	s_branch .LBB15_2088
.LBB15_2049:
	s_or_b64 exec, exec, s[2:3]
	s_and_saveexec_b64 s[2:3], s[6:7]
	s_xor_b64 s[2:3], exec, s[2:3]
	s_cbranch_execz .LBB15_2048
.LBB15_2050:
	v_cmp_neq_f32_e32 vcc, 0, v2
	s_waitcnt vmcnt(0)
	v_cndmask_b32_e64 v3, 0, 1, vcc
	global_store_byte v[0:1], v3, off
	s_or_b64 exec, exec, s[2:3]
	s_and_saveexec_b64 s[2:3], s[0:1]
	s_cbranch_execz .LBB15_2088
.LBB15_2051:
	v_cmp_lt_i16_e64 s[2:3], s20, 5
	s_mov_b64 s[0:1], -1
	s_and_b64 vcc, exec, s[2:3]
	s_cbranch_vccnz .LBB15_2072
; %bb.2052:
	v_cmp_lt_i16_e64 s[2:3], s20, 8
	s_and_b64 vcc, exec, s[2:3]
	s_cbranch_vccnz .LBB15_2062
; %bb.2053:
	v_cmp_lt_i16_e64 s[2:3], s20, 9
	s_and_b64 vcc, exec, s[2:3]
	s_cbranch_vccnz .LBB15_2059
; %bb.2054:
	v_cmp_gt_i16_e64 s[2:3], s20, 9
	s_and_b64 vcc, exec, s[2:3]
	s_cbranch_vccz .LBB15_2056
; %bb.2055:
	v_mov_b32_e32 v6, 0
	s_waitcnt vmcnt(0)
	v_cvt_f64_f32_e32 v[4:5], v2
	v_mov_b32_e32 v7, v6
	global_store_dwordx4 v[0:1], v[4:7], off
	s_mov_b64 s[0:1], 0
.LBB15_2056:
	s_andn2_b64 vcc, exec, s[0:1]
	s_cbranch_vccnz .LBB15_2058
; %bb.2057:
	s_waitcnt vmcnt(0)
	v_mov_b32_e32 v3, 0
	global_store_dwordx2 v[0:1], v[2:3], off
.LBB15_2058:
	s_mov_b64 s[0:1], 0
.LBB15_2059:
	s_andn2_b64 vcc, exec, s[0:1]
	s_cbranch_vccnz .LBB15_2061
; %bb.2060:
	s_waitcnt vmcnt(0)
	v_cvt_f16_f32_e32 v3, v2
	global_store_dword v[0:1], v3, off
.LBB15_2061:
	s_mov_b64 s[0:1], 0
.LBB15_2062:
	s_andn2_b64 vcc, exec, s[0:1]
	s_cbranch_vccnz .LBB15_2071
; %bb.2063:
	v_cmp_lt_i16_e64 s[2:3], s20, 6
	s_mov_b64 s[0:1], -1
	s_and_b64 vcc, exec, s[2:3]
	s_cbranch_vccnz .LBB15_2069
; %bb.2064:
	v_cmp_gt_i16_e64 s[2:3], s20, 6
	s_and_b64 vcc, exec, s[2:3]
	s_cbranch_vccz .LBB15_2066
; %bb.2065:
	s_waitcnt vmcnt(0)
	v_cvt_f64_f32_e32 v[4:5], v2
	global_store_dwordx2 v[0:1], v[4:5], off
	s_mov_b64 s[0:1], 0
.LBB15_2066:
	s_andn2_b64 vcc, exec, s[0:1]
	s_cbranch_vccnz .LBB15_2068
; %bb.2067:
	s_waitcnt vmcnt(0)
	global_store_dword v[0:1], v2, off
.LBB15_2068:
	s_mov_b64 s[0:1], 0
.LBB15_2069:
	s_andn2_b64 vcc, exec, s[0:1]
	s_cbranch_vccnz .LBB15_2071
; %bb.2070:
	s_waitcnt vmcnt(0)
	v_cvt_f16_f32_e32 v3, v2
	global_store_short v[0:1], v3, off
.LBB15_2071:
	s_mov_b64 s[0:1], 0
.LBB15_2072:
	s_andn2_b64 vcc, exec, s[0:1]
	s_cbranch_vccnz .LBB15_2088
; %bb.2073:
	v_cmp_lt_i16_e64 s[2:3], s20, 2
	s_mov_b64 s[0:1], -1
	s_and_b64 vcc, exec, s[2:3]
	s_cbranch_vccnz .LBB15_2083
; %bb.2074:
	v_cmp_lt_i16_e64 s[2:3], s20, 3
	s_and_b64 vcc, exec, s[2:3]
	s_cbranch_vccnz .LBB15_2080
; %bb.2075:
	v_cmp_gt_i16_e64 s[2:3], s20, 3
	s_and_b64 vcc, exec, s[2:3]
	s_cbranch_vccz .LBB15_2077
; %bb.2076:
	s_waitcnt vmcnt(0)
	v_trunc_f32_e32 v3, v2
	s_mov_b32 s0, 0x2f800000
	v_mul_f32_e64 v4, |v3|, s0
	v_floor_f32_e32 v4, v4
	s_mov_b32 s0, 0xcf800000
	v_cvt_u32_f32_e32 v5, v4
	v_fma_f32 v4, v4, s0, |v3|
	v_cvt_u32_f32_e32 v4, v4
	v_ashrrev_i32_e32 v3, 31, v3
	v_xor_b32_e32 v5, v5, v3
	s_mov_b64 s[0:1], 0
	v_xor_b32_e32 v4, v4, v3
	v_sub_co_u32_e32 v4, vcc, v4, v3
	v_subb_co_u32_e32 v5, vcc, v5, v3, vcc
	global_store_dwordx2 v[0:1], v[4:5], off
.LBB15_2077:
	s_andn2_b64 vcc, exec, s[0:1]
	s_cbranch_vccnz .LBB15_2079
; %bb.2078:
	s_waitcnt vmcnt(0)
	v_cvt_i32_f32_e32 v3, v2
	global_store_dword v[0:1], v3, off
.LBB15_2079:
	s_mov_b64 s[0:1], 0
.LBB15_2080:
	s_andn2_b64 vcc, exec, s[0:1]
	s_cbranch_vccnz .LBB15_2082
; %bb.2081:
	s_waitcnt vmcnt(0)
	v_cvt_i32_f32_e32 v3, v2
	global_store_short v[0:1], v3, off
.LBB15_2082:
	s_mov_b64 s[0:1], 0
.LBB15_2083:
	s_andn2_b64 vcc, exec, s[0:1]
	s_cbranch_vccnz .LBB15_2088
; %bb.2084:
	v_cmp_gt_i16_e64 s[2:3], s20, 0
	s_mov_b64 s[0:1], -1
	s_and_b64 vcc, exec, s[2:3]
	s_cbranch_vccz .LBB15_2086
; %bb.2085:
	s_waitcnt vmcnt(0)
	v_cvt_i32_f32_e32 v3, v2
	s_mov_b64 s[0:1], 0
	global_store_byte v[0:1], v3, off
.LBB15_2086:
	s_andn2_b64 vcc, exec, s[0:1]
	s_cbranch_vccnz .LBB15_2088
; %bb.2087:
	v_trunc_f32_e32 v2, v2
	s_mov_b32 s0, 0x2f800000
	s_waitcnt vmcnt(0)
	v_mul_f32_e64 v3, |v2|, s0
	v_floor_f32_e32 v3, v3
	s_mov_b32 s0, 0xcf800000
	v_fma_f32 v3, v3, s0, |v2|
	v_cvt_u32_f32_e32 v3, v3
	v_ashrrev_i32_e32 v2, 31, v2
	v_xor_b32_e32 v3, v3, v2
	v_sub_u32_e32 v2, v3, v2
	global_store_byte v[0:1], v2, off
	s_endpgm
.LBB15_2088:
	s_endpgm
.LBB15_2089:
	s_mov_b64 s[6:7], 0
	s_mov_b64 s[0:1], -1
	s_branch .LBB15_2045
.LBB15_2090:
	s_mov_b64 s[2:3], 0
	s_branch .LBB15_2108
.LBB15_2091:
	s_or_saveexec_b64 s[18:19], s[18:19]
                                        ; implicit-def: $sgpr7
	s_xor_b64 exec, exec, s[18:19]
	s_cbranch_execz .LBB15_1946
.LBB15_2092:
	v_add_f32_e32 v1, 0x46000000, v5
	v_and_b32_e32 v1, 0xff, v1
	v_cmp_ne_u32_e32 vcc, 0, v1
	s_andn2_b64 s[16:17], s[16:17], exec
	s_and_b64 s[22:23], vcc, exec
	s_mov_b32 s7, 0
	s_or_b64 s[16:17], s[16:17], s[22:23]
	s_or_b64 exec, exec, s[18:19]
	v_mov_b32_e32 v6, s7
	s_and_saveexec_b64 s[18:19], s[16:17]
	s_cbranch_execnz .LBB15_1947
	s_branch .LBB15_1948
.LBB15_2093:
	s_mov_b64 s[2:3], 0
	s_branch .LBB15_2104
.LBB15_2094:
	s_trap 2
	s_or_b64 s[4:5], s[4:5], exec
	s_cbranch_execz .LBB15_1994
	s_branch .LBB15_1995
.LBB15_2095:
	s_or_saveexec_b64 s[16:17], s[16:17]
                                        ; implicit-def: $sgpr7
	s_xor_b64 exec, exec, s[16:17]
	s_cbranch_execz .LBB15_1959
.LBB15_2096:
	v_add_f32_e32 v1, 0x42800000, v5
	v_and_b32_e32 v1, 0xff, v1
	v_cmp_ne_u32_e32 vcc, 0, v1
	s_andn2_b64 s[14:15], s[14:15], exec
	s_and_b64 s[18:19], vcc, exec
	s_mov_b32 s7, 0
	s_or_b64 s[14:15], s[14:15], s[18:19]
	s_or_b64 exec, exec, s[16:17]
	v_mov_b32_e32 v6, s7
	s_and_saveexec_b64 s[16:17], s[14:15]
	s_cbranch_execnz .LBB15_1960
	s_branch .LBB15_1961
.LBB15_2097:
	s_mov_b64 s[2:3], 0
.LBB15_2098:
	s_and_b64 vcc, exec, s[8:9]
	s_cbranch_vccz .LBB15_2103
; %bb.2099:
	v_cmp_eq_u16_e64 s[8:9], s20, 44
	s_mov_b64 s[2:3], -1
	s_and_b64 vcc, exec, s[8:9]
	s_cbranch_vccz .LBB15_2103
; %bb.2100:
	v_bfe_u32 v3, v2, 23, 8
	s_movk_i32 s2, 0xff
	v_cmp_ne_u32_e32 vcc, s2, v3
	v_mov_b32_e32 v4, 0xff
	s_and_saveexec_b64 s[8:9], vcc
; %bb.2101:
	s_mov_b32 s2, 0x3fffff
	v_and_b32_e32 v5, 0x400000, v2
	v_and_or_b32 v3, v2, s2, v3
	v_cmp_ne_u32_e32 vcc, 0, v5
	v_cmp_ne_u32_e64 s[2:3], 0, v3
	s_and_b64 s[2:3], vcc, s[2:3]
	v_lshrrev_b32_e32 v4, 23, v2
	v_cndmask_b32_e64 v3, 0, 1, s[2:3]
	v_add_u32_e32 v4, v4, v3
; %bb.2102:
	s_or_b64 exec, exec, s[8:9]
	s_mov_b64 s[2:3], 0
	global_store_byte v[0:1], v4, off
.LBB15_2103:
	s_mov_b64 s[8:9], 0
.LBB15_2104:
	s_and_b64 vcc, exec, s[8:9]
	s_cbranch_vccz .LBB15_2107
; %bb.2105:
	v_cmp_eq_u16_e64 s[8:9], s20, 29
	s_mov_b64 s[2:3], -1
	s_and_b64 vcc, exec, s[8:9]
	s_cbranch_vccz .LBB15_2107
; %bb.2106:
	v_trunc_f32_e32 v3, v2
	v_mul_f32_e32 v4, 0x2f800000, v3
	v_floor_f32_e32 v4, v4
	v_fmac_f32_e32 v3, 0xcf800000, v4
	v_cvt_u32_f32_e32 v5, v4
	v_cvt_u32_f32_e32 v4, v3
	s_mov_b64 s[2:3], 0
	global_store_dwordx2 v[0:1], v[4:5], off
.LBB15_2107:
	s_mov_b64 s[8:9], 0
.LBB15_2108:
	s_and_b64 vcc, exec, s[8:9]
	s_cbranch_vccz .LBB15_2123
; %bb.2109:
	v_cmp_lt_i16_e64 s[10:11], s20, 27
	s_mov_b64 s[8:9], -1
	s_and_b64 vcc, exec, s[10:11]
	s_cbranch_vccnz .LBB15_2115
; %bb.2110:
	v_cmp_gt_i16_e64 s[10:11], s20, 27
	s_and_b64 vcc, exec, s[10:11]
	s_cbranch_vccz .LBB15_2112
; %bb.2111:
	v_cvt_u32_f32_e32 v3, v2
	s_mov_b64 s[8:9], 0
	global_store_dword v[0:1], v3, off
.LBB15_2112:
	s_andn2_b64 vcc, exec, s[8:9]
	s_cbranch_vccnz .LBB15_2114
; %bb.2113:
	v_cvt_u32_f32_e32 v3, v2
	global_store_short v[0:1], v3, off
.LBB15_2114:
	s_mov_b64 s[8:9], 0
.LBB15_2115:
	s_andn2_b64 vcc, exec, s[8:9]
	s_cbranch_vccnz .LBB15_2123
; %bb.2116:
	v_cndmask_b32_e64 v4, 0, |v10|, s[0:1]
	s_mov_b32 s8, 0x43800000
	v_cmp_gt_u32_e32 vcc, s8, v4
	v_mov_b32_e32 v5, 0x80
	s_and_saveexec_b64 s[8:9], vcc
	s_cbranch_execz .LBB15_2122
; %bb.2117:
	s_mov_b32 s10, 0x3bffffff
	v_cmp_lt_u32_e32 vcc, s10, v4
	s_mov_b64 s[10:11], 0
                                        ; implicit-def: $vgpr3
	s_and_saveexec_b64 s[12:13], vcc
	s_xor_b64 s[12:13], exec, s[12:13]
	s_cbranch_execz .LBB15_2166
; %bb.2118:
	v_bfe_u32 v3, v2, 20, 1
	s_mov_b32 s14, 0x487ffff
	v_add3_u32 v3, v2, v3, s14
	s_mov_b64 s[10:11], exec
	v_lshrrev_b32_e32 v3, 20, v3
                                        ; implicit-def: $vgpr4
	s_or_saveexec_b64 s[12:13], s[12:13]
                                        ; implicit-def: $sgpr14
	s_xor_b64 exec, exec, s[12:13]
	s_cbranch_execnz .LBB15_2167
.LBB15_2119:
	s_or_b64 exec, exec, s[12:13]
	v_mov_b32_e32 v5, s14
	s_and_saveexec_b64 s[12:13], s[10:11]
.LBB15_2120:
	v_lshrrev_b32_e32 v4, 24, v2
	s_movk_i32 s10, 0x80
	v_and_or_b32 v5, v4, s10, v3
.LBB15_2121:
	s_or_b64 exec, exec, s[12:13]
.LBB15_2122:
	s_or_b64 exec, exec, s[8:9]
	global_store_byte v[0:1], v5, off
.LBB15_2123:
	s_mov_b64 s[8:9], 0
.LBB15_2124:
	s_and_b64 vcc, exec, s[8:9]
	s_cbranch_vccz .LBB15_2164
; %bb.2125:
	v_cmp_gt_i16_e64 s[8:9], s20, 22
	s_mov_b64 s[6:7], -1
	s_and_b64 vcc, exec, s[8:9]
	s_cbranch_vccz .LBB15_2157
; %bb.2126:
	v_cmp_lt_i16_e64 s[8:9], s20, 24
	s_and_b64 vcc, exec, s[8:9]
	s_cbranch_vccnz .LBB15_2146
; %bb.2127:
	v_cmp_gt_i16_e64 s[8:9], s20, 24
	s_and_b64 vcc, exec, s[8:9]
	s_cbranch_vccz .LBB15_2135
; %bb.2128:
	v_cndmask_b32_e64 v4, 0, |v10|, s[0:1]
	s_mov_b32 s6, 0x47800000
	v_cmp_gt_u32_e32 vcc, s6, v4
	v_mov_b32_e32 v5, 0x80
	s_and_saveexec_b64 s[6:7], vcc
	s_cbranch_execz .LBB15_2134
; %bb.2129:
	s_mov_b32 s8, 0x37ffffff
	v_cmp_lt_u32_e32 vcc, s8, v4
	s_mov_b64 s[8:9], 0
                                        ; implicit-def: $vgpr3
	s_and_saveexec_b64 s[10:11], vcc
	s_xor_b64 s[10:11], exec, s[10:11]
	s_cbranch_execz .LBB15_2169
; %bb.2130:
	v_bfe_u32 v3, v2, 21, 1
	s_mov_b32 s12, 0x88fffff
	v_add3_u32 v3, v2, v3, s12
	s_mov_b64 s[8:9], exec
	v_lshrrev_b32_e32 v3, 21, v3
                                        ; implicit-def: $vgpr4
	s_or_saveexec_b64 s[10:11], s[10:11]
                                        ; implicit-def: $sgpr12
	s_xor_b64 exec, exec, s[10:11]
	s_cbranch_execnz .LBB15_2170
.LBB15_2131:
	s_or_b64 exec, exec, s[10:11]
	v_mov_b32_e32 v5, s12
	s_and_saveexec_b64 s[10:11], s[8:9]
.LBB15_2132:
	v_lshrrev_b32_e32 v4, 24, v2
	s_movk_i32 s8, 0x80
	v_and_or_b32 v5, v4, s8, v3
.LBB15_2133:
	s_or_b64 exec, exec, s[10:11]
.LBB15_2134:
	s_or_b64 exec, exec, s[6:7]
	s_mov_b64 s[6:7], 0
	global_store_byte v[0:1], v5, off
.LBB15_2135:
	s_and_b64 vcc, exec, s[6:7]
	s_cbranch_vccz .LBB15_2145
; %bb.2136:
	v_cndmask_b32_e64 v4, 0, |v10|, s[0:1]
	s_mov_b32 s6, 0x43f00000
	v_cmp_gt_u32_e32 vcc, s6, v4
                                        ; implicit-def: $vgpr3
	s_and_saveexec_b64 s[6:7], vcc
	s_xor_b64 s[6:7], exec, s[6:7]
	s_cbranch_execz .LBB15_2142
; %bb.2137:
	s_mov_b32 s8, 0x3c7fffff
	v_cmp_lt_u32_e32 vcc, s8, v4
                                        ; implicit-def: $vgpr3
	s_and_saveexec_b64 s[8:9], vcc
	s_xor_b64 s[8:9], exec, s[8:9]
; %bb.2138:
	v_bfe_u32 v3, v2, 20, 1
	s_mov_b32 s10, 0x407ffff
	v_add3_u32 v3, v2, v3, s10
	v_lshrrev_b32_e32 v4, 20, v3
	v_and_b32_e32 v3, 0xff00000, v3
	s_mov_b32 s10, 0x7f00000
	v_mov_b32_e32 v5, 0x7e
	v_cmp_ne_u32_e32 vcc, s10, v3
	v_cndmask_b32_e32 v3, v5, v4, vcc
                                        ; implicit-def: $vgpr4
; %bb.2139:
	s_andn2_saveexec_b64 s[8:9], s[8:9]
; %bb.2140:
	v_add_f32_e32 v3, 0x46800000, v4
; %bb.2141:
	s_or_b64 exec, exec, s[8:9]
                                        ; implicit-def: $vgpr4
.LBB15_2142:
	s_andn2_saveexec_b64 s[6:7], s[6:7]
; %bb.2143:
	s_mov_b32 s8, 0x7f800000
	v_mov_b32_e32 v3, 0x7e
	v_mov_b32_e32 v5, 0x7f
	v_cmp_lt_u32_e32 vcc, s8, v4
	v_cndmask_b32_e32 v3, v3, v5, vcc
; %bb.2144:
	s_or_b64 exec, exec, s[6:7]
	v_lshrrev_b32_e32 v4, 24, v2
	s_movk_i32 s6, 0x80
	v_and_or_b32 v3, v4, s6, v3
	global_store_byte v[0:1], v3, off
.LBB15_2145:
	s_mov_b64 s[6:7], 0
.LBB15_2146:
	s_andn2_b64 vcc, exec, s[6:7]
	s_cbranch_vccnz .LBB15_2156
; %bb.2147:
	v_cndmask_b32_e64 v4, 0, |v10|, s[0:1]
	s_mov_b32 s0, 0x47800000
	v_cmp_gt_u32_e32 vcc, s0, v4
                                        ; implicit-def: $vgpr3
	s_and_saveexec_b64 s[0:1], vcc
	s_xor_b64 s[0:1], exec, s[0:1]
	s_cbranch_execz .LBB15_2153
; %bb.2148:
	s_mov_b32 s6, 0x387fffff
	v_cmp_lt_u32_e32 vcc, s6, v4
                                        ; implicit-def: $vgpr3
	s_and_saveexec_b64 s[6:7], vcc
	s_xor_b64 s[6:7], exec, s[6:7]
; %bb.2149:
	v_bfe_u32 v3, v2, 21, 1
	s_mov_b32 s8, 0x80fffff
	v_add3_u32 v3, v2, v3, s8
	v_lshrrev_b32_e32 v3, 21, v3
                                        ; implicit-def: $vgpr4
; %bb.2150:
	s_andn2_saveexec_b64 s[6:7], s[6:7]
; %bb.2151:
	v_add_f32_e32 v3, 0x43000000, v4
; %bb.2152:
	s_or_b64 exec, exec, s[6:7]
                                        ; implicit-def: $vgpr4
.LBB15_2153:
	s_andn2_saveexec_b64 s[0:1], s[0:1]
; %bb.2154:
	s_mov_b32 s6, 0x7f800000
	v_mov_b32_e32 v3, 0x7c
	v_mov_b32_e32 v5, 0x7f
	v_cmp_lt_u32_e32 vcc, s6, v4
	v_cndmask_b32_e32 v3, v3, v5, vcc
; %bb.2155:
	s_or_b64 exec, exec, s[0:1]
	v_lshrrev_b32_e32 v4, 24, v2
	s_movk_i32 s0, 0x80
	v_and_or_b32 v3, v4, s0, v3
	global_store_byte v[0:1], v3, off
.LBB15_2156:
	s_mov_b64 s[6:7], 0
.LBB15_2157:
	s_andn2_b64 vcc, exec, s[6:7]
	s_mov_b64 s[6:7], 0
	s_cbranch_vccnz .LBB15_2164
; %bb.2158:
	v_cmp_gt_i16_e64 s[6:7], s20, 14
	s_mov_b64 s[0:1], -1
	s_and_b64 vcc, exec, s[6:7]
	s_cbranch_vccz .LBB15_2162
; %bb.2159:
	v_cmp_eq_u16_e64 s[0:1], s20, 15
	s_mov_b64 s[2:3], -1
	s_and_b64 vcc, exec, s[0:1]
	s_cbranch_vccz .LBB15_2161
; %bb.2160:
	v_bfe_u32 v3, v2, 16, 1
	s_movk_i32 s0, 0x7fff
	v_add3_u32 v3, v2, v3, s0
	v_lshrrev_b32_e32 v3, 16, v3
	v_mov_b32_e32 v4, 0x7fc0
	v_cmp_o_f32_e32 vcc, v2, v2
	v_cndmask_b32_e32 v3, v4, v3, vcc
	global_store_short v[0:1], v3, off
	s_mov_b64 s[2:3], 0
.LBB15_2161:
	s_mov_b64 s[0:1], 0
.LBB15_2162:
	s_mov_b64 s[6:7], 0
	s_and_b64 vcc, exec, s[0:1]
	s_cbranch_vccz .LBB15_2164
; %bb.2163:
	v_cmp_ne_u16_e64 s[2:3], s20, 11
	s_mov_b64 s[6:7], -1
.LBB15_2164:
	s_and_b64 vcc, exec, s[2:3]
	s_cbranch_vccnz .LBB15_2168
.LBB15_2165:
	s_mov_b64 s[0:1], 0
	s_branch .LBB15_2045
.LBB15_2166:
	s_or_saveexec_b64 s[12:13], s[12:13]
                                        ; implicit-def: $sgpr14
	s_xor_b64 exec, exec, s[12:13]
	s_cbranch_execz .LBB15_2119
.LBB15_2167:
	v_add_f32_e32 v3, 0x46000000, v4
	v_and_b32_e32 v3, 0xff, v3
	v_cmp_ne_u32_e32 vcc, 0, v3
	s_andn2_b64 s[10:11], s[10:11], exec
	s_and_b64 s[16:17], vcc, exec
	s_mov_b32 s14, 0
	s_or_b64 s[10:11], s[10:11], s[16:17]
	s_or_b64 exec, exec, s[12:13]
	v_mov_b32_e32 v5, s14
	s_and_saveexec_b64 s[12:13], s[10:11]
	s_cbranch_execnz .LBB15_2120
	s_branch .LBB15_2121
.LBB15_2168:
	s_mov_b64 s[6:7], 0
	s_or_b64 s[4:5], s[4:5], exec
	s_trap 2
	s_branch .LBB15_2165
.LBB15_2169:
	s_or_saveexec_b64 s[10:11], s[10:11]
                                        ; implicit-def: $sgpr12
	s_xor_b64 exec, exec, s[10:11]
	s_cbranch_execz .LBB15_2131
.LBB15_2170:
	v_add_f32_e32 v3, 0x42800000, v4
	v_and_b32_e32 v3, 0xff, v3
	v_cmp_ne_u32_e32 vcc, 0, v3
	s_andn2_b64 s[8:9], s[8:9], exec
	s_and_b64 s[14:15], vcc, exec
	s_mov_b32 s12, 0
	s_or_b64 s[8:9], s[8:9], s[14:15]
	s_or_b64 exec, exec, s[10:11]
	v_mov_b32_e32 v5, s12
	s_and_saveexec_b64 s[10:11], s[8:9]
	s_cbranch_execnz .LBB15_2132
	s_branch .LBB15_2133
	.section	.rodata,"a",@progbits
	.p2align	6, 0x0
	.amdhsa_kernel _ZN2at6native32elementwise_kernel_manual_unrollILi128ELi4EZNS0_15gpu_kernel_implIZZZNS0_12_GLOBAL__N_117hardshrink_kernelERNS_18TensorIteratorBaseERKN3c106ScalarEENKUlvE_clEvENKUlvE0_clEvEUlfE_EEvS5_RKT_EUlibE0_EEviT1_
		.amdhsa_group_segment_fixed_size 0
		.amdhsa_private_segment_fixed_size 0
		.amdhsa_kernarg_size 360
		.amdhsa_user_sgpr_count 6
		.amdhsa_user_sgpr_private_segment_buffer 1
		.amdhsa_user_sgpr_dispatch_ptr 0
		.amdhsa_user_sgpr_queue_ptr 0
		.amdhsa_user_sgpr_kernarg_segment_ptr 1
		.amdhsa_user_sgpr_dispatch_id 0
		.amdhsa_user_sgpr_flat_scratch_init 0
		.amdhsa_user_sgpr_kernarg_preload_length 0
		.amdhsa_user_sgpr_kernarg_preload_offset 0
		.amdhsa_user_sgpr_private_segment_size 0
		.amdhsa_uses_dynamic_stack 0
		.amdhsa_system_sgpr_private_segment_wavefront_offset 0
		.amdhsa_system_sgpr_workgroup_id_x 1
		.amdhsa_system_sgpr_workgroup_id_y 0
		.amdhsa_system_sgpr_workgroup_id_z 0
		.amdhsa_system_sgpr_workgroup_info 0
		.amdhsa_system_vgpr_workitem_id 0
		.amdhsa_next_free_vgpr 18
		.amdhsa_next_free_sgpr 78
		.amdhsa_accum_offset 20
		.amdhsa_reserve_vcc 1
		.amdhsa_reserve_flat_scratch 0
		.amdhsa_float_round_mode_32 0
		.amdhsa_float_round_mode_16_64 0
		.amdhsa_float_denorm_mode_32 3
		.amdhsa_float_denorm_mode_16_64 3
		.amdhsa_dx10_clamp 1
		.amdhsa_ieee_mode 1
		.amdhsa_fp16_overflow 0
		.amdhsa_tg_split 0
		.amdhsa_exception_fp_ieee_invalid_op 0
		.amdhsa_exception_fp_denorm_src 0
		.amdhsa_exception_fp_ieee_div_zero 0
		.amdhsa_exception_fp_ieee_overflow 0
		.amdhsa_exception_fp_ieee_underflow 0
		.amdhsa_exception_fp_ieee_inexact 0
		.amdhsa_exception_int_div_zero 0
	.end_amdhsa_kernel
	.section	.text._ZN2at6native32elementwise_kernel_manual_unrollILi128ELi4EZNS0_15gpu_kernel_implIZZZNS0_12_GLOBAL__N_117hardshrink_kernelERNS_18TensorIteratorBaseERKN3c106ScalarEENKUlvE_clEvENKUlvE0_clEvEUlfE_EEvS5_RKT_EUlibE0_EEviT1_,"axG",@progbits,_ZN2at6native32elementwise_kernel_manual_unrollILi128ELi4EZNS0_15gpu_kernel_implIZZZNS0_12_GLOBAL__N_117hardshrink_kernelERNS_18TensorIteratorBaseERKN3c106ScalarEENKUlvE_clEvENKUlvE0_clEvEUlfE_EEvS5_RKT_EUlibE0_EEviT1_,comdat
.Lfunc_end15:
	.size	_ZN2at6native32elementwise_kernel_manual_unrollILi128ELi4EZNS0_15gpu_kernel_implIZZZNS0_12_GLOBAL__N_117hardshrink_kernelERNS_18TensorIteratorBaseERKN3c106ScalarEENKUlvE_clEvENKUlvE0_clEvEUlfE_EEvS5_RKT_EUlibE0_EEviT1_, .Lfunc_end15-_ZN2at6native32elementwise_kernel_manual_unrollILi128ELi4EZNS0_15gpu_kernel_implIZZZNS0_12_GLOBAL__N_117hardshrink_kernelERNS_18TensorIteratorBaseERKN3c106ScalarEENKUlvE_clEvENKUlvE0_clEvEUlfE_EEvS5_RKT_EUlibE0_EEviT1_
                                        ; -- End function
	.section	.AMDGPU.csdata,"",@progbits
; Kernel info:
; codeLenInByte = 40428
; NumSgprs: 82
; NumVgprs: 18
; NumAgprs: 0
; TotalNumVgprs: 18
; ScratchSize: 0
; MemoryBound: 1
; FloatMode: 240
; IeeeMode: 1
; LDSByteSize: 0 bytes/workgroup (compile time only)
; SGPRBlocks: 10
; VGPRBlocks: 2
; NumSGPRsForWavesPerEU: 82
; NumVGPRsForWavesPerEU: 18
; AccumOffset: 20
; Occupancy: 8
; WaveLimiterHint : 1
; COMPUTE_PGM_RSRC2:SCRATCH_EN: 0
; COMPUTE_PGM_RSRC2:USER_SGPR: 6
; COMPUTE_PGM_RSRC2:TRAP_HANDLER: 0
; COMPUTE_PGM_RSRC2:TGID_X_EN: 1
; COMPUTE_PGM_RSRC2:TGID_Y_EN: 0
; COMPUTE_PGM_RSRC2:TGID_Z_EN: 0
; COMPUTE_PGM_RSRC2:TIDIG_COMP_CNT: 0
; COMPUTE_PGM_RSRC3_GFX90A:ACCUM_OFFSET: 4
; COMPUTE_PGM_RSRC3_GFX90A:TG_SPLIT: 0
	.section	.text._ZN2at6native29vectorized_elementwise_kernelILi16EZZZNS0_12_GLOBAL__N_117hardshrink_kernelERNS_18TensorIteratorBaseERKN3c106ScalarEENKUlvE_clEvENKUlvE1_clEvEUlNS5_4HalfEE_St5arrayIPcLm2EEEEviT0_T1_,"axG",@progbits,_ZN2at6native29vectorized_elementwise_kernelILi16EZZZNS0_12_GLOBAL__N_117hardshrink_kernelERNS_18TensorIteratorBaseERKN3c106ScalarEENKUlvE_clEvENKUlvE1_clEvEUlNS5_4HalfEE_St5arrayIPcLm2EEEEviT0_T1_,comdat
	.globl	_ZN2at6native29vectorized_elementwise_kernelILi16EZZZNS0_12_GLOBAL__N_117hardshrink_kernelERNS_18TensorIteratorBaseERKN3c106ScalarEENKUlvE_clEvENKUlvE1_clEvEUlNS5_4HalfEE_St5arrayIPcLm2EEEEviT0_T1_ ; -- Begin function _ZN2at6native29vectorized_elementwise_kernelILi16EZZZNS0_12_GLOBAL__N_117hardshrink_kernelERNS_18TensorIteratorBaseERKN3c106ScalarEENKUlvE_clEvENKUlvE1_clEvEUlNS5_4HalfEE_St5arrayIPcLm2EEEEviT0_T1_
	.p2align	8
	.type	_ZN2at6native29vectorized_elementwise_kernelILi16EZZZNS0_12_GLOBAL__N_117hardshrink_kernelERNS_18TensorIteratorBaseERKN3c106ScalarEENKUlvE_clEvENKUlvE1_clEvEUlNS5_4HalfEE_St5arrayIPcLm2EEEEviT0_T1_,@function
_ZN2at6native29vectorized_elementwise_kernelILi16EZZZNS0_12_GLOBAL__N_117hardshrink_kernelERNS_18TensorIteratorBaseERKN3c106ScalarEENKUlvE_clEvENKUlvE1_clEvEUlNS5_4HalfEE_St5arrayIPcLm2EEEEviT0_T1_: ; @_ZN2at6native29vectorized_elementwise_kernelILi16EZZZNS0_12_GLOBAL__N_117hardshrink_kernelERNS_18TensorIteratorBaseERKN3c106ScalarEENKUlvE_clEvENKUlvE1_clEvEUlNS5_4HalfEE_St5arrayIPcLm2EEEEviT0_T1_
; %bb.0:
	s_load_dwordx2 s[12:13], s[4:5], 0x0
	s_load_dwordx4 s[8:11], s[4:5], 0x8
	s_lshl_b32 s14, s6, 11
	s_mov_b64 s[0:1], -1
	s_waitcnt lgkmcnt(0)
	s_sub_i32 s12, s12, s14
	s_cmpk_gt_i32 s12, 0x7ff
	s_cbranch_scc0 .LBB16_2
; %bb.1:
	s_ashr_i32 s15, s14, 31
	s_lshl_b64 s[0:1], s[14:15], 1
	s_add_u32 s2, s10, s0
	s_addc_u32 s3, s11, s1
	v_lshlrev_b32_e32 v1, 4, v0
	global_load_dwordx4 v[2:5], v1, s[2:3]
	s_add_u32 s16, s8, s0
	s_addc_u32 s17, s9, s1
	s_mov_b32 s15, 0x5040100
	s_waitcnt vmcnt(0)
	v_cmp_nle_f16_e64 s[18:19], -s13, v2
	v_cmp_nge_f16_e32 vcc, s13, v2
	v_cmp_nle_f16_e64 s[20:21], -s13, v3
	v_lshrrev_b32_e32 v7, 16, v3
	v_cmp_nge_f16_e64 s[0:1], s13, v3
	s_or_b64 vcc, s[18:19], vcc
	v_lshrrev_b32_e32 v6, 16, v2
	v_cmp_nle_f16_e64 s[22:23], -s13, v4
	v_lshrrev_b32_e32 v8, 16, v4
	v_cmp_nge_f16_e64 s[2:3], s13, v4
	v_cndmask_b32_e32 v2, 0, v2, vcc
	v_cmp_nle_f16_e64 s[18:19], -s13, v7
	v_cmp_nge_f16_e32 vcc, s13, v7
	s_or_b64 s[0:1], s[20:21], s[0:1]
	v_cmp_nle_f16_e64 s[24:25], -s13, v5
	v_lshrrev_b32_e32 v9, 16, v5
	v_cmp_nge_f16_e64 s[4:5], s13, v5
	v_cndmask_b32_e64 v3, 0, v3, s[0:1]
	v_cmp_nle_f16_e64 s[20:21], -s13, v8
	v_cmp_nge_f16_e64 s[0:1], s13, v8
	s_or_b64 s[2:3], s[22:23], s[2:3]
	s_or_b64 vcc, s[18:19], vcc
	v_cmp_nle_f16_e64 s[26:27], -s13, v6
	v_cmp_nge_f16_e64 s[6:7], s13, v6
	v_cndmask_b32_e64 v4, 0, v4, s[2:3]
	v_cmp_nle_f16_e64 s[22:23], -s13, v9
	v_cmp_nge_f16_e64 s[2:3], s13, v9
	s_or_b64 s[4:5], s[24:25], s[4:5]
	v_cndmask_b32_e32 v7, 0, v7, vcc
	s_or_b64 vcc, s[20:21], s[0:1]
	v_cndmask_b32_e64 v5, 0, v5, s[4:5]
	s_or_b64 s[4:5], s[26:27], s[6:7]
	v_cndmask_b32_e32 v8, 0, v8, vcc
	s_or_b64 vcc, s[22:23], s[2:3]
	v_cndmask_b32_e64 v6, 0, v6, s[4:5]
	v_cndmask_b32_e32 v9, 0, v9, vcc
	v_perm_b32 v5, v9, v5, s15
	v_perm_b32 v4, v8, v4, s15
	;; [unrolled: 1-line block ×4, first 2 shown]
	global_store_dwordx4 v1, v[2:5], s[16:17]
	s_mov_b64 s[0:1], 0
.LBB16_2:
	s_andn2_b64 vcc, exec, s[0:1]
	s_cbranch_vccnz .LBB16_27
; %bb.3:
	v_cmp_gt_i32_e32 vcc, s12, v0
	v_mov_b32_e32 v1, 0
	v_or_b32_e32 v2, s14, v0
	v_mov_b32_e32 v7, 0
	v_mov_b32_e32 v3, v0
	s_and_saveexec_b64 s[2:3], vcc
	s_cbranch_execz .LBB16_5
; %bb.4:
	v_mov_b32_e32 v3, 0
	v_lshlrev_b64 v[4:5], 1, v[2:3]
	v_mov_b32_e32 v3, s11
	v_add_co_u32_e64 v4, s[0:1], s10, v4
	v_addc_co_u32_e64 v5, s[0:1], v3, v5, s[0:1]
	global_load_ushort v7, v[4:5], off
	v_or_b32_e32 v3, 0x100, v0
.LBB16_5:
	s_or_b64 exec, exec, s[2:3]
	v_cmp_gt_i32_e64 s[0:1], s12, v3
	s_and_saveexec_b64 s[2:3], s[0:1]
	s_cbranch_execz .LBB16_7
; %bb.6:
	v_add_u32_e32 v4, s14, v3
	v_mov_b32_e32 v5, 0
	v_lshlrev_b64 v[4:5], 1, v[4:5]
	v_mov_b32_e32 v1, s11
	v_add_co_u32_e64 v4, s[0:1], s10, v4
	v_addc_co_u32_e64 v5, s[0:1], v1, v5, s[0:1]
	global_load_ushort v1, v[4:5], off
	v_add_u32_e32 v3, 0x100, v3
.LBB16_7:
	s_or_b64 exec, exec, s[2:3]
	v_cmp_gt_i32_e64 s[0:1], s12, v3
	v_mov_b32_e32 v4, 0
	v_mov_b32_e32 v8, 0
	s_and_saveexec_b64 s[2:3], s[0:1]
	s_cbranch_execz .LBB16_9
; %bb.8:
	v_add_u32_e32 v8, s14, v3
	v_mov_b32_e32 v9, 0
	v_lshlrev_b64 v[8:9], 1, v[8:9]
	v_mov_b32_e32 v5, s11
	v_add_co_u32_e64 v8, s[0:1], s10, v8
	v_addc_co_u32_e64 v9, s[0:1], v5, v9, s[0:1]
	global_load_ushort v8, v[8:9], off
	v_add_u32_e32 v3, 0x100, v3
.LBB16_9:
	s_or_b64 exec, exec, s[2:3]
	v_cmp_gt_i32_e64 s[0:1], s12, v3
	s_and_saveexec_b64 s[2:3], s[0:1]
	s_cbranch_execz .LBB16_11
; %bb.10:
	v_add_u32_e32 v4, s14, v3
	v_mov_b32_e32 v5, 0
	v_lshlrev_b64 v[4:5], 1, v[4:5]
	v_mov_b32_e32 v6, s11
	v_add_co_u32_e64 v4, s[0:1], s10, v4
	v_addc_co_u32_e64 v5, s[0:1], v6, v5, s[0:1]
	global_load_ushort v4, v[4:5], off
	v_add_u32_e32 v3, 0x100, v3
.LBB16_11:
	s_or_b64 exec, exec, s[2:3]
	v_cmp_gt_i32_e64 s[0:1], s12, v3
	v_mov_b32_e32 v5, 0
	v_mov_b32_e32 v9, 0
	s_and_saveexec_b64 s[2:3], s[0:1]
	s_cbranch_execz .LBB16_13
; %bb.12:
	v_add_u32_e32 v10, s14, v3
	v_mov_b32_e32 v11, 0
	v_lshlrev_b64 v[10:11], 1, v[10:11]
	v_mov_b32_e32 v6, s11
	v_add_co_u32_e64 v10, s[0:1], s10, v10
	v_addc_co_u32_e64 v11, s[0:1], v6, v11, s[0:1]
	global_load_ushort v9, v[10:11], off
	v_add_u32_e32 v3, 0x100, v3
.LBB16_13:
	s_or_b64 exec, exec, s[2:3]
	v_cmp_gt_i32_e64 s[0:1], s12, v3
	s_and_saveexec_b64 s[2:3], s[0:1]
	s_cbranch_execz .LBB16_15
; %bb.14:
	v_add_u32_e32 v10, s14, v3
	v_mov_b32_e32 v11, 0
	v_lshlrev_b64 v[10:11], 1, v[10:11]
	v_mov_b32_e32 v5, s11
	v_add_co_u32_e64 v10, s[0:1], s10, v10
	v_addc_co_u32_e64 v11, s[0:1], v5, v11, s[0:1]
	global_load_ushort v5, v[10:11], off
	v_add_u32_e32 v3, 0x100, v3
.LBB16_15:
	s_or_b64 exec, exec, s[2:3]
	v_cmp_gt_i32_e64 s[0:1], s12, v3
	v_mov_b32_e32 v6, 0
	v_mov_b32_e32 v10, 0
	s_and_saveexec_b64 s[2:3], s[0:1]
	s_cbranch_execnz .LBB16_28
; %bb.16:
	s_or_b64 exec, exec, s[2:3]
	v_cmp_gt_i32_e64 s[0:1], s12, v3
	s_and_saveexec_b64 s[2:3], s[0:1]
	s_cbranch_execnz .LBB16_29
.LBB16_17:
	s_or_b64 exec, exec, s[2:3]
	s_and_saveexec_b64 s[0:1], vcc
	s_cbranch_execz .LBB16_19
.LBB16_18:
	v_mov_b32_e32 v3, 0
	v_lshlrev_b64 v[2:3], 1, v[2:3]
	v_mov_b32_e32 v11, s9
	v_add_co_u32_e32 v2, vcc, s8, v2
	v_addc_co_u32_e32 v3, vcc, v11, v3, vcc
	s_waitcnt vmcnt(0)
	v_cmp_nge_f16_e64 s[2:3], v7, -s13
	v_cmp_nge_f16_e32 vcc, s13, v7
	s_or_b64 vcc, s[2:3], vcc
	v_or_b32_e32 v0, 0x100, v0
	v_cndmask_b32_e32 v7, 0, v7, vcc
	global_store_short v[2:3], v7, off
.LBB16_19:
	s_or_b64 exec, exec, s[0:1]
	s_xor_b32 s4, s13, 0x8000
	v_cmp_gt_i32_e32 vcc, s12, v0
	s_and_saveexec_b64 s[2:3], vcc
	s_cbranch_execnz .LBB16_30
; %bb.20:
	s_or_b64 exec, exec, s[2:3]
	v_cmp_gt_i32_e32 vcc, s12, v0
	s_and_saveexec_b64 s[2:3], vcc
	s_cbranch_execnz .LBB16_31
.LBB16_21:
	s_or_b64 exec, exec, s[2:3]
	v_cmp_gt_i32_e32 vcc, s12, v0
	s_and_saveexec_b64 s[2:3], vcc
	s_cbranch_execnz .LBB16_32
.LBB16_22:
	s_or_b64 exec, exec, s[2:3]
	v_cmp_gt_i32_e32 vcc, s12, v0
	s_and_saveexec_b64 s[2:3], vcc
	s_cbranch_execnz .LBB16_33
.LBB16_23:
	s_or_b64 exec, exec, s[2:3]
	v_cmp_gt_i32_e32 vcc, s12, v0
	s_and_saveexec_b64 s[2:3], vcc
	s_cbranch_execnz .LBB16_34
.LBB16_24:
	s_or_b64 exec, exec, s[2:3]
	v_cmp_gt_i32_e32 vcc, s12, v0
	s_and_saveexec_b64 s[2:3], vcc
	s_cbranch_execnz .LBB16_35
.LBB16_25:
	s_or_b64 exec, exec, s[2:3]
	v_cmp_gt_i32_e32 vcc, s12, v0
	s_and_saveexec_b64 s[0:1], vcc
	s_cbranch_execz .LBB16_27
.LBB16_26:
	s_waitcnt vmcnt(0)
	v_cmp_nle_f16_e32 vcc, s4, v6
	v_cmp_nge_f16_e64 s[0:1], s13, v6
	v_add_u32_e32 v0, s14, v0
	v_mov_b32_e32 v1, 0
	s_or_b64 vcc, vcc, s[0:1]
	v_lshlrev_b64 v[0:1], 1, v[0:1]
	v_cndmask_b32_e32 v2, 0, v6, vcc
	v_mov_b32_e32 v3, s9
	v_add_co_u32_e32 v0, vcc, s8, v0
	v_addc_co_u32_e32 v1, vcc, v3, v1, vcc
	global_store_short v[0:1], v2, off
.LBB16_27:
	s_endpgm
.LBB16_28:
	v_add_u32_e32 v10, s14, v3
	v_mov_b32_e32 v11, 0
	v_lshlrev_b64 v[10:11], 1, v[10:11]
	v_mov_b32_e32 v12, s11
	v_add_co_u32_e64 v10, s[0:1], s10, v10
	v_addc_co_u32_e64 v11, s[0:1], v12, v11, s[0:1]
	global_load_ushort v10, v[10:11], off
	v_add_u32_e32 v3, 0x100, v3
	s_or_b64 exec, exec, s[2:3]
	v_cmp_gt_i32_e64 s[0:1], s12, v3
	s_and_saveexec_b64 s[2:3], s[0:1]
	s_cbranch_execz .LBB16_17
.LBB16_29:
	v_add_u32_e32 v12, s14, v3
	v_mov_b32_e32 v13, 0
	v_lshlrev_b64 v[12:13], 1, v[12:13]
	v_mov_b32_e32 v3, s11
	v_add_co_u32_e64 v12, s[0:1], s10, v12
	v_addc_co_u32_e64 v13, s[0:1], v3, v13, s[0:1]
	global_load_ushort v6, v[12:13], off
	s_or_b64 exec, exec, s[2:3]
	s_and_saveexec_b64 s[0:1], vcc
	s_cbranch_execnz .LBB16_18
	s_branch .LBB16_19
.LBB16_30:
	s_waitcnt vmcnt(0)
	v_cmp_nle_f16_e32 vcc, s4, v1
	v_cmp_nge_f16_e64 s[0:1], s13, v1
	v_add_u32_e32 v2, s14, v0
	v_mov_b32_e32 v3, 0
	s_or_b64 vcc, vcc, s[0:1]
	v_lshlrev_b64 v[2:3], 1, v[2:3]
	v_cndmask_b32_e32 v1, 0, v1, vcc
	v_mov_b32_e32 v7, s9
	v_add_co_u32_e32 v2, vcc, s8, v2
	v_addc_co_u32_e32 v3, vcc, v7, v3, vcc
	v_add_u32_e32 v0, 0x100, v0
	global_store_short v[2:3], v1, off
	s_or_b64 exec, exec, s[2:3]
	v_cmp_gt_i32_e32 vcc, s12, v0
	s_and_saveexec_b64 s[2:3], vcc
	s_cbranch_execz .LBB16_21
.LBB16_31:
	s_waitcnt vmcnt(0)
	v_cmp_nle_f16_e32 vcc, s4, v8
	v_cmp_nge_f16_e64 s[0:1], s13, v8
	v_add_u32_e32 v2, s14, v0
	v_mov_b32_e32 v3, 0
	s_or_b64 vcc, vcc, s[0:1]
	v_lshlrev_b64 v[2:3], 1, v[2:3]
	v_cndmask_b32_e32 v1, 0, v8, vcc
	v_mov_b32_e32 v7, s9
	v_add_co_u32_e32 v2, vcc, s8, v2
	v_addc_co_u32_e32 v3, vcc, v7, v3, vcc
	v_add_u32_e32 v0, 0x100, v0
	global_store_short v[2:3], v1, off
	s_or_b64 exec, exec, s[2:3]
	v_cmp_gt_i32_e32 vcc, s12, v0
	s_and_saveexec_b64 s[2:3], vcc
	s_cbranch_execz .LBB16_22
.LBB16_32:
	s_waitcnt vmcnt(0)
	v_cmp_nle_f16_e32 vcc, s4, v4
	v_cmp_nge_f16_e64 s[0:1], s13, v4
	v_add_u32_e32 v2, s14, v0
	v_mov_b32_e32 v3, 0
	s_or_b64 vcc, vcc, s[0:1]
	v_lshlrev_b64 v[2:3], 1, v[2:3]
	v_cndmask_b32_e32 v1, 0, v4, vcc
	v_mov_b32_e32 v4, s9
	v_add_co_u32_e32 v2, vcc, s8, v2
	v_addc_co_u32_e32 v3, vcc, v4, v3, vcc
	v_add_u32_e32 v0, 0x100, v0
	global_store_short v[2:3], v1, off
	s_or_b64 exec, exec, s[2:3]
	v_cmp_gt_i32_e32 vcc, s12, v0
	s_and_saveexec_b64 s[2:3], vcc
	s_cbranch_execz .LBB16_23
.LBB16_33:
	s_waitcnt vmcnt(0)
	v_cmp_nle_f16_e32 vcc, s4, v9
	v_cmp_nge_f16_e64 s[0:1], s13, v9
	v_add_u32_e32 v2, s14, v0
	v_mov_b32_e32 v3, 0
	s_or_b64 vcc, vcc, s[0:1]
	v_lshlrev_b64 v[2:3], 1, v[2:3]
	v_cndmask_b32_e32 v1, 0, v9, vcc
	v_mov_b32_e32 v4, s9
	v_add_co_u32_e32 v2, vcc, s8, v2
	v_addc_co_u32_e32 v3, vcc, v4, v3, vcc
	v_add_u32_e32 v0, 0x100, v0
	global_store_short v[2:3], v1, off
	s_or_b64 exec, exec, s[2:3]
	v_cmp_gt_i32_e32 vcc, s12, v0
	s_and_saveexec_b64 s[2:3], vcc
	s_cbranch_execz .LBB16_24
.LBB16_34:
	s_waitcnt vmcnt(0)
	v_cmp_nle_f16_e32 vcc, s4, v5
	v_cmp_nge_f16_e64 s[0:1], s13, v5
	v_add_u32_e32 v2, s14, v0
	v_mov_b32_e32 v3, 0
	s_or_b64 vcc, vcc, s[0:1]
	v_lshlrev_b64 v[2:3], 1, v[2:3]
	v_cndmask_b32_e32 v1, 0, v5, vcc
	v_mov_b32_e32 v4, s9
	v_add_co_u32_e32 v2, vcc, s8, v2
	v_addc_co_u32_e32 v3, vcc, v4, v3, vcc
	v_add_u32_e32 v0, 0x100, v0
	global_store_short v[2:3], v1, off
	s_or_b64 exec, exec, s[2:3]
	v_cmp_gt_i32_e32 vcc, s12, v0
	s_and_saveexec_b64 s[2:3], vcc
	s_cbranch_execz .LBB16_25
.LBB16_35:
	s_waitcnt vmcnt(0)
	v_cmp_nle_f16_e32 vcc, s4, v10
	v_cmp_nge_f16_e64 s[0:1], s13, v10
	v_add_u32_e32 v2, s14, v0
	v_mov_b32_e32 v3, 0
	s_or_b64 vcc, vcc, s[0:1]
	v_lshlrev_b64 v[2:3], 1, v[2:3]
	v_cndmask_b32_e32 v1, 0, v10, vcc
	v_mov_b32_e32 v4, s9
	v_add_co_u32_e32 v2, vcc, s8, v2
	v_addc_co_u32_e32 v3, vcc, v4, v3, vcc
	v_add_u32_e32 v0, 0x100, v0
	global_store_short v[2:3], v1, off
	s_or_b64 exec, exec, s[2:3]
	v_cmp_gt_i32_e32 vcc, s12, v0
	s_and_saveexec_b64 s[0:1], vcc
	s_cbranch_execnz .LBB16_26
	s_branch .LBB16_27
	.section	.rodata,"a",@progbits
	.p2align	6, 0x0
	.amdhsa_kernel _ZN2at6native29vectorized_elementwise_kernelILi16EZZZNS0_12_GLOBAL__N_117hardshrink_kernelERNS_18TensorIteratorBaseERKN3c106ScalarEENKUlvE_clEvENKUlvE1_clEvEUlNS5_4HalfEE_St5arrayIPcLm2EEEEviT0_T1_
		.amdhsa_group_segment_fixed_size 0
		.amdhsa_private_segment_fixed_size 0
		.amdhsa_kernarg_size 24
		.amdhsa_user_sgpr_count 6
		.amdhsa_user_sgpr_private_segment_buffer 1
		.amdhsa_user_sgpr_dispatch_ptr 0
		.amdhsa_user_sgpr_queue_ptr 0
		.amdhsa_user_sgpr_kernarg_segment_ptr 1
		.amdhsa_user_sgpr_dispatch_id 0
		.amdhsa_user_sgpr_flat_scratch_init 0
		.amdhsa_user_sgpr_kernarg_preload_length 0
		.amdhsa_user_sgpr_kernarg_preload_offset 0
		.amdhsa_user_sgpr_private_segment_size 0
		.amdhsa_uses_dynamic_stack 0
		.amdhsa_system_sgpr_private_segment_wavefront_offset 0
		.amdhsa_system_sgpr_workgroup_id_x 1
		.amdhsa_system_sgpr_workgroup_id_y 0
		.amdhsa_system_sgpr_workgroup_id_z 0
		.amdhsa_system_sgpr_workgroup_info 0
		.amdhsa_system_vgpr_workitem_id 0
		.amdhsa_next_free_vgpr 14
		.amdhsa_next_free_sgpr 28
		.amdhsa_accum_offset 16
		.amdhsa_reserve_vcc 1
		.amdhsa_reserve_flat_scratch 0
		.amdhsa_float_round_mode_32 0
		.amdhsa_float_round_mode_16_64 0
		.amdhsa_float_denorm_mode_32 3
		.amdhsa_float_denorm_mode_16_64 3
		.amdhsa_dx10_clamp 1
		.amdhsa_ieee_mode 1
		.amdhsa_fp16_overflow 0
		.amdhsa_tg_split 0
		.amdhsa_exception_fp_ieee_invalid_op 0
		.amdhsa_exception_fp_denorm_src 0
		.amdhsa_exception_fp_ieee_div_zero 0
		.amdhsa_exception_fp_ieee_overflow 0
		.amdhsa_exception_fp_ieee_underflow 0
		.amdhsa_exception_fp_ieee_inexact 0
		.amdhsa_exception_int_div_zero 0
	.end_amdhsa_kernel
	.section	.text._ZN2at6native29vectorized_elementwise_kernelILi16EZZZNS0_12_GLOBAL__N_117hardshrink_kernelERNS_18TensorIteratorBaseERKN3c106ScalarEENKUlvE_clEvENKUlvE1_clEvEUlNS5_4HalfEE_St5arrayIPcLm2EEEEviT0_T1_,"axG",@progbits,_ZN2at6native29vectorized_elementwise_kernelILi16EZZZNS0_12_GLOBAL__N_117hardshrink_kernelERNS_18TensorIteratorBaseERKN3c106ScalarEENKUlvE_clEvENKUlvE1_clEvEUlNS5_4HalfEE_St5arrayIPcLm2EEEEviT0_T1_,comdat
.Lfunc_end16:
	.size	_ZN2at6native29vectorized_elementwise_kernelILi16EZZZNS0_12_GLOBAL__N_117hardshrink_kernelERNS_18TensorIteratorBaseERKN3c106ScalarEENKUlvE_clEvENKUlvE1_clEvEUlNS5_4HalfEE_St5arrayIPcLm2EEEEviT0_T1_, .Lfunc_end16-_ZN2at6native29vectorized_elementwise_kernelILi16EZZZNS0_12_GLOBAL__N_117hardshrink_kernelERNS_18TensorIteratorBaseERKN3c106ScalarEENKUlvE_clEvENKUlvE1_clEvEUlNS5_4HalfEE_St5arrayIPcLm2EEEEviT0_T1_
                                        ; -- End function
	.section	.AMDGPU.csdata,"",@progbits
; Kernel info:
; codeLenInByte = 1756
; NumSgprs: 32
; NumVgprs: 14
; NumAgprs: 0
; TotalNumVgprs: 14
; ScratchSize: 0
; MemoryBound: 0
; FloatMode: 240
; IeeeMode: 1
; LDSByteSize: 0 bytes/workgroup (compile time only)
; SGPRBlocks: 3
; VGPRBlocks: 1
; NumSGPRsForWavesPerEU: 32
; NumVGPRsForWavesPerEU: 14
; AccumOffset: 16
; Occupancy: 8
; WaveLimiterHint : 0
; COMPUTE_PGM_RSRC2:SCRATCH_EN: 0
; COMPUTE_PGM_RSRC2:USER_SGPR: 6
; COMPUTE_PGM_RSRC2:TRAP_HANDLER: 0
; COMPUTE_PGM_RSRC2:TGID_X_EN: 1
; COMPUTE_PGM_RSRC2:TGID_Y_EN: 0
; COMPUTE_PGM_RSRC2:TGID_Z_EN: 0
; COMPUTE_PGM_RSRC2:TIDIG_COMP_CNT: 0
; COMPUTE_PGM_RSRC3_GFX90A:ACCUM_OFFSET: 3
; COMPUTE_PGM_RSRC3_GFX90A:TG_SPLIT: 0
	.section	.text._ZN2at6native29vectorized_elementwise_kernelILi8EZZZNS0_12_GLOBAL__N_117hardshrink_kernelERNS_18TensorIteratorBaseERKN3c106ScalarEENKUlvE_clEvENKUlvE1_clEvEUlNS5_4HalfEE_St5arrayIPcLm2EEEEviT0_T1_,"axG",@progbits,_ZN2at6native29vectorized_elementwise_kernelILi8EZZZNS0_12_GLOBAL__N_117hardshrink_kernelERNS_18TensorIteratorBaseERKN3c106ScalarEENKUlvE_clEvENKUlvE1_clEvEUlNS5_4HalfEE_St5arrayIPcLm2EEEEviT0_T1_,comdat
	.globl	_ZN2at6native29vectorized_elementwise_kernelILi8EZZZNS0_12_GLOBAL__N_117hardshrink_kernelERNS_18TensorIteratorBaseERKN3c106ScalarEENKUlvE_clEvENKUlvE1_clEvEUlNS5_4HalfEE_St5arrayIPcLm2EEEEviT0_T1_ ; -- Begin function _ZN2at6native29vectorized_elementwise_kernelILi8EZZZNS0_12_GLOBAL__N_117hardshrink_kernelERNS_18TensorIteratorBaseERKN3c106ScalarEENKUlvE_clEvENKUlvE1_clEvEUlNS5_4HalfEE_St5arrayIPcLm2EEEEviT0_T1_
	.p2align	8
	.type	_ZN2at6native29vectorized_elementwise_kernelILi8EZZZNS0_12_GLOBAL__N_117hardshrink_kernelERNS_18TensorIteratorBaseERKN3c106ScalarEENKUlvE_clEvENKUlvE1_clEvEUlNS5_4HalfEE_St5arrayIPcLm2EEEEviT0_T1_,@function
_ZN2at6native29vectorized_elementwise_kernelILi8EZZZNS0_12_GLOBAL__N_117hardshrink_kernelERNS_18TensorIteratorBaseERKN3c106ScalarEENKUlvE_clEvENKUlvE1_clEvEUlNS5_4HalfEE_St5arrayIPcLm2EEEEviT0_T1_: ; @_ZN2at6native29vectorized_elementwise_kernelILi8EZZZNS0_12_GLOBAL__N_117hardshrink_kernelERNS_18TensorIteratorBaseERKN3c106ScalarEENKUlvE_clEvENKUlvE1_clEvEUlNS5_4HalfEE_St5arrayIPcLm2EEEEviT0_T1_
; %bb.0:
	s_load_dwordx2 s[12:13], s[4:5], 0x0
	s_load_dwordx4 s[8:11], s[4:5], 0x8
	s_lshl_b32 s14, s6, 11
	s_mov_b64 s[0:1], -1
	s_waitcnt lgkmcnt(0)
	s_sub_i32 s12, s12, s14
	s_cmpk_gt_i32 s12, 0x7ff
	s_cbranch_scc0 .LBB17_2
; %bb.1:
	s_ashr_i32 s15, s14, 31
	s_lshl_b64 s[0:1], s[14:15], 1
	s_add_u32 s2, s10, s0
	s_addc_u32 s3, s11, s1
	v_lshlrev_b32_e32 v1, 4, v0
	global_load_dwordx4 v[2:5], v1, s[2:3]
	s_add_u32 s16, s8, s0
	s_addc_u32 s17, s9, s1
	s_mov_b32 s15, 0x5040100
	s_waitcnt vmcnt(0)
	v_cmp_nle_f16_e64 s[18:19], -s13, v2
	v_cmp_nge_f16_e32 vcc, s13, v2
	v_cmp_nle_f16_e64 s[20:21], -s13, v3
	v_lshrrev_b32_e32 v7, 16, v3
	v_cmp_nge_f16_e64 s[0:1], s13, v3
	s_or_b64 vcc, s[18:19], vcc
	v_lshrrev_b32_e32 v6, 16, v2
	v_cmp_nle_f16_e64 s[22:23], -s13, v4
	v_lshrrev_b32_e32 v8, 16, v4
	v_cmp_nge_f16_e64 s[2:3], s13, v4
	v_cndmask_b32_e32 v2, 0, v2, vcc
	v_cmp_nle_f16_e64 s[18:19], -s13, v7
	v_cmp_nge_f16_e32 vcc, s13, v7
	s_or_b64 s[0:1], s[20:21], s[0:1]
	v_cmp_nle_f16_e64 s[24:25], -s13, v5
	v_lshrrev_b32_e32 v9, 16, v5
	v_cmp_nge_f16_e64 s[4:5], s13, v5
	v_cndmask_b32_e64 v3, 0, v3, s[0:1]
	v_cmp_nle_f16_e64 s[20:21], -s13, v8
	v_cmp_nge_f16_e64 s[0:1], s13, v8
	s_or_b64 s[2:3], s[22:23], s[2:3]
	s_or_b64 vcc, s[18:19], vcc
	v_cmp_nle_f16_e64 s[26:27], -s13, v6
	v_cmp_nge_f16_e64 s[6:7], s13, v6
	v_cndmask_b32_e64 v4, 0, v4, s[2:3]
	v_cmp_nle_f16_e64 s[22:23], -s13, v9
	v_cmp_nge_f16_e64 s[2:3], s13, v9
	s_or_b64 s[4:5], s[24:25], s[4:5]
	v_cndmask_b32_e32 v7, 0, v7, vcc
	s_or_b64 vcc, s[20:21], s[0:1]
	v_cndmask_b32_e64 v5, 0, v5, s[4:5]
	s_or_b64 s[4:5], s[26:27], s[6:7]
	v_cndmask_b32_e32 v8, 0, v8, vcc
	s_or_b64 vcc, s[22:23], s[2:3]
	v_cndmask_b32_e64 v6, 0, v6, s[4:5]
	v_cndmask_b32_e32 v9, 0, v9, vcc
	v_perm_b32 v5, v9, v5, s15
	v_perm_b32 v4, v8, v4, s15
	;; [unrolled: 1-line block ×4, first 2 shown]
	global_store_dwordx4 v1, v[2:5], s[16:17]
	s_mov_b64 s[0:1], 0
.LBB17_2:
	s_andn2_b64 vcc, exec, s[0:1]
	s_cbranch_vccnz .LBB17_27
; %bb.3:
	v_cmp_gt_i32_e32 vcc, s12, v0
	v_mov_b32_e32 v1, 0
	v_or_b32_e32 v2, s14, v0
	v_mov_b32_e32 v7, 0
	v_mov_b32_e32 v3, v0
	s_and_saveexec_b64 s[2:3], vcc
	s_cbranch_execz .LBB17_5
; %bb.4:
	v_mov_b32_e32 v3, 0
	v_lshlrev_b64 v[4:5], 1, v[2:3]
	v_mov_b32_e32 v3, s11
	v_add_co_u32_e64 v4, s[0:1], s10, v4
	v_addc_co_u32_e64 v5, s[0:1], v3, v5, s[0:1]
	global_load_ushort v7, v[4:5], off
	v_or_b32_e32 v3, 0x100, v0
.LBB17_5:
	s_or_b64 exec, exec, s[2:3]
	v_cmp_gt_i32_e64 s[0:1], s12, v3
	s_and_saveexec_b64 s[2:3], s[0:1]
	s_cbranch_execz .LBB17_7
; %bb.6:
	v_add_u32_e32 v4, s14, v3
	v_mov_b32_e32 v5, 0
	v_lshlrev_b64 v[4:5], 1, v[4:5]
	v_mov_b32_e32 v1, s11
	v_add_co_u32_e64 v4, s[0:1], s10, v4
	v_addc_co_u32_e64 v5, s[0:1], v1, v5, s[0:1]
	global_load_ushort v1, v[4:5], off
	v_add_u32_e32 v3, 0x100, v3
.LBB17_7:
	s_or_b64 exec, exec, s[2:3]
	v_cmp_gt_i32_e64 s[0:1], s12, v3
	v_mov_b32_e32 v4, 0
	v_mov_b32_e32 v8, 0
	s_and_saveexec_b64 s[2:3], s[0:1]
	s_cbranch_execz .LBB17_9
; %bb.8:
	v_add_u32_e32 v8, s14, v3
	v_mov_b32_e32 v9, 0
	v_lshlrev_b64 v[8:9], 1, v[8:9]
	v_mov_b32_e32 v5, s11
	v_add_co_u32_e64 v8, s[0:1], s10, v8
	v_addc_co_u32_e64 v9, s[0:1], v5, v9, s[0:1]
	global_load_ushort v8, v[8:9], off
	v_add_u32_e32 v3, 0x100, v3
.LBB17_9:
	s_or_b64 exec, exec, s[2:3]
	v_cmp_gt_i32_e64 s[0:1], s12, v3
	s_and_saveexec_b64 s[2:3], s[0:1]
	s_cbranch_execz .LBB17_11
; %bb.10:
	v_add_u32_e32 v4, s14, v3
	v_mov_b32_e32 v5, 0
	v_lshlrev_b64 v[4:5], 1, v[4:5]
	v_mov_b32_e32 v6, s11
	v_add_co_u32_e64 v4, s[0:1], s10, v4
	v_addc_co_u32_e64 v5, s[0:1], v6, v5, s[0:1]
	global_load_ushort v4, v[4:5], off
	v_add_u32_e32 v3, 0x100, v3
.LBB17_11:
	s_or_b64 exec, exec, s[2:3]
	v_cmp_gt_i32_e64 s[0:1], s12, v3
	v_mov_b32_e32 v5, 0
	v_mov_b32_e32 v9, 0
	s_and_saveexec_b64 s[2:3], s[0:1]
	s_cbranch_execz .LBB17_13
; %bb.12:
	v_add_u32_e32 v10, s14, v3
	v_mov_b32_e32 v11, 0
	v_lshlrev_b64 v[10:11], 1, v[10:11]
	v_mov_b32_e32 v6, s11
	v_add_co_u32_e64 v10, s[0:1], s10, v10
	v_addc_co_u32_e64 v11, s[0:1], v6, v11, s[0:1]
	global_load_ushort v9, v[10:11], off
	v_add_u32_e32 v3, 0x100, v3
.LBB17_13:
	s_or_b64 exec, exec, s[2:3]
	v_cmp_gt_i32_e64 s[0:1], s12, v3
	s_and_saveexec_b64 s[2:3], s[0:1]
	s_cbranch_execz .LBB17_15
; %bb.14:
	v_add_u32_e32 v10, s14, v3
	v_mov_b32_e32 v11, 0
	v_lshlrev_b64 v[10:11], 1, v[10:11]
	v_mov_b32_e32 v5, s11
	v_add_co_u32_e64 v10, s[0:1], s10, v10
	v_addc_co_u32_e64 v11, s[0:1], v5, v11, s[0:1]
	global_load_ushort v5, v[10:11], off
	v_add_u32_e32 v3, 0x100, v3
.LBB17_15:
	s_or_b64 exec, exec, s[2:3]
	v_cmp_gt_i32_e64 s[0:1], s12, v3
	v_mov_b32_e32 v6, 0
	v_mov_b32_e32 v10, 0
	s_and_saveexec_b64 s[2:3], s[0:1]
	s_cbranch_execnz .LBB17_28
; %bb.16:
	s_or_b64 exec, exec, s[2:3]
	v_cmp_gt_i32_e64 s[0:1], s12, v3
	s_and_saveexec_b64 s[2:3], s[0:1]
	s_cbranch_execnz .LBB17_29
.LBB17_17:
	s_or_b64 exec, exec, s[2:3]
	s_and_saveexec_b64 s[0:1], vcc
	s_cbranch_execz .LBB17_19
.LBB17_18:
	v_mov_b32_e32 v3, 0
	v_lshlrev_b64 v[2:3], 1, v[2:3]
	v_mov_b32_e32 v11, s9
	v_add_co_u32_e32 v2, vcc, s8, v2
	v_addc_co_u32_e32 v3, vcc, v11, v3, vcc
	s_waitcnt vmcnt(0)
	v_cmp_nge_f16_e64 s[2:3], v7, -s13
	v_cmp_nge_f16_e32 vcc, s13, v7
	s_or_b64 vcc, s[2:3], vcc
	v_or_b32_e32 v0, 0x100, v0
	v_cndmask_b32_e32 v7, 0, v7, vcc
	global_store_short v[2:3], v7, off
.LBB17_19:
	s_or_b64 exec, exec, s[0:1]
	s_xor_b32 s4, s13, 0x8000
	v_cmp_gt_i32_e32 vcc, s12, v0
	s_and_saveexec_b64 s[2:3], vcc
	s_cbranch_execnz .LBB17_30
; %bb.20:
	s_or_b64 exec, exec, s[2:3]
	v_cmp_gt_i32_e32 vcc, s12, v0
	s_and_saveexec_b64 s[2:3], vcc
	s_cbranch_execnz .LBB17_31
.LBB17_21:
	s_or_b64 exec, exec, s[2:3]
	v_cmp_gt_i32_e32 vcc, s12, v0
	s_and_saveexec_b64 s[2:3], vcc
	s_cbranch_execnz .LBB17_32
.LBB17_22:
	s_or_b64 exec, exec, s[2:3]
	v_cmp_gt_i32_e32 vcc, s12, v0
	s_and_saveexec_b64 s[2:3], vcc
	s_cbranch_execnz .LBB17_33
.LBB17_23:
	s_or_b64 exec, exec, s[2:3]
	v_cmp_gt_i32_e32 vcc, s12, v0
	s_and_saveexec_b64 s[2:3], vcc
	s_cbranch_execnz .LBB17_34
.LBB17_24:
	s_or_b64 exec, exec, s[2:3]
	v_cmp_gt_i32_e32 vcc, s12, v0
	s_and_saveexec_b64 s[2:3], vcc
	s_cbranch_execnz .LBB17_35
.LBB17_25:
	s_or_b64 exec, exec, s[2:3]
	v_cmp_gt_i32_e32 vcc, s12, v0
	s_and_saveexec_b64 s[0:1], vcc
	s_cbranch_execz .LBB17_27
.LBB17_26:
	s_waitcnt vmcnt(0)
	v_cmp_nle_f16_e32 vcc, s4, v6
	v_cmp_nge_f16_e64 s[0:1], s13, v6
	v_add_u32_e32 v0, s14, v0
	v_mov_b32_e32 v1, 0
	s_or_b64 vcc, vcc, s[0:1]
	v_lshlrev_b64 v[0:1], 1, v[0:1]
	v_cndmask_b32_e32 v2, 0, v6, vcc
	v_mov_b32_e32 v3, s9
	v_add_co_u32_e32 v0, vcc, s8, v0
	v_addc_co_u32_e32 v1, vcc, v3, v1, vcc
	global_store_short v[0:1], v2, off
.LBB17_27:
	s_endpgm
.LBB17_28:
	v_add_u32_e32 v10, s14, v3
	v_mov_b32_e32 v11, 0
	v_lshlrev_b64 v[10:11], 1, v[10:11]
	v_mov_b32_e32 v12, s11
	v_add_co_u32_e64 v10, s[0:1], s10, v10
	v_addc_co_u32_e64 v11, s[0:1], v12, v11, s[0:1]
	global_load_ushort v10, v[10:11], off
	v_add_u32_e32 v3, 0x100, v3
	s_or_b64 exec, exec, s[2:3]
	v_cmp_gt_i32_e64 s[0:1], s12, v3
	s_and_saveexec_b64 s[2:3], s[0:1]
	s_cbranch_execz .LBB17_17
.LBB17_29:
	v_add_u32_e32 v12, s14, v3
	v_mov_b32_e32 v13, 0
	v_lshlrev_b64 v[12:13], 1, v[12:13]
	v_mov_b32_e32 v3, s11
	v_add_co_u32_e64 v12, s[0:1], s10, v12
	v_addc_co_u32_e64 v13, s[0:1], v3, v13, s[0:1]
	global_load_ushort v6, v[12:13], off
	s_or_b64 exec, exec, s[2:3]
	s_and_saveexec_b64 s[0:1], vcc
	s_cbranch_execnz .LBB17_18
	s_branch .LBB17_19
.LBB17_30:
	s_waitcnt vmcnt(0)
	v_cmp_nle_f16_e32 vcc, s4, v1
	v_cmp_nge_f16_e64 s[0:1], s13, v1
	v_add_u32_e32 v2, s14, v0
	v_mov_b32_e32 v3, 0
	s_or_b64 vcc, vcc, s[0:1]
	v_lshlrev_b64 v[2:3], 1, v[2:3]
	v_cndmask_b32_e32 v1, 0, v1, vcc
	v_mov_b32_e32 v7, s9
	v_add_co_u32_e32 v2, vcc, s8, v2
	v_addc_co_u32_e32 v3, vcc, v7, v3, vcc
	v_add_u32_e32 v0, 0x100, v0
	global_store_short v[2:3], v1, off
	s_or_b64 exec, exec, s[2:3]
	v_cmp_gt_i32_e32 vcc, s12, v0
	s_and_saveexec_b64 s[2:3], vcc
	s_cbranch_execz .LBB17_21
.LBB17_31:
	s_waitcnt vmcnt(0)
	v_cmp_nle_f16_e32 vcc, s4, v8
	v_cmp_nge_f16_e64 s[0:1], s13, v8
	v_add_u32_e32 v2, s14, v0
	v_mov_b32_e32 v3, 0
	s_or_b64 vcc, vcc, s[0:1]
	v_lshlrev_b64 v[2:3], 1, v[2:3]
	v_cndmask_b32_e32 v1, 0, v8, vcc
	v_mov_b32_e32 v7, s9
	v_add_co_u32_e32 v2, vcc, s8, v2
	v_addc_co_u32_e32 v3, vcc, v7, v3, vcc
	v_add_u32_e32 v0, 0x100, v0
	global_store_short v[2:3], v1, off
	s_or_b64 exec, exec, s[2:3]
	v_cmp_gt_i32_e32 vcc, s12, v0
	s_and_saveexec_b64 s[2:3], vcc
	s_cbranch_execz .LBB17_22
.LBB17_32:
	s_waitcnt vmcnt(0)
	v_cmp_nle_f16_e32 vcc, s4, v4
	v_cmp_nge_f16_e64 s[0:1], s13, v4
	v_add_u32_e32 v2, s14, v0
	v_mov_b32_e32 v3, 0
	s_or_b64 vcc, vcc, s[0:1]
	v_lshlrev_b64 v[2:3], 1, v[2:3]
	v_cndmask_b32_e32 v1, 0, v4, vcc
	v_mov_b32_e32 v4, s9
	v_add_co_u32_e32 v2, vcc, s8, v2
	v_addc_co_u32_e32 v3, vcc, v4, v3, vcc
	v_add_u32_e32 v0, 0x100, v0
	global_store_short v[2:3], v1, off
	s_or_b64 exec, exec, s[2:3]
	v_cmp_gt_i32_e32 vcc, s12, v0
	s_and_saveexec_b64 s[2:3], vcc
	s_cbranch_execz .LBB17_23
.LBB17_33:
	s_waitcnt vmcnt(0)
	v_cmp_nle_f16_e32 vcc, s4, v9
	v_cmp_nge_f16_e64 s[0:1], s13, v9
	v_add_u32_e32 v2, s14, v0
	v_mov_b32_e32 v3, 0
	s_or_b64 vcc, vcc, s[0:1]
	v_lshlrev_b64 v[2:3], 1, v[2:3]
	v_cndmask_b32_e32 v1, 0, v9, vcc
	v_mov_b32_e32 v4, s9
	v_add_co_u32_e32 v2, vcc, s8, v2
	v_addc_co_u32_e32 v3, vcc, v4, v3, vcc
	v_add_u32_e32 v0, 0x100, v0
	global_store_short v[2:3], v1, off
	s_or_b64 exec, exec, s[2:3]
	v_cmp_gt_i32_e32 vcc, s12, v0
	s_and_saveexec_b64 s[2:3], vcc
	s_cbranch_execz .LBB17_24
.LBB17_34:
	s_waitcnt vmcnt(0)
	v_cmp_nle_f16_e32 vcc, s4, v5
	v_cmp_nge_f16_e64 s[0:1], s13, v5
	v_add_u32_e32 v2, s14, v0
	v_mov_b32_e32 v3, 0
	s_or_b64 vcc, vcc, s[0:1]
	v_lshlrev_b64 v[2:3], 1, v[2:3]
	v_cndmask_b32_e32 v1, 0, v5, vcc
	v_mov_b32_e32 v4, s9
	v_add_co_u32_e32 v2, vcc, s8, v2
	v_addc_co_u32_e32 v3, vcc, v4, v3, vcc
	v_add_u32_e32 v0, 0x100, v0
	global_store_short v[2:3], v1, off
	s_or_b64 exec, exec, s[2:3]
	v_cmp_gt_i32_e32 vcc, s12, v0
	s_and_saveexec_b64 s[2:3], vcc
	s_cbranch_execz .LBB17_25
.LBB17_35:
	s_waitcnt vmcnt(0)
	v_cmp_nle_f16_e32 vcc, s4, v10
	v_cmp_nge_f16_e64 s[0:1], s13, v10
	v_add_u32_e32 v2, s14, v0
	v_mov_b32_e32 v3, 0
	s_or_b64 vcc, vcc, s[0:1]
	v_lshlrev_b64 v[2:3], 1, v[2:3]
	v_cndmask_b32_e32 v1, 0, v10, vcc
	v_mov_b32_e32 v4, s9
	v_add_co_u32_e32 v2, vcc, s8, v2
	v_addc_co_u32_e32 v3, vcc, v4, v3, vcc
	v_add_u32_e32 v0, 0x100, v0
	global_store_short v[2:3], v1, off
	s_or_b64 exec, exec, s[2:3]
	v_cmp_gt_i32_e32 vcc, s12, v0
	s_and_saveexec_b64 s[0:1], vcc
	s_cbranch_execnz .LBB17_26
	s_branch .LBB17_27
	.section	.rodata,"a",@progbits
	.p2align	6, 0x0
	.amdhsa_kernel _ZN2at6native29vectorized_elementwise_kernelILi8EZZZNS0_12_GLOBAL__N_117hardshrink_kernelERNS_18TensorIteratorBaseERKN3c106ScalarEENKUlvE_clEvENKUlvE1_clEvEUlNS5_4HalfEE_St5arrayIPcLm2EEEEviT0_T1_
		.amdhsa_group_segment_fixed_size 0
		.amdhsa_private_segment_fixed_size 0
		.amdhsa_kernarg_size 24
		.amdhsa_user_sgpr_count 6
		.amdhsa_user_sgpr_private_segment_buffer 1
		.amdhsa_user_sgpr_dispatch_ptr 0
		.amdhsa_user_sgpr_queue_ptr 0
		.amdhsa_user_sgpr_kernarg_segment_ptr 1
		.amdhsa_user_sgpr_dispatch_id 0
		.amdhsa_user_sgpr_flat_scratch_init 0
		.amdhsa_user_sgpr_kernarg_preload_length 0
		.amdhsa_user_sgpr_kernarg_preload_offset 0
		.amdhsa_user_sgpr_private_segment_size 0
		.amdhsa_uses_dynamic_stack 0
		.amdhsa_system_sgpr_private_segment_wavefront_offset 0
		.amdhsa_system_sgpr_workgroup_id_x 1
		.amdhsa_system_sgpr_workgroup_id_y 0
		.amdhsa_system_sgpr_workgroup_id_z 0
		.amdhsa_system_sgpr_workgroup_info 0
		.amdhsa_system_vgpr_workitem_id 0
		.amdhsa_next_free_vgpr 14
		.amdhsa_next_free_sgpr 28
		.amdhsa_accum_offset 16
		.amdhsa_reserve_vcc 1
		.amdhsa_reserve_flat_scratch 0
		.amdhsa_float_round_mode_32 0
		.amdhsa_float_round_mode_16_64 0
		.amdhsa_float_denorm_mode_32 3
		.amdhsa_float_denorm_mode_16_64 3
		.amdhsa_dx10_clamp 1
		.amdhsa_ieee_mode 1
		.amdhsa_fp16_overflow 0
		.amdhsa_tg_split 0
		.amdhsa_exception_fp_ieee_invalid_op 0
		.amdhsa_exception_fp_denorm_src 0
		.amdhsa_exception_fp_ieee_div_zero 0
		.amdhsa_exception_fp_ieee_overflow 0
		.amdhsa_exception_fp_ieee_underflow 0
		.amdhsa_exception_fp_ieee_inexact 0
		.amdhsa_exception_int_div_zero 0
	.end_amdhsa_kernel
	.section	.text._ZN2at6native29vectorized_elementwise_kernelILi8EZZZNS0_12_GLOBAL__N_117hardshrink_kernelERNS_18TensorIteratorBaseERKN3c106ScalarEENKUlvE_clEvENKUlvE1_clEvEUlNS5_4HalfEE_St5arrayIPcLm2EEEEviT0_T1_,"axG",@progbits,_ZN2at6native29vectorized_elementwise_kernelILi8EZZZNS0_12_GLOBAL__N_117hardshrink_kernelERNS_18TensorIteratorBaseERKN3c106ScalarEENKUlvE_clEvENKUlvE1_clEvEUlNS5_4HalfEE_St5arrayIPcLm2EEEEviT0_T1_,comdat
.Lfunc_end17:
	.size	_ZN2at6native29vectorized_elementwise_kernelILi8EZZZNS0_12_GLOBAL__N_117hardshrink_kernelERNS_18TensorIteratorBaseERKN3c106ScalarEENKUlvE_clEvENKUlvE1_clEvEUlNS5_4HalfEE_St5arrayIPcLm2EEEEviT0_T1_, .Lfunc_end17-_ZN2at6native29vectorized_elementwise_kernelILi8EZZZNS0_12_GLOBAL__N_117hardshrink_kernelERNS_18TensorIteratorBaseERKN3c106ScalarEENKUlvE_clEvENKUlvE1_clEvEUlNS5_4HalfEE_St5arrayIPcLm2EEEEviT0_T1_
                                        ; -- End function
	.section	.AMDGPU.csdata,"",@progbits
; Kernel info:
; codeLenInByte = 1756
; NumSgprs: 32
; NumVgprs: 14
; NumAgprs: 0
; TotalNumVgprs: 14
; ScratchSize: 0
; MemoryBound: 0
; FloatMode: 240
; IeeeMode: 1
; LDSByteSize: 0 bytes/workgroup (compile time only)
; SGPRBlocks: 3
; VGPRBlocks: 1
; NumSGPRsForWavesPerEU: 32
; NumVGPRsForWavesPerEU: 14
; AccumOffset: 16
; Occupancy: 8
; WaveLimiterHint : 0
; COMPUTE_PGM_RSRC2:SCRATCH_EN: 0
; COMPUTE_PGM_RSRC2:USER_SGPR: 6
; COMPUTE_PGM_RSRC2:TRAP_HANDLER: 0
; COMPUTE_PGM_RSRC2:TGID_X_EN: 1
; COMPUTE_PGM_RSRC2:TGID_Y_EN: 0
; COMPUTE_PGM_RSRC2:TGID_Z_EN: 0
; COMPUTE_PGM_RSRC2:TIDIG_COMP_CNT: 0
; COMPUTE_PGM_RSRC3_GFX90A:ACCUM_OFFSET: 3
; COMPUTE_PGM_RSRC3_GFX90A:TG_SPLIT: 0
	.section	.text._ZN2at6native29vectorized_elementwise_kernelILi4EZZZNS0_12_GLOBAL__N_117hardshrink_kernelERNS_18TensorIteratorBaseERKN3c106ScalarEENKUlvE_clEvENKUlvE1_clEvEUlNS5_4HalfEE_St5arrayIPcLm2EEEEviT0_T1_,"axG",@progbits,_ZN2at6native29vectorized_elementwise_kernelILi4EZZZNS0_12_GLOBAL__N_117hardshrink_kernelERNS_18TensorIteratorBaseERKN3c106ScalarEENKUlvE_clEvENKUlvE1_clEvEUlNS5_4HalfEE_St5arrayIPcLm2EEEEviT0_T1_,comdat
	.globl	_ZN2at6native29vectorized_elementwise_kernelILi4EZZZNS0_12_GLOBAL__N_117hardshrink_kernelERNS_18TensorIteratorBaseERKN3c106ScalarEENKUlvE_clEvENKUlvE1_clEvEUlNS5_4HalfEE_St5arrayIPcLm2EEEEviT0_T1_ ; -- Begin function _ZN2at6native29vectorized_elementwise_kernelILi4EZZZNS0_12_GLOBAL__N_117hardshrink_kernelERNS_18TensorIteratorBaseERKN3c106ScalarEENKUlvE_clEvENKUlvE1_clEvEUlNS5_4HalfEE_St5arrayIPcLm2EEEEviT0_T1_
	.p2align	8
	.type	_ZN2at6native29vectorized_elementwise_kernelILi4EZZZNS0_12_GLOBAL__N_117hardshrink_kernelERNS_18TensorIteratorBaseERKN3c106ScalarEENKUlvE_clEvENKUlvE1_clEvEUlNS5_4HalfEE_St5arrayIPcLm2EEEEviT0_T1_,@function
_ZN2at6native29vectorized_elementwise_kernelILi4EZZZNS0_12_GLOBAL__N_117hardshrink_kernelERNS_18TensorIteratorBaseERKN3c106ScalarEENKUlvE_clEvENKUlvE1_clEvEUlNS5_4HalfEE_St5arrayIPcLm2EEEEviT0_T1_: ; @_ZN2at6native29vectorized_elementwise_kernelILi4EZZZNS0_12_GLOBAL__N_117hardshrink_kernelERNS_18TensorIteratorBaseERKN3c106ScalarEENKUlvE_clEvENKUlvE1_clEvEUlNS5_4HalfEE_St5arrayIPcLm2EEEEviT0_T1_
; %bb.0:
	s_load_dwordx2 s[12:13], s[4:5], 0x0
	s_load_dwordx4 s[8:11], s[4:5], 0x8
	s_lshl_b32 s14, s6, 11
	s_mov_b64 s[0:1], -1
	s_waitcnt lgkmcnt(0)
	s_sub_i32 s12, s12, s14
	s_cmpk_gt_i32 s12, 0x7ff
	s_cbranch_scc0 .LBB18_2
; %bb.1:
	s_ashr_i32 s15, s14, 31
	s_lshl_b64 s[16:17], s[14:15], 1
	s_add_u32 s0, s10, s16
	s_addc_u32 s1, s11, s17
	v_lshlrev_b32_e32 v1, 3, v0
	global_load_dwordx2 v[2:3], v1, s[0:1]
	global_load_dwordx2 v[4:5], v1, s[0:1] offset:2048
	s_waitcnt vmcnt(1)
	v_cmp_nge_f16_e64 s[18:19], v2, -s13
	v_cmp_nge_f16_e32 vcc, s13, v2
	v_and_b32_e32 v6, 0xffff, v2
	s_waitcnt vmcnt(0)
	v_cmp_nge_f16_sdwa s[38:39], v5, -s13 src0_sel:WORD_1 src1_sel:DWORD
	v_cmp_nle_f16_sdwa s[40:41], v5, s13 src0_sel:WORD_1 src1_sel:DWORD
	s_or_b64 vcc, s[18:19], vcc
	v_cmp_nge_f16_e64 s[24:25], v3, -s13
	v_cmp_nge_f16_e64 s[0:1], s13, v3
	v_cmp_nge_f16_e64 s[36:37], v5, -s13
	v_cmp_nge_f16_e64 s[4:5], s13, v5
	v_and_b32_e32 v9, 0xffff, v5
	v_and_b32_e32 v5, 0xffff0000, v5
	v_cndmask_b32_e32 v6, 0, v6, vcc
	s_or_b64 vcc, s[38:39], s[40:41]
	v_cmp_nge_f16_sdwa s[20:21], v2, -s13 src0_sel:WORD_1 src1_sel:DWORD
	v_cmp_nle_f16_sdwa s[22:23], v2, s13 src0_sel:WORD_1 src1_sel:DWORD
	v_and_b32_e32 v7, 0xffff, v3
	v_cmp_nge_f16_sdwa s[30:31], v4, -s13 src0_sel:WORD_1 src1_sel:DWORD
	v_cmp_nle_f16_sdwa s[34:35], v4, s13 src0_sel:WORD_1 src1_sel:DWORD
	s_or_b64 s[0:1], s[24:25], s[0:1]
	v_cndmask_b32_e32 v5, 0, v5, vcc
	s_or_b64 vcc, s[36:37], s[4:5]
	v_cmp_nge_f16_sdwa s[6:7], v3, -s13 src0_sel:WORD_1 src1_sel:DWORD
	v_cmp_nle_f16_sdwa s[26:27], v3, s13 src0_sel:WORD_1 src1_sel:DWORD
	v_cmp_nge_f16_e64 s[28:29], v4, -s13
	v_cmp_nge_f16_e64 s[2:3], s13, v4
	v_and_b32_e32 v8, 0xffff, v4
	v_and_b32_e32 v2, 0xffff0000, v2
	;; [unrolled: 1-line block ×3, first 2 shown]
	v_cndmask_b32_e64 v7, 0, v7, s[0:1]
	s_or_b64 s[0:1], s[20:21], s[22:23]
	v_cndmask_b32_e32 v9, 0, v9, vcc
	s_or_b64 vcc, s[30:31], s[34:35]
	v_and_b32_e32 v3, 0xffff0000, v3
	s_or_b64 s[6:7], s[6:7], s[26:27]
	v_cndmask_b32_e64 v2, 0, v2, s[0:1]
	v_cndmask_b32_e32 v4, 0, v4, vcc
	s_or_b64 vcc, s[28:29], s[2:3]
	v_cndmask_b32_e64 v3, 0, v3, s[6:7]
	v_cndmask_b32_e32 v8, 0, v8, vcc
	s_add_u32 s0, s8, s16
	v_or_b32_e32 v2, v2, v6
	v_or3_b32 v3, 0, v7, v3
	v_or_b32_e32 v4, v4, v8
	s_addc_u32 s1, s9, s17
	v_or3_b32 v2, v2, 0, 0
	v_or3_b32 v5, 0, v9, v5
	;; [unrolled: 1-line block ×3, first 2 shown]
	global_store_dwordx2 v1, v[2:3], s[0:1]
	global_store_dwordx2 v1, v[4:5], s[0:1] offset:2048
	s_mov_b64 s[0:1], 0
.LBB18_2:
	s_andn2_b64 vcc, exec, s[0:1]
	s_cbranch_vccnz .LBB18_27
; %bb.3:
	v_cmp_gt_i32_e32 vcc, s12, v0
	v_mov_b32_e32 v1, 0
	v_or_b32_e32 v2, s14, v0
	v_mov_b32_e32 v7, 0
	v_mov_b32_e32 v3, v0
	s_and_saveexec_b64 s[2:3], vcc
	s_cbranch_execz .LBB18_5
; %bb.4:
	v_mov_b32_e32 v3, 0
	v_lshlrev_b64 v[4:5], 1, v[2:3]
	v_mov_b32_e32 v3, s11
	v_add_co_u32_e64 v4, s[0:1], s10, v4
	v_addc_co_u32_e64 v5, s[0:1], v3, v5, s[0:1]
	global_load_ushort v7, v[4:5], off
	v_or_b32_e32 v3, 0x100, v0
.LBB18_5:
	s_or_b64 exec, exec, s[2:3]
	v_cmp_gt_i32_e64 s[0:1], s12, v3
	s_and_saveexec_b64 s[2:3], s[0:1]
	s_cbranch_execz .LBB18_7
; %bb.6:
	v_add_u32_e32 v4, s14, v3
	v_mov_b32_e32 v5, 0
	v_lshlrev_b64 v[4:5], 1, v[4:5]
	v_mov_b32_e32 v1, s11
	v_add_co_u32_e64 v4, s[0:1], s10, v4
	v_addc_co_u32_e64 v5, s[0:1], v1, v5, s[0:1]
	global_load_ushort v1, v[4:5], off
	v_add_u32_e32 v3, 0x100, v3
.LBB18_7:
	s_or_b64 exec, exec, s[2:3]
	v_cmp_gt_i32_e64 s[0:1], s12, v3
	v_mov_b32_e32 v4, 0
	v_mov_b32_e32 v8, 0
	s_and_saveexec_b64 s[2:3], s[0:1]
	s_cbranch_execz .LBB18_9
; %bb.8:
	v_add_u32_e32 v8, s14, v3
	v_mov_b32_e32 v9, 0
	v_lshlrev_b64 v[8:9], 1, v[8:9]
	v_mov_b32_e32 v5, s11
	v_add_co_u32_e64 v8, s[0:1], s10, v8
	v_addc_co_u32_e64 v9, s[0:1], v5, v9, s[0:1]
	global_load_ushort v8, v[8:9], off
	v_add_u32_e32 v3, 0x100, v3
.LBB18_9:
	s_or_b64 exec, exec, s[2:3]
	v_cmp_gt_i32_e64 s[0:1], s12, v3
	s_and_saveexec_b64 s[2:3], s[0:1]
	s_cbranch_execz .LBB18_11
; %bb.10:
	v_add_u32_e32 v4, s14, v3
	v_mov_b32_e32 v5, 0
	v_lshlrev_b64 v[4:5], 1, v[4:5]
	v_mov_b32_e32 v6, s11
	v_add_co_u32_e64 v4, s[0:1], s10, v4
	v_addc_co_u32_e64 v5, s[0:1], v6, v5, s[0:1]
	global_load_ushort v4, v[4:5], off
	v_add_u32_e32 v3, 0x100, v3
.LBB18_11:
	s_or_b64 exec, exec, s[2:3]
	v_cmp_gt_i32_e64 s[0:1], s12, v3
	v_mov_b32_e32 v5, 0
	v_mov_b32_e32 v9, 0
	s_and_saveexec_b64 s[2:3], s[0:1]
	s_cbranch_execz .LBB18_13
; %bb.12:
	v_add_u32_e32 v10, s14, v3
	v_mov_b32_e32 v11, 0
	v_lshlrev_b64 v[10:11], 1, v[10:11]
	v_mov_b32_e32 v6, s11
	v_add_co_u32_e64 v10, s[0:1], s10, v10
	v_addc_co_u32_e64 v11, s[0:1], v6, v11, s[0:1]
	global_load_ushort v9, v[10:11], off
	v_add_u32_e32 v3, 0x100, v3
.LBB18_13:
	s_or_b64 exec, exec, s[2:3]
	v_cmp_gt_i32_e64 s[0:1], s12, v3
	s_and_saveexec_b64 s[2:3], s[0:1]
	s_cbranch_execz .LBB18_15
; %bb.14:
	v_add_u32_e32 v10, s14, v3
	v_mov_b32_e32 v11, 0
	v_lshlrev_b64 v[10:11], 1, v[10:11]
	v_mov_b32_e32 v5, s11
	v_add_co_u32_e64 v10, s[0:1], s10, v10
	v_addc_co_u32_e64 v11, s[0:1], v5, v11, s[0:1]
	global_load_ushort v5, v[10:11], off
	v_add_u32_e32 v3, 0x100, v3
.LBB18_15:
	s_or_b64 exec, exec, s[2:3]
	v_cmp_gt_i32_e64 s[0:1], s12, v3
	v_mov_b32_e32 v6, 0
	v_mov_b32_e32 v10, 0
	s_and_saveexec_b64 s[2:3], s[0:1]
	s_cbranch_execnz .LBB18_28
; %bb.16:
	s_or_b64 exec, exec, s[2:3]
	v_cmp_gt_i32_e64 s[0:1], s12, v3
	s_and_saveexec_b64 s[2:3], s[0:1]
	s_cbranch_execnz .LBB18_29
.LBB18_17:
	s_or_b64 exec, exec, s[2:3]
	s_and_saveexec_b64 s[0:1], vcc
	s_cbranch_execz .LBB18_19
.LBB18_18:
	v_mov_b32_e32 v3, 0
	v_lshlrev_b64 v[2:3], 1, v[2:3]
	v_mov_b32_e32 v11, s9
	v_add_co_u32_e32 v2, vcc, s8, v2
	v_addc_co_u32_e32 v3, vcc, v11, v3, vcc
	s_waitcnt vmcnt(0)
	v_cmp_nge_f16_e64 s[2:3], v7, -s13
	v_cmp_nge_f16_e32 vcc, s13, v7
	s_or_b64 vcc, s[2:3], vcc
	v_or_b32_e32 v0, 0x100, v0
	v_cndmask_b32_e32 v7, 0, v7, vcc
	global_store_short v[2:3], v7, off
.LBB18_19:
	s_or_b64 exec, exec, s[0:1]
	s_xor_b32 s4, s13, 0x8000
	v_cmp_gt_i32_e32 vcc, s12, v0
	s_and_saveexec_b64 s[2:3], vcc
	s_cbranch_execnz .LBB18_30
; %bb.20:
	s_or_b64 exec, exec, s[2:3]
	v_cmp_gt_i32_e32 vcc, s12, v0
	s_and_saveexec_b64 s[2:3], vcc
	s_cbranch_execnz .LBB18_31
.LBB18_21:
	s_or_b64 exec, exec, s[2:3]
	v_cmp_gt_i32_e32 vcc, s12, v0
	s_and_saveexec_b64 s[2:3], vcc
	s_cbranch_execnz .LBB18_32
.LBB18_22:
	s_or_b64 exec, exec, s[2:3]
	v_cmp_gt_i32_e32 vcc, s12, v0
	s_and_saveexec_b64 s[2:3], vcc
	s_cbranch_execnz .LBB18_33
.LBB18_23:
	s_or_b64 exec, exec, s[2:3]
	v_cmp_gt_i32_e32 vcc, s12, v0
	s_and_saveexec_b64 s[2:3], vcc
	s_cbranch_execnz .LBB18_34
.LBB18_24:
	s_or_b64 exec, exec, s[2:3]
	v_cmp_gt_i32_e32 vcc, s12, v0
	s_and_saveexec_b64 s[2:3], vcc
	s_cbranch_execnz .LBB18_35
.LBB18_25:
	s_or_b64 exec, exec, s[2:3]
	v_cmp_gt_i32_e32 vcc, s12, v0
	s_and_saveexec_b64 s[0:1], vcc
	s_cbranch_execz .LBB18_27
.LBB18_26:
	s_waitcnt vmcnt(0)
	v_cmp_nle_f16_e32 vcc, s4, v6
	v_cmp_nge_f16_e64 s[0:1], s13, v6
	v_add_u32_e32 v0, s14, v0
	v_mov_b32_e32 v1, 0
	s_or_b64 vcc, vcc, s[0:1]
	v_lshlrev_b64 v[0:1], 1, v[0:1]
	v_cndmask_b32_e32 v2, 0, v6, vcc
	v_mov_b32_e32 v3, s9
	v_add_co_u32_e32 v0, vcc, s8, v0
	v_addc_co_u32_e32 v1, vcc, v3, v1, vcc
	global_store_short v[0:1], v2, off
.LBB18_27:
	s_endpgm
.LBB18_28:
	v_add_u32_e32 v10, s14, v3
	v_mov_b32_e32 v11, 0
	v_lshlrev_b64 v[10:11], 1, v[10:11]
	v_mov_b32_e32 v12, s11
	v_add_co_u32_e64 v10, s[0:1], s10, v10
	v_addc_co_u32_e64 v11, s[0:1], v12, v11, s[0:1]
	global_load_ushort v10, v[10:11], off
	v_add_u32_e32 v3, 0x100, v3
	s_or_b64 exec, exec, s[2:3]
	v_cmp_gt_i32_e64 s[0:1], s12, v3
	s_and_saveexec_b64 s[2:3], s[0:1]
	s_cbranch_execz .LBB18_17
.LBB18_29:
	v_add_u32_e32 v12, s14, v3
	v_mov_b32_e32 v13, 0
	v_lshlrev_b64 v[12:13], 1, v[12:13]
	v_mov_b32_e32 v3, s11
	v_add_co_u32_e64 v12, s[0:1], s10, v12
	v_addc_co_u32_e64 v13, s[0:1], v3, v13, s[0:1]
	global_load_ushort v6, v[12:13], off
	s_or_b64 exec, exec, s[2:3]
	s_and_saveexec_b64 s[0:1], vcc
	s_cbranch_execnz .LBB18_18
	s_branch .LBB18_19
.LBB18_30:
	s_waitcnt vmcnt(0)
	v_cmp_nle_f16_e32 vcc, s4, v1
	v_cmp_nge_f16_e64 s[0:1], s13, v1
	v_add_u32_e32 v2, s14, v0
	v_mov_b32_e32 v3, 0
	s_or_b64 vcc, vcc, s[0:1]
	v_lshlrev_b64 v[2:3], 1, v[2:3]
	v_cndmask_b32_e32 v1, 0, v1, vcc
	v_mov_b32_e32 v7, s9
	v_add_co_u32_e32 v2, vcc, s8, v2
	v_addc_co_u32_e32 v3, vcc, v7, v3, vcc
	v_add_u32_e32 v0, 0x100, v0
	global_store_short v[2:3], v1, off
	s_or_b64 exec, exec, s[2:3]
	v_cmp_gt_i32_e32 vcc, s12, v0
	s_and_saveexec_b64 s[2:3], vcc
	s_cbranch_execz .LBB18_21
.LBB18_31:
	s_waitcnt vmcnt(0)
	v_cmp_nle_f16_e32 vcc, s4, v8
	v_cmp_nge_f16_e64 s[0:1], s13, v8
	v_add_u32_e32 v2, s14, v0
	v_mov_b32_e32 v3, 0
	s_or_b64 vcc, vcc, s[0:1]
	v_lshlrev_b64 v[2:3], 1, v[2:3]
	v_cndmask_b32_e32 v1, 0, v8, vcc
	v_mov_b32_e32 v7, s9
	v_add_co_u32_e32 v2, vcc, s8, v2
	v_addc_co_u32_e32 v3, vcc, v7, v3, vcc
	v_add_u32_e32 v0, 0x100, v0
	global_store_short v[2:3], v1, off
	s_or_b64 exec, exec, s[2:3]
	v_cmp_gt_i32_e32 vcc, s12, v0
	s_and_saveexec_b64 s[2:3], vcc
	s_cbranch_execz .LBB18_22
.LBB18_32:
	s_waitcnt vmcnt(0)
	v_cmp_nle_f16_e32 vcc, s4, v4
	v_cmp_nge_f16_e64 s[0:1], s13, v4
	v_add_u32_e32 v2, s14, v0
	v_mov_b32_e32 v3, 0
	s_or_b64 vcc, vcc, s[0:1]
	v_lshlrev_b64 v[2:3], 1, v[2:3]
	v_cndmask_b32_e32 v1, 0, v4, vcc
	v_mov_b32_e32 v4, s9
	v_add_co_u32_e32 v2, vcc, s8, v2
	v_addc_co_u32_e32 v3, vcc, v4, v3, vcc
	v_add_u32_e32 v0, 0x100, v0
	global_store_short v[2:3], v1, off
	s_or_b64 exec, exec, s[2:3]
	v_cmp_gt_i32_e32 vcc, s12, v0
	s_and_saveexec_b64 s[2:3], vcc
	s_cbranch_execz .LBB18_23
.LBB18_33:
	s_waitcnt vmcnt(0)
	v_cmp_nle_f16_e32 vcc, s4, v9
	v_cmp_nge_f16_e64 s[0:1], s13, v9
	v_add_u32_e32 v2, s14, v0
	v_mov_b32_e32 v3, 0
	s_or_b64 vcc, vcc, s[0:1]
	v_lshlrev_b64 v[2:3], 1, v[2:3]
	v_cndmask_b32_e32 v1, 0, v9, vcc
	v_mov_b32_e32 v4, s9
	v_add_co_u32_e32 v2, vcc, s8, v2
	v_addc_co_u32_e32 v3, vcc, v4, v3, vcc
	v_add_u32_e32 v0, 0x100, v0
	global_store_short v[2:3], v1, off
	s_or_b64 exec, exec, s[2:3]
	v_cmp_gt_i32_e32 vcc, s12, v0
	s_and_saveexec_b64 s[2:3], vcc
	s_cbranch_execz .LBB18_24
.LBB18_34:
	s_waitcnt vmcnt(0)
	v_cmp_nle_f16_e32 vcc, s4, v5
	v_cmp_nge_f16_e64 s[0:1], s13, v5
	v_add_u32_e32 v2, s14, v0
	v_mov_b32_e32 v3, 0
	s_or_b64 vcc, vcc, s[0:1]
	v_lshlrev_b64 v[2:3], 1, v[2:3]
	v_cndmask_b32_e32 v1, 0, v5, vcc
	v_mov_b32_e32 v4, s9
	v_add_co_u32_e32 v2, vcc, s8, v2
	v_addc_co_u32_e32 v3, vcc, v4, v3, vcc
	v_add_u32_e32 v0, 0x100, v0
	global_store_short v[2:3], v1, off
	s_or_b64 exec, exec, s[2:3]
	v_cmp_gt_i32_e32 vcc, s12, v0
	s_and_saveexec_b64 s[2:3], vcc
	s_cbranch_execz .LBB18_25
.LBB18_35:
	s_waitcnt vmcnt(0)
	v_cmp_nle_f16_e32 vcc, s4, v10
	v_cmp_nge_f16_e64 s[0:1], s13, v10
	v_add_u32_e32 v2, s14, v0
	v_mov_b32_e32 v3, 0
	s_or_b64 vcc, vcc, s[0:1]
	v_lshlrev_b64 v[2:3], 1, v[2:3]
	v_cndmask_b32_e32 v1, 0, v10, vcc
	v_mov_b32_e32 v4, s9
	v_add_co_u32_e32 v2, vcc, s8, v2
	v_addc_co_u32_e32 v3, vcc, v4, v3, vcc
	v_add_u32_e32 v0, 0x100, v0
	global_store_short v[2:3], v1, off
	s_or_b64 exec, exec, s[2:3]
	v_cmp_gt_i32_e32 vcc, s12, v0
	s_and_saveexec_b64 s[0:1], vcc
	s_cbranch_execnz .LBB18_26
	s_branch .LBB18_27
	.section	.rodata,"a",@progbits
	.p2align	6, 0x0
	.amdhsa_kernel _ZN2at6native29vectorized_elementwise_kernelILi4EZZZNS0_12_GLOBAL__N_117hardshrink_kernelERNS_18TensorIteratorBaseERKN3c106ScalarEENKUlvE_clEvENKUlvE1_clEvEUlNS5_4HalfEE_St5arrayIPcLm2EEEEviT0_T1_
		.amdhsa_group_segment_fixed_size 0
		.amdhsa_private_segment_fixed_size 0
		.amdhsa_kernarg_size 24
		.amdhsa_user_sgpr_count 6
		.amdhsa_user_sgpr_private_segment_buffer 1
		.amdhsa_user_sgpr_dispatch_ptr 0
		.amdhsa_user_sgpr_queue_ptr 0
		.amdhsa_user_sgpr_kernarg_segment_ptr 1
		.amdhsa_user_sgpr_dispatch_id 0
		.amdhsa_user_sgpr_flat_scratch_init 0
		.amdhsa_user_sgpr_kernarg_preload_length 0
		.amdhsa_user_sgpr_kernarg_preload_offset 0
		.amdhsa_user_sgpr_private_segment_size 0
		.amdhsa_uses_dynamic_stack 0
		.amdhsa_system_sgpr_private_segment_wavefront_offset 0
		.amdhsa_system_sgpr_workgroup_id_x 1
		.amdhsa_system_sgpr_workgroup_id_y 0
		.amdhsa_system_sgpr_workgroup_id_z 0
		.amdhsa_system_sgpr_workgroup_info 0
		.amdhsa_system_vgpr_workitem_id 0
		.amdhsa_next_free_vgpr 14
		.amdhsa_next_free_sgpr 42
		.amdhsa_accum_offset 16
		.amdhsa_reserve_vcc 1
		.amdhsa_reserve_flat_scratch 0
		.amdhsa_float_round_mode_32 0
		.amdhsa_float_round_mode_16_64 0
		.amdhsa_float_denorm_mode_32 3
		.amdhsa_float_denorm_mode_16_64 3
		.amdhsa_dx10_clamp 1
		.amdhsa_ieee_mode 1
		.amdhsa_fp16_overflow 0
		.amdhsa_tg_split 0
		.amdhsa_exception_fp_ieee_invalid_op 0
		.amdhsa_exception_fp_denorm_src 0
		.amdhsa_exception_fp_ieee_div_zero 0
		.amdhsa_exception_fp_ieee_overflow 0
		.amdhsa_exception_fp_ieee_underflow 0
		.amdhsa_exception_fp_ieee_inexact 0
		.amdhsa_exception_int_div_zero 0
	.end_amdhsa_kernel
	.section	.text._ZN2at6native29vectorized_elementwise_kernelILi4EZZZNS0_12_GLOBAL__N_117hardshrink_kernelERNS_18TensorIteratorBaseERKN3c106ScalarEENKUlvE_clEvENKUlvE1_clEvEUlNS5_4HalfEE_St5arrayIPcLm2EEEEviT0_T1_,"axG",@progbits,_ZN2at6native29vectorized_elementwise_kernelILi4EZZZNS0_12_GLOBAL__N_117hardshrink_kernelERNS_18TensorIteratorBaseERKN3c106ScalarEENKUlvE_clEvENKUlvE1_clEvEUlNS5_4HalfEE_St5arrayIPcLm2EEEEviT0_T1_,comdat
.Lfunc_end18:
	.size	_ZN2at6native29vectorized_elementwise_kernelILi4EZZZNS0_12_GLOBAL__N_117hardshrink_kernelERNS_18TensorIteratorBaseERKN3c106ScalarEENKUlvE_clEvENKUlvE1_clEvEUlNS5_4HalfEE_St5arrayIPcLm2EEEEviT0_T1_, .Lfunc_end18-_ZN2at6native29vectorized_elementwise_kernelILi4EZZZNS0_12_GLOBAL__N_117hardshrink_kernelERNS_18TensorIteratorBaseERKN3c106ScalarEENKUlvE_clEvENKUlvE1_clEvEUlNS5_4HalfEE_St5arrayIPcLm2EEEEviT0_T1_
                                        ; -- End function
	.section	.AMDGPU.csdata,"",@progbits
; Kernel info:
; codeLenInByte = 1824
; NumSgprs: 46
; NumVgprs: 14
; NumAgprs: 0
; TotalNumVgprs: 14
; ScratchSize: 0
; MemoryBound: 0
; FloatMode: 240
; IeeeMode: 1
; LDSByteSize: 0 bytes/workgroup (compile time only)
; SGPRBlocks: 5
; VGPRBlocks: 1
; NumSGPRsForWavesPerEU: 46
; NumVGPRsForWavesPerEU: 14
; AccumOffset: 16
; Occupancy: 8
; WaveLimiterHint : 1
; COMPUTE_PGM_RSRC2:SCRATCH_EN: 0
; COMPUTE_PGM_RSRC2:USER_SGPR: 6
; COMPUTE_PGM_RSRC2:TRAP_HANDLER: 0
; COMPUTE_PGM_RSRC2:TGID_X_EN: 1
; COMPUTE_PGM_RSRC2:TGID_Y_EN: 0
; COMPUTE_PGM_RSRC2:TGID_Z_EN: 0
; COMPUTE_PGM_RSRC2:TIDIG_COMP_CNT: 0
; COMPUTE_PGM_RSRC3_GFX90A:ACCUM_OFFSET: 3
; COMPUTE_PGM_RSRC3_GFX90A:TG_SPLIT: 0
	.section	.text._ZN2at6native29vectorized_elementwise_kernelILi2EZZZNS0_12_GLOBAL__N_117hardshrink_kernelERNS_18TensorIteratorBaseERKN3c106ScalarEENKUlvE_clEvENKUlvE1_clEvEUlNS5_4HalfEE_St5arrayIPcLm2EEEEviT0_T1_,"axG",@progbits,_ZN2at6native29vectorized_elementwise_kernelILi2EZZZNS0_12_GLOBAL__N_117hardshrink_kernelERNS_18TensorIteratorBaseERKN3c106ScalarEENKUlvE_clEvENKUlvE1_clEvEUlNS5_4HalfEE_St5arrayIPcLm2EEEEviT0_T1_,comdat
	.globl	_ZN2at6native29vectorized_elementwise_kernelILi2EZZZNS0_12_GLOBAL__N_117hardshrink_kernelERNS_18TensorIteratorBaseERKN3c106ScalarEENKUlvE_clEvENKUlvE1_clEvEUlNS5_4HalfEE_St5arrayIPcLm2EEEEviT0_T1_ ; -- Begin function _ZN2at6native29vectorized_elementwise_kernelILi2EZZZNS0_12_GLOBAL__N_117hardshrink_kernelERNS_18TensorIteratorBaseERKN3c106ScalarEENKUlvE_clEvENKUlvE1_clEvEUlNS5_4HalfEE_St5arrayIPcLm2EEEEviT0_T1_
	.p2align	8
	.type	_ZN2at6native29vectorized_elementwise_kernelILi2EZZZNS0_12_GLOBAL__N_117hardshrink_kernelERNS_18TensorIteratorBaseERKN3c106ScalarEENKUlvE_clEvENKUlvE1_clEvEUlNS5_4HalfEE_St5arrayIPcLm2EEEEviT0_T1_,@function
_ZN2at6native29vectorized_elementwise_kernelILi2EZZZNS0_12_GLOBAL__N_117hardshrink_kernelERNS_18TensorIteratorBaseERKN3c106ScalarEENKUlvE_clEvENKUlvE1_clEvEUlNS5_4HalfEE_St5arrayIPcLm2EEEEviT0_T1_: ; @_ZN2at6native29vectorized_elementwise_kernelILi2EZZZNS0_12_GLOBAL__N_117hardshrink_kernelERNS_18TensorIteratorBaseERKN3c106ScalarEENKUlvE_clEvENKUlvE1_clEvEUlNS5_4HalfEE_St5arrayIPcLm2EEEEviT0_T1_
; %bb.0:
	s_load_dwordx2 s[12:13], s[4:5], 0x0
	s_load_dwordx4 s[8:11], s[4:5], 0x8
	s_lshl_b32 s14, s6, 11
	s_mov_b64 s[0:1], -1
	s_waitcnt lgkmcnt(0)
	s_sub_i32 s12, s12, s14
	s_cmpk_gt_i32 s12, 0x7ff
	s_cbranch_scc0 .LBB19_2
; %bb.1:
	s_ashr_i32 s15, s14, 31
	s_lshl_b64 s[16:17], s[14:15], 1
	s_add_u32 s0, s10, s16
	s_addc_u32 s1, s11, s17
	v_lshlrev_b32_e32 v1, 2, v0
	global_load_dword v2, v1, s[0:1]
	global_load_dword v3, v1, s[0:1] offset:1024
	global_load_dword v4, v1, s[0:1] offset:2048
	;; [unrolled: 1-line block ×3, first 2 shown]
	s_waitcnt vmcnt(3)
	v_cmp_nge_f16_e64 s[18:19], v2, -s13
	v_cmp_nge_f16_e32 vcc, s13, v2
	v_and_b32_e32 v6, 0xffff, v2
	s_waitcnt vmcnt(2)
	v_cmp_nge_f16_sdwa s[24:25], v3, -s13 src0_sel:WORD_1 src1_sel:DWORD
	v_cmp_nle_f16_sdwa s[26:27], v3, s13 src0_sel:WORD_1 src1_sel:DWORD
	s_or_b64 vcc, s[18:19], vcc
	v_cmp_nge_f16_e64 s[22:23], v3, -s13
	v_cmp_nge_f16_e64 s[0:1], s13, v3
	v_and_b32_e32 v7, 0xffff, v3
	v_and_b32_e32 v3, 0xffff0000, v3
	v_cndmask_b32_e32 v6, 0, v6, vcc
	s_or_b64 vcc, s[24:25], s[26:27]
	s_waitcnt vmcnt(1)
	v_cmp_nge_f16_sdwa s[30:31], v4, -s13 src0_sel:WORD_1 src1_sel:DWORD
	v_cmp_nle_f16_sdwa s[34:35], v4, s13 src0_sel:WORD_1 src1_sel:DWORD
	v_cndmask_b32_e32 v3, 0, v3, vcc
	s_or_b64 vcc, s[22:23], s[0:1]
	v_cmp_nge_f16_e64 s[28:29], v4, -s13
	v_cmp_nge_f16_e64 s[2:3], s13, v4
	v_and_b32_e32 v8, 0xffff, v4
	v_and_b32_e32 v4, 0xffff0000, v4
	v_cndmask_b32_e32 v7, 0, v7, vcc
	s_or_b64 vcc, s[30:31], s[34:35]
	s_waitcnt vmcnt(0)
	v_cmp_nge_f16_sdwa s[38:39], v5, -s13 src0_sel:WORD_1 src1_sel:DWORD
	v_cmp_nle_f16_sdwa s[40:41], v5, s13 src0_sel:WORD_1 src1_sel:DWORD
	v_cndmask_b32_e32 v4, 0, v4, vcc
	s_or_b64 vcc, s[28:29], s[2:3]
	v_cmp_nge_f16_sdwa s[6:7], v2, -s13 src0_sel:WORD_1 src1_sel:DWORD
	v_cmp_nle_f16_sdwa s[20:21], v2, s13 src0_sel:WORD_1 src1_sel:DWORD
	v_cmp_nge_f16_e64 s[36:37], v5, -s13
	v_cmp_nge_f16_e64 s[4:5], s13, v5
	v_and_b32_e32 v9, 0xffff, v5
	v_and_b32_e32 v5, 0xffff0000, v5
	v_cndmask_b32_e32 v8, 0, v8, vcc
	s_or_b64 vcc, s[38:39], s[40:41]
	v_and_b32_e32 v2, 0xffff0000, v2
	s_or_b64 s[6:7], s[6:7], s[20:21]
	v_cndmask_b32_e32 v5, 0, v5, vcc
	s_or_b64 vcc, s[36:37], s[4:5]
	v_cndmask_b32_e64 v2, 0, v2, s[6:7]
	s_add_u32 s0, s8, s16
	v_cndmask_b32_e32 v9, 0, v9, vcc
	v_or_b32_e32 v2, v2, v6
	s_addc_u32 s1, s9, s17
	v_or_b32_e32 v3, v3, v7
	v_or_b32_e32 v4, v4, v8
	;; [unrolled: 1-line block ×3, first 2 shown]
	global_store_dword v1, v2, s[0:1]
	global_store_dword v1, v3, s[0:1] offset:1024
	global_store_dword v1, v4, s[0:1] offset:2048
	;; [unrolled: 1-line block ×3, first 2 shown]
	s_mov_b64 s[0:1], 0
.LBB19_2:
	s_andn2_b64 vcc, exec, s[0:1]
	s_cbranch_vccnz .LBB19_27
; %bb.3:
	v_cmp_gt_i32_e32 vcc, s12, v0
	v_mov_b32_e32 v1, 0
	v_or_b32_e32 v2, s14, v0
	v_mov_b32_e32 v7, 0
	v_mov_b32_e32 v3, v0
	s_and_saveexec_b64 s[2:3], vcc
	s_cbranch_execz .LBB19_5
; %bb.4:
	v_mov_b32_e32 v3, 0
	v_lshlrev_b64 v[4:5], 1, v[2:3]
	v_mov_b32_e32 v3, s11
	v_add_co_u32_e64 v4, s[0:1], s10, v4
	v_addc_co_u32_e64 v5, s[0:1], v3, v5, s[0:1]
	global_load_ushort v7, v[4:5], off
	v_or_b32_e32 v3, 0x100, v0
.LBB19_5:
	s_or_b64 exec, exec, s[2:3]
	v_cmp_gt_i32_e64 s[0:1], s12, v3
	s_and_saveexec_b64 s[2:3], s[0:1]
	s_cbranch_execz .LBB19_7
; %bb.6:
	v_add_u32_e32 v4, s14, v3
	v_mov_b32_e32 v5, 0
	v_lshlrev_b64 v[4:5], 1, v[4:5]
	v_mov_b32_e32 v1, s11
	v_add_co_u32_e64 v4, s[0:1], s10, v4
	v_addc_co_u32_e64 v5, s[0:1], v1, v5, s[0:1]
	global_load_ushort v1, v[4:5], off
	v_add_u32_e32 v3, 0x100, v3
.LBB19_7:
	s_or_b64 exec, exec, s[2:3]
	v_cmp_gt_i32_e64 s[0:1], s12, v3
	v_mov_b32_e32 v4, 0
	v_mov_b32_e32 v8, 0
	s_and_saveexec_b64 s[2:3], s[0:1]
	s_cbranch_execz .LBB19_9
; %bb.8:
	v_add_u32_e32 v8, s14, v3
	v_mov_b32_e32 v9, 0
	v_lshlrev_b64 v[8:9], 1, v[8:9]
	v_mov_b32_e32 v5, s11
	v_add_co_u32_e64 v8, s[0:1], s10, v8
	v_addc_co_u32_e64 v9, s[0:1], v5, v9, s[0:1]
	global_load_ushort v8, v[8:9], off
	v_add_u32_e32 v3, 0x100, v3
.LBB19_9:
	s_or_b64 exec, exec, s[2:3]
	v_cmp_gt_i32_e64 s[0:1], s12, v3
	s_and_saveexec_b64 s[2:3], s[0:1]
	s_cbranch_execz .LBB19_11
; %bb.10:
	v_add_u32_e32 v4, s14, v3
	v_mov_b32_e32 v5, 0
	v_lshlrev_b64 v[4:5], 1, v[4:5]
	v_mov_b32_e32 v6, s11
	v_add_co_u32_e64 v4, s[0:1], s10, v4
	v_addc_co_u32_e64 v5, s[0:1], v6, v5, s[0:1]
	global_load_ushort v4, v[4:5], off
	v_add_u32_e32 v3, 0x100, v3
.LBB19_11:
	s_or_b64 exec, exec, s[2:3]
	v_cmp_gt_i32_e64 s[0:1], s12, v3
	v_mov_b32_e32 v5, 0
	v_mov_b32_e32 v9, 0
	s_and_saveexec_b64 s[2:3], s[0:1]
	s_cbranch_execz .LBB19_13
; %bb.12:
	v_add_u32_e32 v10, s14, v3
	v_mov_b32_e32 v11, 0
	v_lshlrev_b64 v[10:11], 1, v[10:11]
	v_mov_b32_e32 v6, s11
	v_add_co_u32_e64 v10, s[0:1], s10, v10
	v_addc_co_u32_e64 v11, s[0:1], v6, v11, s[0:1]
	global_load_ushort v9, v[10:11], off
	v_add_u32_e32 v3, 0x100, v3
.LBB19_13:
	s_or_b64 exec, exec, s[2:3]
	v_cmp_gt_i32_e64 s[0:1], s12, v3
	s_and_saveexec_b64 s[2:3], s[0:1]
	s_cbranch_execz .LBB19_15
; %bb.14:
	v_add_u32_e32 v10, s14, v3
	v_mov_b32_e32 v11, 0
	v_lshlrev_b64 v[10:11], 1, v[10:11]
	v_mov_b32_e32 v5, s11
	v_add_co_u32_e64 v10, s[0:1], s10, v10
	v_addc_co_u32_e64 v11, s[0:1], v5, v11, s[0:1]
	global_load_ushort v5, v[10:11], off
	v_add_u32_e32 v3, 0x100, v3
.LBB19_15:
	s_or_b64 exec, exec, s[2:3]
	v_cmp_gt_i32_e64 s[0:1], s12, v3
	v_mov_b32_e32 v6, 0
	v_mov_b32_e32 v10, 0
	s_and_saveexec_b64 s[2:3], s[0:1]
	s_cbranch_execnz .LBB19_28
; %bb.16:
	s_or_b64 exec, exec, s[2:3]
	v_cmp_gt_i32_e64 s[0:1], s12, v3
	s_and_saveexec_b64 s[2:3], s[0:1]
	s_cbranch_execnz .LBB19_29
.LBB19_17:
	s_or_b64 exec, exec, s[2:3]
	s_and_saveexec_b64 s[0:1], vcc
	s_cbranch_execz .LBB19_19
.LBB19_18:
	v_mov_b32_e32 v3, 0
	v_lshlrev_b64 v[2:3], 1, v[2:3]
	v_mov_b32_e32 v11, s9
	v_add_co_u32_e32 v2, vcc, s8, v2
	v_addc_co_u32_e32 v3, vcc, v11, v3, vcc
	s_waitcnt vmcnt(0)
	v_cmp_nge_f16_e64 s[2:3], v7, -s13
	v_cmp_nge_f16_e32 vcc, s13, v7
	s_or_b64 vcc, s[2:3], vcc
	v_or_b32_e32 v0, 0x100, v0
	v_cndmask_b32_e32 v7, 0, v7, vcc
	global_store_short v[2:3], v7, off
.LBB19_19:
	s_or_b64 exec, exec, s[0:1]
	s_xor_b32 s4, s13, 0x8000
	v_cmp_gt_i32_e32 vcc, s12, v0
	s_and_saveexec_b64 s[2:3], vcc
	s_cbranch_execnz .LBB19_30
; %bb.20:
	s_or_b64 exec, exec, s[2:3]
	v_cmp_gt_i32_e32 vcc, s12, v0
	s_and_saveexec_b64 s[2:3], vcc
	s_cbranch_execnz .LBB19_31
.LBB19_21:
	s_or_b64 exec, exec, s[2:3]
	v_cmp_gt_i32_e32 vcc, s12, v0
	s_and_saveexec_b64 s[2:3], vcc
	s_cbranch_execnz .LBB19_32
.LBB19_22:
	s_or_b64 exec, exec, s[2:3]
	v_cmp_gt_i32_e32 vcc, s12, v0
	s_and_saveexec_b64 s[2:3], vcc
	s_cbranch_execnz .LBB19_33
.LBB19_23:
	s_or_b64 exec, exec, s[2:3]
	v_cmp_gt_i32_e32 vcc, s12, v0
	s_and_saveexec_b64 s[2:3], vcc
	s_cbranch_execnz .LBB19_34
.LBB19_24:
	s_or_b64 exec, exec, s[2:3]
	v_cmp_gt_i32_e32 vcc, s12, v0
	s_and_saveexec_b64 s[2:3], vcc
	s_cbranch_execnz .LBB19_35
.LBB19_25:
	s_or_b64 exec, exec, s[2:3]
	v_cmp_gt_i32_e32 vcc, s12, v0
	s_and_saveexec_b64 s[0:1], vcc
	s_cbranch_execz .LBB19_27
.LBB19_26:
	s_waitcnt vmcnt(0)
	v_cmp_nle_f16_e32 vcc, s4, v6
	v_cmp_nge_f16_e64 s[0:1], s13, v6
	v_add_u32_e32 v0, s14, v0
	v_mov_b32_e32 v1, 0
	s_or_b64 vcc, vcc, s[0:1]
	v_lshlrev_b64 v[0:1], 1, v[0:1]
	v_cndmask_b32_e32 v2, 0, v6, vcc
	v_mov_b32_e32 v3, s9
	v_add_co_u32_e32 v0, vcc, s8, v0
	v_addc_co_u32_e32 v1, vcc, v3, v1, vcc
	global_store_short v[0:1], v2, off
.LBB19_27:
	s_endpgm
.LBB19_28:
	v_add_u32_e32 v10, s14, v3
	v_mov_b32_e32 v11, 0
	v_lshlrev_b64 v[10:11], 1, v[10:11]
	v_mov_b32_e32 v12, s11
	v_add_co_u32_e64 v10, s[0:1], s10, v10
	v_addc_co_u32_e64 v11, s[0:1], v12, v11, s[0:1]
	global_load_ushort v10, v[10:11], off
	v_add_u32_e32 v3, 0x100, v3
	s_or_b64 exec, exec, s[2:3]
	v_cmp_gt_i32_e64 s[0:1], s12, v3
	s_and_saveexec_b64 s[2:3], s[0:1]
	s_cbranch_execz .LBB19_17
.LBB19_29:
	v_add_u32_e32 v12, s14, v3
	v_mov_b32_e32 v13, 0
	v_lshlrev_b64 v[12:13], 1, v[12:13]
	v_mov_b32_e32 v3, s11
	v_add_co_u32_e64 v12, s[0:1], s10, v12
	v_addc_co_u32_e64 v13, s[0:1], v3, v13, s[0:1]
	global_load_ushort v6, v[12:13], off
	s_or_b64 exec, exec, s[2:3]
	s_and_saveexec_b64 s[0:1], vcc
	s_cbranch_execnz .LBB19_18
	s_branch .LBB19_19
.LBB19_30:
	s_waitcnt vmcnt(0)
	v_cmp_nle_f16_e32 vcc, s4, v1
	v_cmp_nge_f16_e64 s[0:1], s13, v1
	v_add_u32_e32 v2, s14, v0
	v_mov_b32_e32 v3, 0
	s_or_b64 vcc, vcc, s[0:1]
	v_lshlrev_b64 v[2:3], 1, v[2:3]
	v_cndmask_b32_e32 v1, 0, v1, vcc
	v_mov_b32_e32 v7, s9
	v_add_co_u32_e32 v2, vcc, s8, v2
	v_addc_co_u32_e32 v3, vcc, v7, v3, vcc
	v_add_u32_e32 v0, 0x100, v0
	global_store_short v[2:3], v1, off
	s_or_b64 exec, exec, s[2:3]
	v_cmp_gt_i32_e32 vcc, s12, v0
	s_and_saveexec_b64 s[2:3], vcc
	s_cbranch_execz .LBB19_21
.LBB19_31:
	s_waitcnt vmcnt(0)
	v_cmp_nle_f16_e32 vcc, s4, v8
	v_cmp_nge_f16_e64 s[0:1], s13, v8
	v_add_u32_e32 v2, s14, v0
	v_mov_b32_e32 v3, 0
	s_or_b64 vcc, vcc, s[0:1]
	v_lshlrev_b64 v[2:3], 1, v[2:3]
	v_cndmask_b32_e32 v1, 0, v8, vcc
	v_mov_b32_e32 v7, s9
	v_add_co_u32_e32 v2, vcc, s8, v2
	v_addc_co_u32_e32 v3, vcc, v7, v3, vcc
	v_add_u32_e32 v0, 0x100, v0
	global_store_short v[2:3], v1, off
	s_or_b64 exec, exec, s[2:3]
	v_cmp_gt_i32_e32 vcc, s12, v0
	s_and_saveexec_b64 s[2:3], vcc
	s_cbranch_execz .LBB19_22
.LBB19_32:
	s_waitcnt vmcnt(0)
	v_cmp_nle_f16_e32 vcc, s4, v4
	v_cmp_nge_f16_e64 s[0:1], s13, v4
	v_add_u32_e32 v2, s14, v0
	v_mov_b32_e32 v3, 0
	s_or_b64 vcc, vcc, s[0:1]
	v_lshlrev_b64 v[2:3], 1, v[2:3]
	v_cndmask_b32_e32 v1, 0, v4, vcc
	v_mov_b32_e32 v4, s9
	v_add_co_u32_e32 v2, vcc, s8, v2
	v_addc_co_u32_e32 v3, vcc, v4, v3, vcc
	v_add_u32_e32 v0, 0x100, v0
	global_store_short v[2:3], v1, off
	s_or_b64 exec, exec, s[2:3]
	v_cmp_gt_i32_e32 vcc, s12, v0
	s_and_saveexec_b64 s[2:3], vcc
	s_cbranch_execz .LBB19_23
.LBB19_33:
	s_waitcnt vmcnt(0)
	v_cmp_nle_f16_e32 vcc, s4, v9
	v_cmp_nge_f16_e64 s[0:1], s13, v9
	v_add_u32_e32 v2, s14, v0
	v_mov_b32_e32 v3, 0
	s_or_b64 vcc, vcc, s[0:1]
	v_lshlrev_b64 v[2:3], 1, v[2:3]
	v_cndmask_b32_e32 v1, 0, v9, vcc
	v_mov_b32_e32 v4, s9
	v_add_co_u32_e32 v2, vcc, s8, v2
	v_addc_co_u32_e32 v3, vcc, v4, v3, vcc
	v_add_u32_e32 v0, 0x100, v0
	global_store_short v[2:3], v1, off
	s_or_b64 exec, exec, s[2:3]
	v_cmp_gt_i32_e32 vcc, s12, v0
	s_and_saveexec_b64 s[2:3], vcc
	s_cbranch_execz .LBB19_24
.LBB19_34:
	s_waitcnt vmcnt(0)
	v_cmp_nle_f16_e32 vcc, s4, v5
	v_cmp_nge_f16_e64 s[0:1], s13, v5
	v_add_u32_e32 v2, s14, v0
	v_mov_b32_e32 v3, 0
	s_or_b64 vcc, vcc, s[0:1]
	v_lshlrev_b64 v[2:3], 1, v[2:3]
	v_cndmask_b32_e32 v1, 0, v5, vcc
	v_mov_b32_e32 v4, s9
	v_add_co_u32_e32 v2, vcc, s8, v2
	v_addc_co_u32_e32 v3, vcc, v4, v3, vcc
	v_add_u32_e32 v0, 0x100, v0
	global_store_short v[2:3], v1, off
	s_or_b64 exec, exec, s[2:3]
	v_cmp_gt_i32_e32 vcc, s12, v0
	s_and_saveexec_b64 s[2:3], vcc
	s_cbranch_execz .LBB19_25
.LBB19_35:
	s_waitcnt vmcnt(0)
	v_cmp_nle_f16_e32 vcc, s4, v10
	v_cmp_nge_f16_e64 s[0:1], s13, v10
	v_add_u32_e32 v2, s14, v0
	v_mov_b32_e32 v3, 0
	s_or_b64 vcc, vcc, s[0:1]
	v_lshlrev_b64 v[2:3], 1, v[2:3]
	v_cndmask_b32_e32 v1, 0, v10, vcc
	v_mov_b32_e32 v4, s9
	v_add_co_u32_e32 v2, vcc, s8, v2
	v_addc_co_u32_e32 v3, vcc, v4, v3, vcc
	v_add_u32_e32 v0, 0x100, v0
	global_store_short v[2:3], v1, off
	s_or_b64 exec, exec, s[2:3]
	v_cmp_gt_i32_e32 vcc, s12, v0
	s_and_saveexec_b64 s[0:1], vcc
	s_cbranch_execnz .LBB19_26
	s_branch .LBB19_27
	.section	.rodata,"a",@progbits
	.p2align	6, 0x0
	.amdhsa_kernel _ZN2at6native29vectorized_elementwise_kernelILi2EZZZNS0_12_GLOBAL__N_117hardshrink_kernelERNS_18TensorIteratorBaseERKN3c106ScalarEENKUlvE_clEvENKUlvE1_clEvEUlNS5_4HalfEE_St5arrayIPcLm2EEEEviT0_T1_
		.amdhsa_group_segment_fixed_size 0
		.amdhsa_private_segment_fixed_size 0
		.amdhsa_kernarg_size 24
		.amdhsa_user_sgpr_count 6
		.amdhsa_user_sgpr_private_segment_buffer 1
		.amdhsa_user_sgpr_dispatch_ptr 0
		.amdhsa_user_sgpr_queue_ptr 0
		.amdhsa_user_sgpr_kernarg_segment_ptr 1
		.amdhsa_user_sgpr_dispatch_id 0
		.amdhsa_user_sgpr_flat_scratch_init 0
		.amdhsa_user_sgpr_kernarg_preload_length 0
		.amdhsa_user_sgpr_kernarg_preload_offset 0
		.amdhsa_user_sgpr_private_segment_size 0
		.amdhsa_uses_dynamic_stack 0
		.amdhsa_system_sgpr_private_segment_wavefront_offset 0
		.amdhsa_system_sgpr_workgroup_id_x 1
		.amdhsa_system_sgpr_workgroup_id_y 0
		.amdhsa_system_sgpr_workgroup_id_z 0
		.amdhsa_system_sgpr_workgroup_info 0
		.amdhsa_system_vgpr_workitem_id 0
		.amdhsa_next_free_vgpr 14
		.amdhsa_next_free_sgpr 42
		.amdhsa_accum_offset 16
		.amdhsa_reserve_vcc 1
		.amdhsa_reserve_flat_scratch 0
		.amdhsa_float_round_mode_32 0
		.amdhsa_float_round_mode_16_64 0
		.amdhsa_float_denorm_mode_32 3
		.amdhsa_float_denorm_mode_16_64 3
		.amdhsa_dx10_clamp 1
		.amdhsa_ieee_mode 1
		.amdhsa_fp16_overflow 0
		.amdhsa_tg_split 0
		.amdhsa_exception_fp_ieee_invalid_op 0
		.amdhsa_exception_fp_denorm_src 0
		.amdhsa_exception_fp_ieee_div_zero 0
		.amdhsa_exception_fp_ieee_overflow 0
		.amdhsa_exception_fp_ieee_underflow 0
		.amdhsa_exception_fp_ieee_inexact 0
		.amdhsa_exception_int_div_zero 0
	.end_amdhsa_kernel
	.section	.text._ZN2at6native29vectorized_elementwise_kernelILi2EZZZNS0_12_GLOBAL__N_117hardshrink_kernelERNS_18TensorIteratorBaseERKN3c106ScalarEENKUlvE_clEvENKUlvE1_clEvEUlNS5_4HalfEE_St5arrayIPcLm2EEEEviT0_T1_,"axG",@progbits,_ZN2at6native29vectorized_elementwise_kernelILi2EZZZNS0_12_GLOBAL__N_117hardshrink_kernelERNS_18TensorIteratorBaseERKN3c106ScalarEENKUlvE_clEvENKUlvE1_clEvEUlNS5_4HalfEE_St5arrayIPcLm2EEEEviT0_T1_,comdat
.Lfunc_end19:
	.size	_ZN2at6native29vectorized_elementwise_kernelILi2EZZZNS0_12_GLOBAL__N_117hardshrink_kernelERNS_18TensorIteratorBaseERKN3c106ScalarEENKUlvE_clEvENKUlvE1_clEvEUlNS5_4HalfEE_St5arrayIPcLm2EEEEviT0_T1_, .Lfunc_end19-_ZN2at6native29vectorized_elementwise_kernelILi2EZZZNS0_12_GLOBAL__N_117hardshrink_kernelERNS_18TensorIteratorBaseERKN3c106ScalarEENKUlvE_clEvENKUlvE1_clEvEUlNS5_4HalfEE_St5arrayIPcLm2EEEEviT0_T1_
                                        ; -- End function
	.section	.AMDGPU.csdata,"",@progbits
; Kernel info:
; codeLenInByte = 1832
; NumSgprs: 46
; NumVgprs: 14
; NumAgprs: 0
; TotalNumVgprs: 14
; ScratchSize: 0
; MemoryBound: 0
; FloatMode: 240
; IeeeMode: 1
; LDSByteSize: 0 bytes/workgroup (compile time only)
; SGPRBlocks: 5
; VGPRBlocks: 1
; NumSGPRsForWavesPerEU: 46
; NumVGPRsForWavesPerEU: 14
; AccumOffset: 16
; Occupancy: 8
; WaveLimiterHint : 1
; COMPUTE_PGM_RSRC2:SCRATCH_EN: 0
; COMPUTE_PGM_RSRC2:USER_SGPR: 6
; COMPUTE_PGM_RSRC2:TRAP_HANDLER: 0
; COMPUTE_PGM_RSRC2:TGID_X_EN: 1
; COMPUTE_PGM_RSRC2:TGID_Y_EN: 0
; COMPUTE_PGM_RSRC2:TGID_Z_EN: 0
; COMPUTE_PGM_RSRC2:TIDIG_COMP_CNT: 0
; COMPUTE_PGM_RSRC3_GFX90A:ACCUM_OFFSET: 3
; COMPUTE_PGM_RSRC3_GFX90A:TG_SPLIT: 0
	.section	.text._ZN2at6native27unrolled_elementwise_kernelIZZZNS0_12_GLOBAL__N_117hardshrink_kernelERNS_18TensorIteratorBaseERKN3c106ScalarEENKUlvE_clEvENKUlvE1_clEvEUlNS5_4HalfEE_St5arrayIPcLm2EELi4E23TrivialOffsetCalculatorILi1EjESH_NS0_6memory15LoadWithoutCastENSI_16StoreWithoutCastEEEviT_T0_T2_T3_T4_T5_,"axG",@progbits,_ZN2at6native27unrolled_elementwise_kernelIZZZNS0_12_GLOBAL__N_117hardshrink_kernelERNS_18TensorIteratorBaseERKN3c106ScalarEENKUlvE_clEvENKUlvE1_clEvEUlNS5_4HalfEE_St5arrayIPcLm2EELi4E23TrivialOffsetCalculatorILi1EjESH_NS0_6memory15LoadWithoutCastENSI_16StoreWithoutCastEEEviT_T0_T2_T3_T4_T5_,comdat
	.globl	_ZN2at6native27unrolled_elementwise_kernelIZZZNS0_12_GLOBAL__N_117hardshrink_kernelERNS_18TensorIteratorBaseERKN3c106ScalarEENKUlvE_clEvENKUlvE1_clEvEUlNS5_4HalfEE_St5arrayIPcLm2EELi4E23TrivialOffsetCalculatorILi1EjESH_NS0_6memory15LoadWithoutCastENSI_16StoreWithoutCastEEEviT_T0_T2_T3_T4_T5_ ; -- Begin function _ZN2at6native27unrolled_elementwise_kernelIZZZNS0_12_GLOBAL__N_117hardshrink_kernelERNS_18TensorIteratorBaseERKN3c106ScalarEENKUlvE_clEvENKUlvE1_clEvEUlNS5_4HalfEE_St5arrayIPcLm2EELi4E23TrivialOffsetCalculatorILi1EjESH_NS0_6memory15LoadWithoutCastENSI_16StoreWithoutCastEEEviT_T0_T2_T3_T4_T5_
	.p2align	8
	.type	_ZN2at6native27unrolled_elementwise_kernelIZZZNS0_12_GLOBAL__N_117hardshrink_kernelERNS_18TensorIteratorBaseERKN3c106ScalarEENKUlvE_clEvENKUlvE1_clEvEUlNS5_4HalfEE_St5arrayIPcLm2EELi4E23TrivialOffsetCalculatorILi1EjESH_NS0_6memory15LoadWithoutCastENSI_16StoreWithoutCastEEEviT_T0_T2_T3_T4_T5_,@function
_ZN2at6native27unrolled_elementwise_kernelIZZZNS0_12_GLOBAL__N_117hardshrink_kernelERNS_18TensorIteratorBaseERKN3c106ScalarEENKUlvE_clEvENKUlvE1_clEvEUlNS5_4HalfEE_St5arrayIPcLm2EELi4E23TrivialOffsetCalculatorILi1EjESH_NS0_6memory15LoadWithoutCastENSI_16StoreWithoutCastEEEviT_T0_T2_T3_T4_T5_: ; @_ZN2at6native27unrolled_elementwise_kernelIZZZNS0_12_GLOBAL__N_117hardshrink_kernelERNS_18TensorIteratorBaseERKN3c106ScalarEENKUlvE_clEvENKUlvE1_clEvEUlNS5_4HalfEE_St5arrayIPcLm2EELi4E23TrivialOffsetCalculatorILi1EjESH_NS0_6memory15LoadWithoutCastENSI_16StoreWithoutCastEEEviT_T0_T2_T3_T4_T5_
; %bb.0:
	s_load_dwordx2 s[2:3], s[4:5], 0x0
	s_load_dwordx4 s[8:11], s[4:5], 0x8
	s_lshl_b32 s6, s6, 10
	v_mov_b32_e32 v1, 0
	v_or_b32_e32 v2, s6, v0
	s_waitcnt lgkmcnt(0)
	s_sub_i32 s2, s2, s6
	v_cmp_gt_i32_e32 vcc, s2, v0
	v_mov_b32_e32 v5, 0
	v_mov_b32_e32 v3, v0
	s_and_saveexec_b64 s[4:5], vcc
	s_cbranch_execz .LBB20_2
; %bb.1:
	v_mov_b32_e32 v3, 0
	v_lshlrev_b64 v[4:5], 1, v[2:3]
	v_mov_b32_e32 v3, s11
	v_add_co_u32_e64 v4, s[0:1], s10, v4
	v_addc_co_u32_e64 v5, s[0:1], v3, v5, s[0:1]
	global_load_ushort v5, v[4:5], off
	v_or_b32_e32 v3, 0x100, v0
.LBB20_2:
	s_or_b64 exec, exec, s[4:5]
	v_cmp_gt_i32_e64 s[0:1], s2, v3
	s_and_saveexec_b64 s[4:5], s[0:1]
	s_cbranch_execz .LBB20_4
; %bb.3:
	v_add_u32_e32 v6, s6, v3
	v_mov_b32_e32 v7, 0
	v_lshlrev_b64 v[6:7], 1, v[6:7]
	v_mov_b32_e32 v1, s11
	v_add_co_u32_e64 v6, s[0:1], s10, v6
	v_addc_co_u32_e64 v7, s[0:1], v1, v7, s[0:1]
	global_load_ushort v1, v[6:7], off
	v_add_u32_e32 v3, 0x100, v3
.LBB20_4:
	s_or_b64 exec, exec, s[4:5]
	v_cmp_gt_i32_e64 s[0:1], s2, v3
	v_mov_b32_e32 v4, 0
	v_mov_b32_e32 v6, 0
	s_and_saveexec_b64 s[4:5], s[0:1]
	s_cbranch_execnz .LBB20_12
; %bb.5:
	s_or_b64 exec, exec, s[4:5]
	v_cmp_gt_i32_e64 s[0:1], s2, v3
	s_and_saveexec_b64 s[4:5], s[0:1]
	s_cbranch_execnz .LBB20_13
.LBB20_6:
	s_or_b64 exec, exec, s[4:5]
	s_and_saveexec_b64 s[0:1], vcc
	s_cbranch_execz .LBB20_8
.LBB20_7:
	v_mov_b32_e32 v3, 0
	v_lshlrev_b64 v[2:3], 1, v[2:3]
	v_mov_b32_e32 v7, s9
	v_add_co_u32_e32 v2, vcc, s8, v2
	v_addc_co_u32_e32 v3, vcc, v7, v3, vcc
	s_waitcnt vmcnt(0)
	v_cmp_nge_f16_e64 s[4:5], v5, -s3
	v_cmp_nge_f16_e32 vcc, s3, v5
	s_or_b64 vcc, s[4:5], vcc
	v_or_b32_e32 v0, 0x100, v0
	v_cndmask_b32_e32 v5, 0, v5, vcc
	global_store_short v[2:3], v5, off
.LBB20_8:
	s_or_b64 exec, exec, s[0:1]
	s_xor_b32 s7, s3, 0x8000
	v_cmp_gt_i32_e32 vcc, s2, v0
	s_and_saveexec_b64 s[4:5], vcc
	s_cbranch_execnz .LBB20_14
; %bb.9:
	s_or_b64 exec, exec, s[4:5]
	v_cmp_gt_i32_e32 vcc, s2, v0
	s_and_saveexec_b64 s[4:5], vcc
	s_cbranch_execnz .LBB20_15
.LBB20_10:
	s_or_b64 exec, exec, s[4:5]
	v_cmp_gt_i32_e32 vcc, s2, v0
	s_and_saveexec_b64 s[0:1], vcc
	s_cbranch_execnz .LBB20_16
.LBB20_11:
	s_endpgm
.LBB20_12:
	v_add_u32_e32 v6, s6, v3
	v_mov_b32_e32 v7, 0
	v_lshlrev_b64 v[6:7], 1, v[6:7]
	v_mov_b32_e32 v8, s11
	v_add_co_u32_e64 v6, s[0:1], s10, v6
	v_addc_co_u32_e64 v7, s[0:1], v8, v7, s[0:1]
	global_load_ushort v6, v[6:7], off
	v_add_u32_e32 v3, 0x100, v3
	s_or_b64 exec, exec, s[4:5]
	v_cmp_gt_i32_e64 s[0:1], s2, v3
	s_and_saveexec_b64 s[4:5], s[0:1]
	s_cbranch_execz .LBB20_6
.LBB20_13:
	v_add_u32_e32 v8, s6, v3
	v_mov_b32_e32 v9, 0
	v_lshlrev_b64 v[8:9], 1, v[8:9]
	v_mov_b32_e32 v3, s11
	v_add_co_u32_e64 v8, s[0:1], s10, v8
	v_addc_co_u32_e64 v9, s[0:1], v3, v9, s[0:1]
	global_load_ushort v4, v[8:9], off
	s_or_b64 exec, exec, s[4:5]
	s_and_saveexec_b64 s[0:1], vcc
	s_cbranch_execnz .LBB20_7
	s_branch .LBB20_8
.LBB20_14:
	s_waitcnt vmcnt(0)
	v_cmp_nle_f16_e32 vcc, s7, v1
	v_cmp_nge_f16_e64 s[0:1], s3, v1
	s_or_b64 vcc, vcc, s[0:1]
	v_cndmask_b32_e32 v2, 0, v1, vcc
	v_add_u32_e32 v3, 0x100, v0
	v_add_u32_e32 v0, s6, v0
	v_mov_b32_e32 v1, 0
	v_lshlrev_b64 v[0:1], 1, v[0:1]
	v_mov_b32_e32 v5, s9
	v_add_co_u32_e32 v0, vcc, s8, v0
	v_addc_co_u32_e32 v1, vcc, v5, v1, vcc
	global_store_short v[0:1], v2, off
	v_mov_b32_e32 v0, v3
	s_or_b64 exec, exec, s[4:5]
	v_cmp_gt_i32_e32 vcc, s2, v0
	s_and_saveexec_b64 s[4:5], vcc
	s_cbranch_execz .LBB20_10
.LBB20_15:
	s_waitcnt vmcnt(0)
	v_cmp_nle_f16_e32 vcc, s7, v6
	v_cmp_nge_f16_e64 s[0:1], s3, v6
	v_add_u32_e32 v3, 0x100, v0
	v_add_u32_e32 v0, s6, v0
	v_mov_b32_e32 v1, 0
	s_or_b64 vcc, vcc, s[0:1]
	v_lshlrev_b64 v[0:1], 1, v[0:1]
	v_cndmask_b32_e32 v2, 0, v6, vcc
	v_mov_b32_e32 v5, s9
	v_add_co_u32_e32 v0, vcc, s8, v0
	v_addc_co_u32_e32 v1, vcc, v5, v1, vcc
	global_store_short v[0:1], v2, off
	v_mov_b32_e32 v0, v3
	s_or_b64 exec, exec, s[4:5]
	v_cmp_gt_i32_e32 vcc, s2, v0
	s_and_saveexec_b64 s[0:1], vcc
	s_cbranch_execz .LBB20_11
.LBB20_16:
	s_waitcnt vmcnt(0)
	v_cmp_nle_f16_e32 vcc, s7, v4
	v_cmp_nge_f16_e64 s[0:1], s3, v4
	v_add_u32_e32 v0, s6, v0
	v_mov_b32_e32 v1, 0
	s_or_b64 vcc, vcc, s[0:1]
	v_lshlrev_b64 v[0:1], 1, v[0:1]
	v_cndmask_b32_e32 v2, 0, v4, vcc
	v_mov_b32_e32 v3, s9
	v_add_co_u32_e32 v0, vcc, s8, v0
	v_addc_co_u32_e32 v1, vcc, v3, v1, vcc
	global_store_short v[0:1], v2, off
	s_endpgm
	.section	.rodata,"a",@progbits
	.p2align	6, 0x0
	.amdhsa_kernel _ZN2at6native27unrolled_elementwise_kernelIZZZNS0_12_GLOBAL__N_117hardshrink_kernelERNS_18TensorIteratorBaseERKN3c106ScalarEENKUlvE_clEvENKUlvE1_clEvEUlNS5_4HalfEE_St5arrayIPcLm2EELi4E23TrivialOffsetCalculatorILi1EjESH_NS0_6memory15LoadWithoutCastENSI_16StoreWithoutCastEEEviT_T0_T2_T3_T4_T5_
		.amdhsa_group_segment_fixed_size 0
		.amdhsa_private_segment_fixed_size 0
		.amdhsa_kernarg_size 28
		.amdhsa_user_sgpr_count 6
		.amdhsa_user_sgpr_private_segment_buffer 1
		.amdhsa_user_sgpr_dispatch_ptr 0
		.amdhsa_user_sgpr_queue_ptr 0
		.amdhsa_user_sgpr_kernarg_segment_ptr 1
		.amdhsa_user_sgpr_dispatch_id 0
		.amdhsa_user_sgpr_flat_scratch_init 0
		.amdhsa_user_sgpr_kernarg_preload_length 0
		.amdhsa_user_sgpr_kernarg_preload_offset 0
		.amdhsa_user_sgpr_private_segment_size 0
		.amdhsa_uses_dynamic_stack 0
		.amdhsa_system_sgpr_private_segment_wavefront_offset 0
		.amdhsa_system_sgpr_workgroup_id_x 1
		.amdhsa_system_sgpr_workgroup_id_y 0
		.amdhsa_system_sgpr_workgroup_id_z 0
		.amdhsa_system_sgpr_workgroup_info 0
		.amdhsa_system_vgpr_workitem_id 0
		.amdhsa_next_free_vgpr 10
		.amdhsa_next_free_sgpr 12
		.amdhsa_accum_offset 12
		.amdhsa_reserve_vcc 1
		.amdhsa_reserve_flat_scratch 0
		.amdhsa_float_round_mode_32 0
		.amdhsa_float_round_mode_16_64 0
		.amdhsa_float_denorm_mode_32 3
		.amdhsa_float_denorm_mode_16_64 3
		.amdhsa_dx10_clamp 1
		.amdhsa_ieee_mode 1
		.amdhsa_fp16_overflow 0
		.amdhsa_tg_split 0
		.amdhsa_exception_fp_ieee_invalid_op 0
		.amdhsa_exception_fp_denorm_src 0
		.amdhsa_exception_fp_ieee_div_zero 0
		.amdhsa_exception_fp_ieee_overflow 0
		.amdhsa_exception_fp_ieee_underflow 0
		.amdhsa_exception_fp_ieee_inexact 0
		.amdhsa_exception_int_div_zero 0
	.end_amdhsa_kernel
	.section	.text._ZN2at6native27unrolled_elementwise_kernelIZZZNS0_12_GLOBAL__N_117hardshrink_kernelERNS_18TensorIteratorBaseERKN3c106ScalarEENKUlvE_clEvENKUlvE1_clEvEUlNS5_4HalfEE_St5arrayIPcLm2EELi4E23TrivialOffsetCalculatorILi1EjESH_NS0_6memory15LoadWithoutCastENSI_16StoreWithoutCastEEEviT_T0_T2_T3_T4_T5_,"axG",@progbits,_ZN2at6native27unrolled_elementwise_kernelIZZZNS0_12_GLOBAL__N_117hardshrink_kernelERNS_18TensorIteratorBaseERKN3c106ScalarEENKUlvE_clEvENKUlvE1_clEvEUlNS5_4HalfEE_St5arrayIPcLm2EELi4E23TrivialOffsetCalculatorILi1EjESH_NS0_6memory15LoadWithoutCastENSI_16StoreWithoutCastEEEviT_T0_T2_T3_T4_T5_,comdat
.Lfunc_end20:
	.size	_ZN2at6native27unrolled_elementwise_kernelIZZZNS0_12_GLOBAL__N_117hardshrink_kernelERNS_18TensorIteratorBaseERKN3c106ScalarEENKUlvE_clEvENKUlvE1_clEvEUlNS5_4HalfEE_St5arrayIPcLm2EELi4E23TrivialOffsetCalculatorILi1EjESH_NS0_6memory15LoadWithoutCastENSI_16StoreWithoutCastEEEviT_T0_T2_T3_T4_T5_, .Lfunc_end20-_ZN2at6native27unrolled_elementwise_kernelIZZZNS0_12_GLOBAL__N_117hardshrink_kernelERNS_18TensorIteratorBaseERKN3c106ScalarEENKUlvE_clEvENKUlvE1_clEvEUlNS5_4HalfEE_St5arrayIPcLm2EELi4E23TrivialOffsetCalculatorILi1EjESH_NS0_6memory15LoadWithoutCastENSI_16StoreWithoutCastEEEviT_T0_T2_T3_T4_T5_
                                        ; -- End function
	.section	.AMDGPU.csdata,"",@progbits
; Kernel info:
; codeLenInByte = 732
; NumSgprs: 16
; NumVgprs: 10
; NumAgprs: 0
; TotalNumVgprs: 10
; ScratchSize: 0
; MemoryBound: 0
; FloatMode: 240
; IeeeMode: 1
; LDSByteSize: 0 bytes/workgroup (compile time only)
; SGPRBlocks: 1
; VGPRBlocks: 1
; NumSGPRsForWavesPerEU: 16
; NumVGPRsForWavesPerEU: 10
; AccumOffset: 12
; Occupancy: 8
; WaveLimiterHint : 0
; COMPUTE_PGM_RSRC2:SCRATCH_EN: 0
; COMPUTE_PGM_RSRC2:USER_SGPR: 6
; COMPUTE_PGM_RSRC2:TRAP_HANDLER: 0
; COMPUTE_PGM_RSRC2:TGID_X_EN: 1
; COMPUTE_PGM_RSRC2:TGID_Y_EN: 0
; COMPUTE_PGM_RSRC2:TGID_Z_EN: 0
; COMPUTE_PGM_RSRC2:TIDIG_COMP_CNT: 0
; COMPUTE_PGM_RSRC3_GFX90A:ACCUM_OFFSET: 2
; COMPUTE_PGM_RSRC3_GFX90A:TG_SPLIT: 0
	.section	.text._ZN2at6native32elementwise_kernel_manual_unrollILi128ELi8EZNS0_22gpu_kernel_impl_nocastIZZZNS0_12_GLOBAL__N_117hardshrink_kernelERNS_18TensorIteratorBaseERKN3c106ScalarEENKUlvE_clEvENKUlvE1_clEvEUlNS6_4HalfEE_EEvS5_RKT_EUlibE_EEviT1_,"axG",@progbits,_ZN2at6native32elementwise_kernel_manual_unrollILi128ELi8EZNS0_22gpu_kernel_impl_nocastIZZZNS0_12_GLOBAL__N_117hardshrink_kernelERNS_18TensorIteratorBaseERKN3c106ScalarEENKUlvE_clEvENKUlvE1_clEvEUlNS6_4HalfEE_EEvS5_RKT_EUlibE_EEviT1_,comdat
	.globl	_ZN2at6native32elementwise_kernel_manual_unrollILi128ELi8EZNS0_22gpu_kernel_impl_nocastIZZZNS0_12_GLOBAL__N_117hardshrink_kernelERNS_18TensorIteratorBaseERKN3c106ScalarEENKUlvE_clEvENKUlvE1_clEvEUlNS6_4HalfEE_EEvS5_RKT_EUlibE_EEviT1_ ; -- Begin function _ZN2at6native32elementwise_kernel_manual_unrollILi128ELi8EZNS0_22gpu_kernel_impl_nocastIZZZNS0_12_GLOBAL__N_117hardshrink_kernelERNS_18TensorIteratorBaseERKN3c106ScalarEENKUlvE_clEvENKUlvE1_clEvEUlNS6_4HalfEE_EEvS5_RKT_EUlibE_EEviT1_
	.p2align	8
	.type	_ZN2at6native32elementwise_kernel_manual_unrollILi128ELi8EZNS0_22gpu_kernel_impl_nocastIZZZNS0_12_GLOBAL__N_117hardshrink_kernelERNS_18TensorIteratorBaseERKN3c106ScalarEENKUlvE_clEvENKUlvE1_clEvEUlNS6_4HalfEE_EEvS5_RKT_EUlibE_EEviT1_,@function
_ZN2at6native32elementwise_kernel_manual_unrollILi128ELi8EZNS0_22gpu_kernel_impl_nocastIZZZNS0_12_GLOBAL__N_117hardshrink_kernelERNS_18TensorIteratorBaseERKN3c106ScalarEENKUlvE_clEvENKUlvE1_clEvEUlNS6_4HalfEE_EEvS5_RKT_EUlibE_EEviT1_: ; @_ZN2at6native32elementwise_kernel_manual_unrollILi128ELi8EZNS0_22gpu_kernel_impl_nocastIZZZNS0_12_GLOBAL__N_117hardshrink_kernelERNS_18TensorIteratorBaseERKN3c106ScalarEENKUlvE_clEvENKUlvE1_clEvEUlNS6_4HalfEE_EEvS5_RKT_EUlibE_EEviT1_
; %bb.0:
	s_load_dword s58, s[4:5], 0x0
	s_load_dword s33, s[4:5], 0x8
	s_or_b32 s4, s4, 8
	v_lshl_or_b32 v24, s6, 10, v0
	v_or_b32_e32 v31, 0x380, v24
	s_waitcnt lgkmcnt(0)
	v_cmp_le_i32_e32 vcc, s58, v31
	s_add_i32 s56, s33, -1
	s_cmp_gt_u32 s56, 1
	s_cselect_b64 s[6:7], -1, 0
	s_and_saveexec_b64 s[0:1], vcc
	s_xor_b64 s[34:35], exec, s[0:1]
	s_cbranch_execz .LBB21_8
; %bb.1:
	s_load_dwordx4 s[28:31], s[4:5], 0x4
	s_load_dwordx2 s[40:41], s[4:5], 0x14
	s_load_dwordx4 s[24:27], s[4:5], 0xc4
	s_load_dwordx4 s[0:3], s[4:5], 0x148
	s_load_dword s57, s[4:5], 0x158
	s_cmp_lg_u32 s33, 0
	s_cselect_b64 s[46:47], -1, 0
	s_add_u32 s44, s4, 0xc4
	s_addc_u32 s45, s5, 0
	s_min_u32 s59, s56, 15
	s_cmp_gt_u32 s33, 1
	s_cselect_b64 s[42:43], -1, 0
	v_cmp_gt_i32_e32 vcc, s58, v24
	s_and_saveexec_b64 s[48:49], vcc
	s_cbranch_execz .LBB21_16
; %bb.2:
	s_andn2_b64 vcc, exec, s[6:7]
	s_cbranch_vccnz .LBB21_24
; %bb.3:
	s_mov_b32 s50, 0
	s_andn2_b64 vcc, exec, s[46:47]
	v_mov_b32_e32 v2, 0
	v_mov_b32_e32 v0, 0
	s_cbranch_vccnz .LBB21_136
; %bb.4:
	s_add_i32 s60, s59, 1
	s_cmp_eq_u32 s56, 2
	s_cbranch_scc1 .LBB21_131
; %bb.5:
	s_and_b32 s50, s60, 28
	s_mov_b32 s51, 0
	v_mov_b32_e32 v0, 0
	s_mov_b64 s[52:53], s[4:5]
	s_mov_b64 s[54:55], s[44:45]
	v_mov_b32_e32 v3, v24
	v_mov_b32_e32 v2, 0
.LBB21_6:                               ; =>This Inner Loop Header: Depth=1
	s_load_dwordx8 s[16:23], s[52:53], 0x4
	s_load_dwordx4 s[36:39], s[52:53], 0x24
	s_load_dwordx8 s[8:15], s[54:55], 0x0
	s_add_u32 s52, s52, 48
	s_addc_u32 s53, s53, 0
	s_waitcnt lgkmcnt(0)
	v_mul_hi_u32 v1, s17, v3
	v_add_u32_e32 v1, v3, v1
	v_lshrrev_b32_e32 v1, s18, v1
	v_mul_lo_u32 v4, v1, s16
	v_mul_hi_u32 v5, s20, v1
	v_sub_u32_e32 v3, v3, v4
	v_add_u32_e32 v4, v1, v5
	v_lshrrev_b32_e32 v4, s21, v4
	v_mul_lo_u32 v6, v4, s19
	v_mul_hi_u32 v7, s23, v4
	v_sub_u32_e32 v1, v1, v6
	v_add_u32_e32 v6, v4, v7
	v_mul_lo_u32 v5, v3, s9
	v_mul_lo_u32 v3, v3, s8
	;; [unrolled: 1-line block ×4, first 2 shown]
	v_lshrrev_b32_e32 v6, s36, v6
	v_add3_u32 v0, v3, v0, v1
	v_mul_hi_u32 v3, s38, v6
	v_add_u32_e32 v3, v6, v3
	v_lshrrev_b32_e32 v3, s39, v3
	s_add_i32 s51, s51, 4
	v_add3_u32 v1, v5, v2, v7
	v_mul_lo_u32 v2, v6, s22
	v_mul_lo_u32 v5, v3, s37
	s_add_u32 s54, s54, 32
	v_sub_u32_e32 v2, v4, v2
	v_sub_u32_e32 v5, v6, v5
	s_addc_u32 s55, s55, 0
	v_mul_lo_u32 v4, v2, s12
	v_mul_lo_u32 v2, v2, s13
	;; [unrolled: 1-line block ×4, first 2 shown]
	s_cmp_lg_u32 s50, s51
	v_add3_u32 v2, v2, v1, v5
	v_add3_u32 v0, v4, v0, v6
	s_cbranch_scc1 .LBB21_6
; %bb.7:
	v_mov_b32_e32 v1, v2
	s_branch .LBB21_132
.LBB21_8:
	s_andn2_saveexec_b64 s[0:1], s[34:35]
	s_cbranch_execz .LBB21_227
.LBB21_9:
	v_cndmask_b32_e64 v0, 0, 1, s[6:7]
	v_cmp_ne_u32_e64 s[0:1], 1, v0
	s_andn2_b64 vcc, exec, s[6:7]
	s_cbranch_vccnz .LBB21_23
; %bb.10:
	s_mov_b32 s2, 0
	s_cmp_lg_u32 s33, 0
	v_mov_b32_e32 v2, 0
	v_mov_b32_e32 v0, 0
	s_cbranch_scc0 .LBB21_15
; %bb.11:
	s_min_u32 s30, s56, 15
	s_add_i32 s30, s30, 1
	s_cmp_eq_u32 s56, 2
	s_cbranch_scc1 .LBB21_26
; %bb.12:
	s_add_u32 s6, s4, 0xc4
	s_addc_u32 s7, s5, 0
	s_and_b32 s2, s30, 28
	s_mov_b32 s3, 0
	v_mov_b32_e32 v0, 0
	s_mov_b64 s[28:29], s[4:5]
	v_mov_b32_e32 v3, v24
	v_mov_b32_e32 v2, 0
.LBB21_13:                              ; =>This Inner Loop Header: Depth=1
	s_load_dwordx8 s[16:23], s[28:29], 0x4
	s_load_dwordx4 s[24:27], s[28:29], 0x24
	s_load_dwordx8 s[8:15], s[6:7], 0x0
	s_add_u32 s28, s28, 48
	s_addc_u32 s29, s29, 0
	s_waitcnt lgkmcnt(0)
	v_mul_hi_u32 v1, s17, v3
	v_add_u32_e32 v1, v3, v1
	v_lshrrev_b32_e32 v1, s18, v1
	v_mul_lo_u32 v4, v1, s16
	v_mul_hi_u32 v5, s20, v1
	v_sub_u32_e32 v3, v3, v4
	v_add_u32_e32 v4, v1, v5
	v_lshrrev_b32_e32 v4, s21, v4
	v_mul_lo_u32 v6, v4, s19
	v_mul_hi_u32 v7, s23, v4
	v_sub_u32_e32 v1, v1, v6
	v_add_u32_e32 v6, v4, v7
	v_mul_lo_u32 v5, v3, s9
	v_mul_lo_u32 v3, v3, s8
	;; [unrolled: 1-line block ×4, first 2 shown]
	v_lshrrev_b32_e32 v6, s24, v6
	v_add3_u32 v0, v3, v0, v1
	v_mul_hi_u32 v3, s26, v6
	v_add_u32_e32 v3, v6, v3
	v_lshrrev_b32_e32 v3, s27, v3
	s_add_i32 s3, s3, 4
	v_add3_u32 v1, v5, v2, v7
	v_mul_lo_u32 v2, v6, s22
	v_mul_lo_u32 v5, v3, s25
	s_add_u32 s6, s6, 32
	v_sub_u32_e32 v2, v4, v2
	v_sub_u32_e32 v5, v6, v5
	s_addc_u32 s7, s7, 0
	v_mul_lo_u32 v4, v2, s12
	v_mul_lo_u32 v2, v2, s13
	;; [unrolled: 1-line block ×4, first 2 shown]
	s_cmp_lg_u32 s2, s3
	v_add3_u32 v2, v2, v1, v5
	v_add3_u32 v0, v4, v0, v6
	s_cbranch_scc1 .LBB21_13
; %bb.14:
	v_mov_b32_e32 v1, v2
	s_and_b32 s8, s30, 3
	s_cmp_eq_u32 s8, 0
	s_cbranch_scc0 .LBB21_27
.LBB21_15:
	s_cbranch_execz .LBB21_30
	s_branch .LBB21_32
.LBB21_16:
	s_or_b64 exec, exec, s[48:49]
	v_cmp_gt_i32_e32 vcc, s58, v24
	s_and_saveexec_b64 s[48:49], vcc
	s_cbranch_execz .LBB21_140
.LBB21_17:
	s_andn2_b64 vcc, exec, s[6:7]
	s_cbranch_vccnz .LBB21_25
; %bb.18:
	s_mov_b32 s50, 0
	s_andn2_b64 vcc, exec, s[46:47]
	v_mov_b32_e32 v2, 0
	v_mov_b32_e32 v0, 0
	s_cbranch_vccnz .LBB21_153
; %bb.19:
	s_add_i32 s60, s59, 1
	s_cmp_eq_u32 s56, 2
	s_cbranch_scc1 .LBB21_148
; %bb.20:
	s_and_b32 s50, s60, 28
	s_mov_b32 s51, 0
	v_mov_b32_e32 v0, 0
	s_mov_b64 s[52:53], s[4:5]
	s_mov_b64 s[54:55], s[44:45]
	v_mov_b32_e32 v3, v24
	v_mov_b32_e32 v2, 0
.LBB21_21:                              ; =>This Inner Loop Header: Depth=1
	s_load_dwordx8 s[16:23], s[52:53], 0x4
	s_load_dwordx4 s[36:39], s[52:53], 0x24
	s_load_dwordx8 s[8:15], s[54:55], 0x0
	s_add_u32 s52, s52, 48
	s_addc_u32 s53, s53, 0
	s_waitcnt lgkmcnt(0)
	v_mul_hi_u32 v1, s17, v3
	v_add_u32_e32 v1, v3, v1
	v_lshrrev_b32_e32 v1, s18, v1
	v_mul_lo_u32 v4, v1, s16
	v_mul_hi_u32 v5, s20, v1
	v_sub_u32_e32 v3, v3, v4
	v_add_u32_e32 v4, v1, v5
	v_lshrrev_b32_e32 v4, s21, v4
	v_mul_lo_u32 v6, v4, s19
	v_mul_hi_u32 v7, s23, v4
	v_sub_u32_e32 v1, v1, v6
	v_add_u32_e32 v6, v4, v7
	v_mul_lo_u32 v5, v3, s9
	v_mul_lo_u32 v3, v3, s8
	;; [unrolled: 1-line block ×4, first 2 shown]
	v_lshrrev_b32_e32 v6, s36, v6
	v_add3_u32 v0, v3, v0, v1
	v_mul_hi_u32 v3, s38, v6
	v_add_u32_e32 v3, v6, v3
	v_lshrrev_b32_e32 v3, s39, v3
	s_add_i32 s51, s51, 4
	v_add3_u32 v1, v5, v2, v7
	v_mul_lo_u32 v2, v6, s22
	v_mul_lo_u32 v5, v3, s37
	s_add_u32 s54, s54, 32
	v_sub_u32_e32 v2, v4, v2
	v_sub_u32_e32 v5, v6, v5
	s_addc_u32 s55, s55, 0
	v_mul_lo_u32 v4, v2, s12
	v_mul_lo_u32 v2, v2, s13
	;; [unrolled: 1-line block ×4, first 2 shown]
	s_cmp_eq_u32 s50, s51
	v_add3_u32 v2, v2, v1, v5
	v_add3_u32 v0, v4, v0, v6
	s_cbranch_scc0 .LBB21_21
; %bb.22:
	v_mov_b32_e32 v1, v2
	s_branch .LBB21_149
.LBB21_23:
                                        ; implicit-def: $vgpr2
                                        ; implicit-def: $vgpr0
	s_branch .LBB21_30
.LBB21_24:
                                        ; implicit-def: $vgpr2
                                        ; implicit-def: $vgpr0
	s_branch .LBB21_137
.LBB21_25:
                                        ; implicit-def: $vgpr2
                                        ; implicit-def: $vgpr0
	s_branch .LBB21_154
.LBB21_26:
	s_mov_b32 s3, s2
	v_pk_mov_b32 v[0:1], s[2:3], s[2:3] op_sel:[0,1]
                                        ; implicit-def: $vgpr2
	v_mov_b32_e32 v3, v24
	s_and_b32 s8, s30, 3
	s_cmp_eq_u32 s8, 0
	s_cbranch_scc1 .LBB21_15
.LBB21_27:
	s_lshl_b32 s3, s2, 3
	s_add_u32 s3, s3, s4
	s_addc_u32 s7, 0, s5
	s_add_u32 s6, s3, 0xc4
	s_addc_u32 s7, s7, 0
	s_mul_i32 s2, s2, 12
	s_add_u32 s2, s4, s2
	s_addc_u32 s3, 0, s5
.LBB21_28:                              ; =>This Inner Loop Header: Depth=1
	s_load_dwordx2 s[10:11], s[2:3], 0x4
	s_load_dword s9, s[2:3], 0xc
	s_load_dwordx2 s[12:13], s[6:7], 0x0
	v_mov_b32_e32 v2, v1
	s_add_u32 s2, s2, 12
	s_waitcnt lgkmcnt(0)
	v_mul_hi_u32 v1, s11, v3
	v_add_u32_e32 v1, v3, v1
	v_lshrrev_b32_e32 v1, s9, v1
	s_addc_u32 s3, s3, 0
	v_mul_lo_u32 v4, v1, s10
	s_add_u32 s6, s6, 8
	v_sub_u32_e32 v6, v3, v4
	v_mov_b32_e32 v3, v1
	s_addc_u32 s7, s7, 0
	s_add_i32 s8, s8, -1
	v_mad_u64_u32 v[4:5], s[10:11], v6, s13, v[2:3]
	v_mad_u64_u32 v[0:1], s[10:11], v6, s12, v[0:1]
	s_cmp_lg_u32 s8, 0
	v_mov_b32_e32 v1, v4
	s_cbranch_scc1 .LBB21_28
; %bb.29:
	v_mov_b32_e32 v2, v1
	s_cbranch_execnz .LBB21_32
.LBB21_30:
	s_load_dwordx4 s[8:11], s[4:5], 0x4
	s_load_dwordx2 s[2:3], s[4:5], 0xc4
	s_cmp_lt_u32 s33, 2
	s_waitcnt lgkmcnt(0)
	v_mul_hi_u32 v0, s9, v24
	v_add_u32_e32 v0, v24, v0
	v_lshrrev_b32_e32 v1, s10, v0
	v_mul_lo_u32 v0, v1, s8
	v_sub_u32_e32 v0, v24, v0
	v_mul_lo_u32 v2, v0, s3
	v_mul_lo_u32 v0, v0, s2
	s_cbranch_scc1 .LBB21_32
; %bb.31:
	s_load_dwordx4 s[8:11], s[4:5], 0x10
	s_load_dwordx2 s[2:3], s[4:5], 0xcc
	s_waitcnt lgkmcnt(0)
	v_mul_hi_u32 v3, s9, v1
	v_add_u32_e32 v3, v1, v3
	v_lshrrev_b32_e32 v3, s10, v3
	v_mul_lo_u32 v3, v3, s8
	v_sub_u32_e32 v3, v1, v3
	v_mad_u64_u32 v[0:1], s[6:7], v3, s2, v[0:1]
	v_mad_u64_u32 v[2:3], s[2:3], v3, s3, v[2:3]
.LBB21_32:
	s_and_b64 vcc, exec, s[0:1]
	v_add_u32_e32 v1, 0x80, v24
	s_cbranch_vccnz .LBB21_39
; %bb.33:
	s_mov_b32 s2, 0
	s_cmp_lg_u32 s33, 0
	v_mov_b32_e32 v6, 0
	v_mov_b32_e32 v4, 0
	s_cbranch_scc0 .LBB21_38
; %bb.34:
	s_min_u32 s30, s56, 15
	s_add_i32 s30, s30, 1
	s_cmp_eq_u32 s56, 2
	s_cbranch_scc1 .LBB21_40
; %bb.35:
	s_add_u32 s6, s4, 0xc4
	s_addc_u32 s7, s5, 0
	s_and_b32 s2, s30, 28
	s_mov_b32 s3, 0
	v_mov_b32_e32 v4, 0
	s_mov_b64 s[28:29], s[4:5]
	v_mov_b32_e32 v3, v1
	v_mov_b32_e32 v6, 0
.LBB21_36:                              ; =>This Inner Loop Header: Depth=1
	s_load_dwordx8 s[16:23], s[28:29], 0x4
	s_load_dwordx4 s[24:27], s[28:29], 0x24
	s_load_dwordx8 s[8:15], s[6:7], 0x0
	s_add_u32 s28, s28, 48
	s_addc_u32 s29, s29, 0
	s_waitcnt lgkmcnt(0)
	v_mul_hi_u32 v5, s17, v3
	v_add_u32_e32 v5, v3, v5
	v_lshrrev_b32_e32 v5, s18, v5
	v_mul_lo_u32 v7, v5, s16
	v_mul_hi_u32 v8, s20, v5
	v_sub_u32_e32 v3, v3, v7
	v_add_u32_e32 v7, v5, v8
	v_lshrrev_b32_e32 v7, s21, v7
	v_mul_lo_u32 v9, v7, s19
	v_mul_hi_u32 v10, s23, v7
	v_sub_u32_e32 v5, v5, v9
	v_add_u32_e32 v9, v7, v10
	v_mul_lo_u32 v8, v3, s9
	v_mul_lo_u32 v3, v3, s8
	;; [unrolled: 1-line block ×4, first 2 shown]
	v_lshrrev_b32_e32 v9, s24, v9
	v_add3_u32 v4, v3, v4, v5
	v_add3_u32 v5, v8, v6, v10
	v_mul_lo_u32 v3, v9, s22
	v_mul_hi_u32 v6, s26, v9
	v_sub_u32_e32 v3, v7, v3
	v_add_u32_e32 v6, v9, v6
	v_mul_lo_u32 v7, v3, s12
	v_mul_lo_u32 v8, v3, s13
	v_lshrrev_b32_e32 v3, s27, v6
	s_add_i32 s3, s3, 4
	v_mul_lo_u32 v6, v3, s25
	s_add_u32 s6, s6, 32
	v_sub_u32_e32 v6, v9, v6
	s_addc_u32 s7, s7, 0
	v_mul_lo_u32 v9, v6, s14
	v_mul_lo_u32 v6, v6, s15
	s_cmp_lg_u32 s2, s3
	v_add3_u32 v6, v8, v5, v6
	v_add3_u32 v4, v7, v4, v9
	s_cbranch_scc1 .LBB21_36
; %bb.37:
	v_mov_b32_e32 v5, v6
	s_and_b32 s8, s30, 3
	s_cmp_eq_u32 s8, 0
	s_cbranch_scc0 .LBB21_41
.LBB21_38:
	s_cbranch_execz .LBB21_44
	s_branch .LBB21_46
.LBB21_39:
                                        ; implicit-def: $vgpr6
                                        ; implicit-def: $vgpr4
	s_branch .LBB21_44
.LBB21_40:
	s_mov_b32 s3, s2
	v_pk_mov_b32 v[4:5], s[2:3], s[2:3] op_sel:[0,1]
                                        ; implicit-def: $vgpr6
	v_mov_b32_e32 v3, v1
	s_and_b32 s8, s30, 3
	s_cmp_eq_u32 s8, 0
	s_cbranch_scc1 .LBB21_38
.LBB21_41:
	s_lshl_b32 s3, s2, 3
	s_add_u32 s3, s3, s4
	s_addc_u32 s7, 0, s5
	s_add_u32 s6, s3, 0xc4
	s_addc_u32 s7, s7, 0
	s_mul_i32 s2, s2, 12
	s_add_u32 s2, s4, s2
	s_addc_u32 s3, 0, s5
.LBB21_42:                              ; =>This Inner Loop Header: Depth=1
	s_load_dwordx2 s[10:11], s[2:3], 0x4
	s_load_dword s9, s[2:3], 0xc
	s_load_dwordx2 s[12:13], s[6:7], 0x0
	v_mov_b32_e32 v6, v5
	s_add_u32 s2, s2, 12
	s_waitcnt lgkmcnt(0)
	v_mul_hi_u32 v5, s11, v3
	v_add_u32_e32 v5, v3, v5
	v_lshrrev_b32_e32 v5, s9, v5
	s_addc_u32 s3, s3, 0
	v_mul_lo_u32 v7, v5, s10
	s_add_u32 s6, s6, 8
	v_sub_u32_e32 v8, v3, v7
	s_addc_u32 s7, s7, 0
	s_add_i32 s8, s8, -1
	v_mov_b32_e32 v3, v5
	v_mad_u64_u32 v[6:7], s[10:11], v8, s13, v[6:7]
	v_mad_u64_u32 v[4:5], s[10:11], v8, s12, v[4:5]
	s_cmp_lg_u32 s8, 0
	v_mov_b32_e32 v5, v6
	s_cbranch_scc1 .LBB21_42
; %bb.43:
	v_mov_b32_e32 v6, v5
	s_cbranch_execnz .LBB21_46
.LBB21_44:
	s_load_dwordx4 s[8:11], s[4:5], 0x4
	s_load_dwordx2 s[2:3], s[4:5], 0xc4
	s_cmp_lt_u32 s33, 2
	s_waitcnt lgkmcnt(0)
	v_mul_hi_u32 v3, s9, v1
	v_add_u32_e32 v3, v1, v3
	v_lshrrev_b32_e32 v3, s10, v3
	v_mul_lo_u32 v4, v3, s8
	v_sub_u32_e32 v1, v1, v4
	v_mul_lo_u32 v6, v1, s3
	v_mul_lo_u32 v4, v1, s2
	s_cbranch_scc1 .LBB21_46
; %bb.45:
	s_load_dwordx4 s[8:11], s[4:5], 0x10
	s_load_dwordx2 s[2:3], s[4:5], 0xcc
	s_waitcnt lgkmcnt(0)
	v_mul_hi_u32 v1, s9, v3
	v_add_u32_e32 v1, v3, v1
	v_lshrrev_b32_e32 v1, s10, v1
	v_mul_lo_u32 v1, v1, s8
	v_sub_u32_e32 v1, v3, v1
	v_mad_u64_u32 v[4:5], s[6:7], v1, s2, v[4:5]
	v_mad_u64_u32 v[6:7], s[2:3], v1, s3, v[6:7]
.LBB21_46:
	s_and_b64 vcc, exec, s[0:1]
	v_add_u32_e32 v1, 0x100, v24
	s_cbranch_vccnz .LBB21_53
; %bb.47:
	s_mov_b32 s2, 0
	s_cmp_lg_u32 s33, 0
	v_mov_b32_e32 v10, 0
	v_mov_b32_e32 v8, 0
	s_cbranch_scc0 .LBB21_52
; %bb.48:
	s_min_u32 s30, s56, 15
	s_add_i32 s30, s30, 1
	s_cmp_eq_u32 s56, 2
	s_cbranch_scc1 .LBB21_54
; %bb.49:
	s_add_u32 s6, s4, 0xc4
	s_addc_u32 s7, s5, 0
	s_and_b32 s2, s30, 28
	s_mov_b32 s3, 0
	v_mov_b32_e32 v8, 0
	s_mov_b64 s[28:29], s[4:5]
	v_mov_b32_e32 v3, v1
	v_mov_b32_e32 v10, 0
.LBB21_50:                              ; =>This Inner Loop Header: Depth=1
	s_load_dwordx8 s[16:23], s[28:29], 0x4
	s_load_dwordx4 s[24:27], s[28:29], 0x24
	s_load_dwordx8 s[8:15], s[6:7], 0x0
	s_add_u32 s28, s28, 48
	s_addc_u32 s29, s29, 0
	s_waitcnt lgkmcnt(0)
	v_mul_hi_u32 v5, s17, v3
	v_add_u32_e32 v5, v3, v5
	v_lshrrev_b32_e32 v5, s18, v5
	v_mul_lo_u32 v7, v5, s16
	v_mul_hi_u32 v9, s20, v5
	v_sub_u32_e32 v3, v3, v7
	v_add_u32_e32 v7, v5, v9
	v_lshrrev_b32_e32 v7, s21, v7
	v_mul_lo_u32 v11, v7, s19
	v_mul_hi_u32 v12, s23, v7
	v_sub_u32_e32 v5, v5, v11
	v_add_u32_e32 v11, v7, v12
	v_mul_lo_u32 v9, v3, s9
	v_mul_lo_u32 v3, v3, s8
	;; [unrolled: 1-line block ×4, first 2 shown]
	v_lshrrev_b32_e32 v11, s24, v11
	v_add3_u32 v5, v3, v8, v5
	v_add3_u32 v8, v9, v10, v12
	v_mul_lo_u32 v3, v11, s22
	v_mul_hi_u32 v9, s26, v11
	v_sub_u32_e32 v3, v7, v3
	v_add_u32_e32 v7, v11, v9
	v_mul_lo_u32 v9, v3, s12
	v_mul_lo_u32 v10, v3, s13
	v_lshrrev_b32_e32 v3, s27, v7
	s_add_i32 s3, s3, 4
	v_mul_lo_u32 v7, v3, s25
	s_add_u32 s6, s6, 32
	v_sub_u32_e32 v7, v11, v7
	s_addc_u32 s7, s7, 0
	v_mul_lo_u32 v11, v7, s14
	v_mul_lo_u32 v7, v7, s15
	s_cmp_lg_u32 s2, s3
	v_add3_u32 v10, v10, v8, v7
	v_add3_u32 v8, v9, v5, v11
	s_cbranch_scc1 .LBB21_50
; %bb.51:
	v_mov_b32_e32 v9, v10
	s_and_b32 s8, s30, 3
	s_cmp_eq_u32 s8, 0
	s_cbranch_scc0 .LBB21_55
.LBB21_52:
	s_cbranch_execz .LBB21_58
	s_branch .LBB21_60
.LBB21_53:
                                        ; implicit-def: $vgpr10
                                        ; implicit-def: $vgpr8
	s_branch .LBB21_58
.LBB21_54:
	s_mov_b32 s3, s2
	v_pk_mov_b32 v[8:9], s[2:3], s[2:3] op_sel:[0,1]
                                        ; implicit-def: $vgpr10
	v_mov_b32_e32 v3, v1
	s_and_b32 s8, s30, 3
	s_cmp_eq_u32 s8, 0
	s_cbranch_scc1 .LBB21_52
.LBB21_55:
	s_lshl_b32 s3, s2, 3
	s_add_u32 s3, s3, s4
	s_addc_u32 s7, 0, s5
	s_add_u32 s6, s3, 0xc4
	s_addc_u32 s7, s7, 0
	s_mul_i32 s2, s2, 12
	s_add_u32 s2, s4, s2
	s_addc_u32 s3, 0, s5
.LBB21_56:                              ; =>This Inner Loop Header: Depth=1
	s_load_dwordx2 s[10:11], s[2:3], 0x4
	s_load_dword s9, s[2:3], 0xc
	s_load_dwordx2 s[12:13], s[6:7], 0x0
	s_add_u32 s2, s2, 12
	s_addc_u32 s3, s3, 0
	s_waitcnt lgkmcnt(0)
	v_mul_hi_u32 v5, s11, v3
	v_add_u32_e32 v5, v3, v5
	v_lshrrev_b32_e32 v5, s9, v5
	v_mul_lo_u32 v7, v5, s10
	v_mov_b32_e32 v10, v9
	s_add_u32 s6, s6, 8
	v_sub_u32_e32 v7, v3, v7
	s_addc_u32 s7, s7, 0
	s_add_i32 s8, s8, -1
	v_mad_u64_u32 v[10:11], s[10:11], v7, s13, v[10:11]
	v_mad_u64_u32 v[8:9], s[10:11], v7, s12, v[8:9]
	s_cmp_lg_u32 s8, 0
	v_mov_b32_e32 v3, v5
	v_mov_b32_e32 v9, v10
	s_cbranch_scc1 .LBB21_56
; %bb.57:
	v_mov_b32_e32 v10, v9
	s_cbranch_execnz .LBB21_60
.LBB21_58:
	s_load_dwordx4 s[8:11], s[4:5], 0x4
	s_load_dwordx2 s[2:3], s[4:5], 0xc4
	s_cmp_lt_u32 s33, 2
	s_waitcnt lgkmcnt(0)
	v_mul_hi_u32 v3, s9, v1
	v_add_u32_e32 v3, v1, v3
	v_lshrrev_b32_e32 v3, s10, v3
	v_mul_lo_u32 v5, v3, s8
	v_sub_u32_e32 v1, v1, v5
	v_mul_lo_u32 v10, v1, s3
	v_mul_lo_u32 v8, v1, s2
	s_cbranch_scc1 .LBB21_60
; %bb.59:
	s_load_dwordx4 s[8:11], s[4:5], 0x10
	s_load_dwordx2 s[2:3], s[4:5], 0xcc
	s_waitcnt lgkmcnt(0)
	v_mul_hi_u32 v1, s9, v3
	v_add_u32_e32 v1, v3, v1
	v_lshrrev_b32_e32 v1, s10, v1
	v_mul_lo_u32 v1, v1, s8
	v_sub_u32_e32 v1, v3, v1
	v_mad_u64_u32 v[8:9], s[6:7], v1, s2, v[8:9]
	v_mad_u64_u32 v[10:11], s[2:3], v1, s3, v[10:11]
.LBB21_60:
	s_and_b64 vcc, exec, s[0:1]
	v_add_u32_e32 v1, 0x180, v24
	s_cbranch_vccnz .LBB21_67
; %bb.61:
	s_mov_b32 s2, 0
	s_cmp_lg_u32 s33, 0
	v_mov_b32_e32 v14, 0
	v_mov_b32_e32 v12, 0
	s_cbranch_scc0 .LBB21_66
; %bb.62:
	s_min_u32 s30, s56, 15
	s_add_i32 s30, s30, 1
	s_cmp_eq_u32 s56, 2
	s_cbranch_scc1 .LBB21_68
; %bb.63:
	s_add_u32 s6, s4, 0xc4
	s_addc_u32 s7, s5, 0
	s_and_b32 s2, s30, 28
	s_mov_b32 s3, 0
	v_mov_b32_e32 v12, 0
	s_mov_b64 s[28:29], s[4:5]
	v_mov_b32_e32 v3, v1
	v_mov_b32_e32 v14, 0
.LBB21_64:                              ; =>This Inner Loop Header: Depth=1
	s_load_dwordx8 s[16:23], s[28:29], 0x4
	s_load_dwordx4 s[24:27], s[28:29], 0x24
	s_load_dwordx8 s[8:15], s[6:7], 0x0
	s_add_u32 s28, s28, 48
	s_addc_u32 s29, s29, 0
	s_waitcnt lgkmcnt(0)
	v_mul_hi_u32 v5, s17, v3
	v_add_u32_e32 v5, v3, v5
	v_lshrrev_b32_e32 v5, s18, v5
	v_mul_lo_u32 v7, v5, s16
	v_mul_hi_u32 v9, s20, v5
	v_sub_u32_e32 v3, v3, v7
	v_add_u32_e32 v7, v5, v9
	v_lshrrev_b32_e32 v7, s21, v7
	v_mul_lo_u32 v11, v7, s19
	v_mul_hi_u32 v13, s23, v7
	v_sub_u32_e32 v5, v5, v11
	v_add_u32_e32 v11, v7, v13
	v_mul_lo_u32 v9, v3, s9
	v_mul_lo_u32 v3, v3, s8
	;; [unrolled: 1-line block ×4, first 2 shown]
	v_lshrrev_b32_e32 v11, s24, v11
	v_add3_u32 v5, v3, v12, v5
	v_mul_lo_u32 v3, v11, s22
	v_mul_hi_u32 v12, s26, v11
	v_sub_u32_e32 v3, v7, v3
	v_add_u32_e32 v7, v11, v12
	v_add3_u32 v9, v9, v14, v13
	v_mul_lo_u32 v12, v3, s12
	v_mul_lo_u32 v13, v3, s13
	v_lshrrev_b32_e32 v3, s27, v7
	s_add_i32 s3, s3, 4
	v_mul_lo_u32 v7, v3, s25
	s_add_u32 s6, s6, 32
	v_sub_u32_e32 v7, v11, v7
	s_addc_u32 s7, s7, 0
	v_mul_lo_u32 v11, v7, s14
	v_mul_lo_u32 v7, v7, s15
	s_cmp_lg_u32 s2, s3
	v_add3_u32 v14, v13, v9, v7
	v_add3_u32 v12, v12, v5, v11
	s_cbranch_scc1 .LBB21_64
; %bb.65:
	v_mov_b32_e32 v13, v14
	s_and_b32 s8, s30, 3
	s_cmp_eq_u32 s8, 0
	s_cbranch_scc0 .LBB21_69
.LBB21_66:
	s_cbranch_execz .LBB21_72
	s_branch .LBB21_74
.LBB21_67:
                                        ; implicit-def: $vgpr14
                                        ; implicit-def: $vgpr12
	s_branch .LBB21_72
.LBB21_68:
	s_mov_b32 s3, s2
	v_pk_mov_b32 v[12:13], s[2:3], s[2:3] op_sel:[0,1]
                                        ; implicit-def: $vgpr14
	v_mov_b32_e32 v3, v1
	s_and_b32 s8, s30, 3
	s_cmp_eq_u32 s8, 0
	s_cbranch_scc1 .LBB21_66
.LBB21_69:
	s_lshl_b32 s3, s2, 3
	s_add_u32 s3, s3, s4
	s_addc_u32 s7, 0, s5
	s_add_u32 s6, s3, 0xc4
	s_addc_u32 s7, s7, 0
	s_mul_i32 s2, s2, 12
	s_add_u32 s2, s4, s2
	s_addc_u32 s3, 0, s5
.LBB21_70:                              ; =>This Inner Loop Header: Depth=1
	s_load_dwordx2 s[10:11], s[2:3], 0x4
	s_load_dword s9, s[2:3], 0xc
	s_load_dwordx2 s[12:13], s[6:7], 0x0
	s_add_u32 s2, s2, 12
	s_addc_u32 s3, s3, 0
	s_waitcnt lgkmcnt(0)
	v_mul_hi_u32 v5, s11, v3
	v_add_u32_e32 v5, v3, v5
	v_lshrrev_b32_e32 v5, s9, v5
	v_mul_lo_u32 v7, v5, s10
	v_mov_b32_e32 v14, v13
	s_add_u32 s6, s6, 8
	v_sub_u32_e32 v7, v3, v7
	s_addc_u32 s7, s7, 0
	s_add_i32 s8, s8, -1
	v_mad_u64_u32 v[14:15], s[10:11], v7, s13, v[14:15]
	v_mad_u64_u32 v[12:13], s[10:11], v7, s12, v[12:13]
	s_cmp_lg_u32 s8, 0
	v_mov_b32_e32 v3, v5
	v_mov_b32_e32 v13, v14
	s_cbranch_scc1 .LBB21_70
; %bb.71:
	v_mov_b32_e32 v14, v13
	s_cbranch_execnz .LBB21_74
.LBB21_72:
	s_load_dwordx4 s[8:11], s[4:5], 0x4
	s_load_dwordx2 s[2:3], s[4:5], 0xc4
	s_cmp_lt_u32 s33, 2
	s_waitcnt lgkmcnt(0)
	v_mul_hi_u32 v3, s9, v1
	v_add_u32_e32 v3, v1, v3
	v_lshrrev_b32_e32 v3, s10, v3
	v_mul_lo_u32 v5, v3, s8
	v_sub_u32_e32 v1, v1, v5
	v_mul_lo_u32 v14, v1, s3
	v_mul_lo_u32 v12, v1, s2
	s_cbranch_scc1 .LBB21_74
; %bb.73:
	s_load_dwordx4 s[8:11], s[4:5], 0x10
	s_load_dwordx2 s[2:3], s[4:5], 0xcc
	s_waitcnt lgkmcnt(0)
	v_mul_hi_u32 v1, s9, v3
	v_add_u32_e32 v1, v3, v1
	v_lshrrev_b32_e32 v1, s10, v1
	v_mul_lo_u32 v1, v1, s8
	v_sub_u32_e32 v1, v3, v1
	v_mad_u64_u32 v[12:13], s[6:7], v1, s2, v[12:13]
	v_mad_u64_u32 v[14:15], s[2:3], v1, s3, v[14:15]
.LBB21_74:
	s_and_b64 vcc, exec, s[0:1]
	v_add_u32_e32 v1, 0x200, v24
	s_cbranch_vccnz .LBB21_81
; %bb.75:
	s_mov_b32 s2, 0
	s_cmp_lg_u32 s33, 0
	v_mov_b32_e32 v18, 0
	v_mov_b32_e32 v16, 0
	s_cbranch_scc0 .LBB21_80
; %bb.76:
	s_min_u32 s30, s56, 15
	s_add_i32 s30, s30, 1
	s_cmp_eq_u32 s56, 2
	s_cbranch_scc1 .LBB21_82
; %bb.77:
	s_add_u32 s6, s4, 0xc4
	s_addc_u32 s7, s5, 0
	s_and_b32 s2, s30, 28
	s_mov_b32 s3, 0
	v_mov_b32_e32 v16, 0
	s_mov_b64 s[28:29], s[4:5]
	v_mov_b32_e32 v3, v1
	v_mov_b32_e32 v18, 0
.LBB21_78:                              ; =>This Inner Loop Header: Depth=1
	s_load_dwordx8 s[16:23], s[28:29], 0x4
	s_load_dwordx4 s[24:27], s[28:29], 0x24
	s_load_dwordx8 s[8:15], s[6:7], 0x0
	s_add_u32 s28, s28, 48
	s_addc_u32 s29, s29, 0
	s_waitcnt lgkmcnt(0)
	v_mul_hi_u32 v5, s17, v3
	v_add_u32_e32 v5, v3, v5
	v_lshrrev_b32_e32 v5, s18, v5
	v_mul_lo_u32 v7, v5, s16
	v_mul_hi_u32 v9, s20, v5
	v_sub_u32_e32 v3, v3, v7
	v_add_u32_e32 v7, v5, v9
	v_lshrrev_b32_e32 v7, s21, v7
	v_mul_lo_u32 v11, v7, s19
	v_mul_hi_u32 v13, s23, v7
	v_sub_u32_e32 v5, v5, v11
	v_add_u32_e32 v11, v7, v13
	v_mul_lo_u32 v9, v3, s9
	v_mul_lo_u32 v3, v3, s8
	;; [unrolled: 1-line block ×4, first 2 shown]
	v_lshrrev_b32_e32 v11, s24, v11
	v_add3_u32 v5, v3, v16, v5
	v_add3_u32 v9, v9, v18, v13
	v_mul_lo_u32 v3, v11, s22
	v_mul_hi_u32 v13, s26, v11
	v_sub_u32_e32 v3, v7, v3
	v_add_u32_e32 v7, v11, v13
	v_mul_lo_u32 v13, v3, s12
	v_mul_lo_u32 v15, v3, s13
	v_lshrrev_b32_e32 v3, s27, v7
	s_add_i32 s3, s3, 4
	v_mul_lo_u32 v7, v3, s25
	s_add_u32 s6, s6, 32
	v_sub_u32_e32 v7, v11, v7
	s_addc_u32 s7, s7, 0
	v_mul_lo_u32 v11, v7, s14
	v_mul_lo_u32 v7, v7, s15
	s_cmp_lg_u32 s2, s3
	v_add3_u32 v18, v15, v9, v7
	v_add3_u32 v16, v13, v5, v11
	s_cbranch_scc1 .LBB21_78
; %bb.79:
	v_mov_b32_e32 v17, v18
	s_and_b32 s8, s30, 3
	s_cmp_eq_u32 s8, 0
	s_cbranch_scc0 .LBB21_83
.LBB21_80:
	s_cbranch_execz .LBB21_86
	s_branch .LBB21_88
.LBB21_81:
                                        ; implicit-def: $vgpr18
                                        ; implicit-def: $vgpr16
	s_branch .LBB21_86
.LBB21_82:
	s_mov_b32 s3, s2
	v_pk_mov_b32 v[16:17], s[2:3], s[2:3] op_sel:[0,1]
                                        ; implicit-def: $vgpr18
	v_mov_b32_e32 v3, v1
	s_and_b32 s8, s30, 3
	s_cmp_eq_u32 s8, 0
	s_cbranch_scc1 .LBB21_80
.LBB21_83:
	s_lshl_b32 s3, s2, 3
	s_add_u32 s3, s3, s4
	s_addc_u32 s7, 0, s5
	s_add_u32 s6, s3, 0xc4
	s_addc_u32 s7, s7, 0
	s_mul_i32 s2, s2, 12
	s_add_u32 s2, s4, s2
	s_addc_u32 s3, 0, s5
.LBB21_84:                              ; =>This Inner Loop Header: Depth=1
	s_load_dwordx2 s[10:11], s[2:3], 0x4
	s_load_dword s9, s[2:3], 0xc
	s_load_dwordx2 s[12:13], s[6:7], 0x0
	s_add_u32 s2, s2, 12
	s_addc_u32 s3, s3, 0
	s_waitcnt lgkmcnt(0)
	v_mul_hi_u32 v5, s11, v3
	v_add_u32_e32 v5, v3, v5
	v_lshrrev_b32_e32 v5, s9, v5
	v_mul_lo_u32 v7, v5, s10
	v_mov_b32_e32 v18, v17
	s_add_u32 s6, s6, 8
	v_sub_u32_e32 v7, v3, v7
	s_addc_u32 s7, s7, 0
	s_add_i32 s8, s8, -1
	v_mad_u64_u32 v[18:19], s[10:11], v7, s13, v[18:19]
	v_mad_u64_u32 v[16:17], s[10:11], v7, s12, v[16:17]
	s_cmp_lg_u32 s8, 0
	v_mov_b32_e32 v3, v5
	v_mov_b32_e32 v17, v18
	s_cbranch_scc1 .LBB21_84
; %bb.85:
	v_mov_b32_e32 v18, v17
	s_cbranch_execnz .LBB21_88
.LBB21_86:
	s_load_dwordx4 s[8:11], s[4:5], 0x4
	s_load_dwordx2 s[2:3], s[4:5], 0xc4
	s_cmp_lt_u32 s33, 2
	s_waitcnt lgkmcnt(0)
	v_mul_hi_u32 v3, s9, v1
	v_add_u32_e32 v3, v1, v3
	v_lshrrev_b32_e32 v3, s10, v3
	v_mul_lo_u32 v5, v3, s8
	v_sub_u32_e32 v1, v1, v5
	v_mul_lo_u32 v18, v1, s3
	v_mul_lo_u32 v16, v1, s2
	s_cbranch_scc1 .LBB21_88
; %bb.87:
	s_load_dwordx4 s[8:11], s[4:5], 0x10
	s_load_dwordx2 s[2:3], s[4:5], 0xcc
	s_waitcnt lgkmcnt(0)
	v_mul_hi_u32 v1, s9, v3
	v_add_u32_e32 v1, v3, v1
	v_lshrrev_b32_e32 v1, s10, v1
	v_mul_lo_u32 v1, v1, s8
	v_sub_u32_e32 v1, v3, v1
	v_mad_u64_u32 v[16:17], s[6:7], v1, s2, v[16:17]
	v_mad_u64_u32 v[18:19], s[2:3], v1, s3, v[18:19]
.LBB21_88:
	s_and_b64 vcc, exec, s[0:1]
	v_add_u32_e32 v1, 0x280, v24
	s_cbranch_vccnz .LBB21_95
; %bb.89:
	s_mov_b32 s2, 0
	s_cmp_lg_u32 s33, 0
	v_mov_b32_e32 v22, 0
	v_mov_b32_e32 v20, 0
	s_cbranch_scc0 .LBB21_94
; %bb.90:
	s_min_u32 s30, s56, 15
	s_add_i32 s30, s30, 1
	s_cmp_eq_u32 s56, 2
	s_cbranch_scc1 .LBB21_96
; %bb.91:
	s_add_u32 s6, s4, 0xc4
	s_addc_u32 s7, s5, 0
	s_and_b32 s2, s30, 28
	s_mov_b32 s3, 0
	v_mov_b32_e32 v20, 0
	s_mov_b64 s[28:29], s[4:5]
	v_mov_b32_e32 v3, v1
	v_mov_b32_e32 v22, 0
.LBB21_92:                              ; =>This Inner Loop Header: Depth=1
	s_load_dwordx8 s[16:23], s[28:29], 0x4
	s_load_dwordx4 s[24:27], s[28:29], 0x24
	s_load_dwordx8 s[8:15], s[6:7], 0x0
	s_add_u32 s28, s28, 48
	s_addc_u32 s29, s29, 0
	s_waitcnt lgkmcnt(0)
	v_mul_hi_u32 v5, s17, v3
	v_add_u32_e32 v5, v3, v5
	v_lshrrev_b32_e32 v5, s18, v5
	v_mul_lo_u32 v7, v5, s16
	v_mul_hi_u32 v9, s20, v5
	v_sub_u32_e32 v3, v3, v7
	v_add_u32_e32 v7, v5, v9
	v_lshrrev_b32_e32 v7, s21, v7
	v_mul_lo_u32 v11, v7, s19
	v_mul_hi_u32 v13, s23, v7
	v_sub_u32_e32 v5, v5, v11
	v_add_u32_e32 v11, v7, v13
	v_mul_lo_u32 v9, v3, s9
	v_mul_lo_u32 v3, v3, s8
	;; [unrolled: 1-line block ×4, first 2 shown]
	v_lshrrev_b32_e32 v11, s24, v11
	v_add3_u32 v5, v3, v20, v5
	v_add3_u32 v9, v9, v22, v13
	v_mul_lo_u32 v3, v11, s22
	v_mul_hi_u32 v13, s26, v11
	v_sub_u32_e32 v3, v7, v3
	v_add_u32_e32 v7, v11, v13
	v_mul_lo_u32 v13, v3, s12
	v_mul_lo_u32 v15, v3, s13
	v_lshrrev_b32_e32 v3, s27, v7
	s_add_i32 s3, s3, 4
	v_mul_lo_u32 v7, v3, s25
	s_add_u32 s6, s6, 32
	v_sub_u32_e32 v7, v11, v7
	s_addc_u32 s7, s7, 0
	v_mul_lo_u32 v11, v7, s14
	v_mul_lo_u32 v7, v7, s15
	s_cmp_lg_u32 s2, s3
	v_add3_u32 v22, v15, v9, v7
	v_add3_u32 v20, v13, v5, v11
	s_cbranch_scc1 .LBB21_92
; %bb.93:
	v_mov_b32_e32 v21, v22
	s_and_b32 s8, s30, 3
	s_cmp_eq_u32 s8, 0
	s_cbranch_scc0 .LBB21_97
.LBB21_94:
	s_cbranch_execz .LBB21_100
	s_branch .LBB21_102
.LBB21_95:
                                        ; implicit-def: $vgpr22
                                        ; implicit-def: $vgpr20
	s_branch .LBB21_100
.LBB21_96:
	s_mov_b32 s3, s2
	v_pk_mov_b32 v[20:21], s[2:3], s[2:3] op_sel:[0,1]
                                        ; implicit-def: $vgpr22
	v_mov_b32_e32 v3, v1
	s_and_b32 s8, s30, 3
	s_cmp_eq_u32 s8, 0
	s_cbranch_scc1 .LBB21_94
.LBB21_97:
	s_lshl_b32 s3, s2, 3
	s_add_u32 s3, s3, s4
	s_addc_u32 s7, 0, s5
	s_add_u32 s6, s3, 0xc4
	s_addc_u32 s7, s7, 0
	s_mul_i32 s2, s2, 12
	s_add_u32 s2, s4, s2
	s_addc_u32 s3, 0, s5
.LBB21_98:                              ; =>This Inner Loop Header: Depth=1
	s_load_dwordx2 s[10:11], s[2:3], 0x4
	s_load_dword s9, s[2:3], 0xc
	s_load_dwordx2 s[12:13], s[6:7], 0x0
	s_add_u32 s2, s2, 12
	s_addc_u32 s3, s3, 0
	s_waitcnt lgkmcnt(0)
	v_mul_hi_u32 v5, s11, v3
	v_add_u32_e32 v5, v3, v5
	v_lshrrev_b32_e32 v5, s9, v5
	v_mul_lo_u32 v7, v5, s10
	v_mov_b32_e32 v22, v21
	s_add_u32 s6, s6, 8
	v_sub_u32_e32 v7, v3, v7
	s_addc_u32 s7, s7, 0
	s_add_i32 s8, s8, -1
	v_mad_u64_u32 v[22:23], s[10:11], v7, s13, v[22:23]
	v_mad_u64_u32 v[20:21], s[10:11], v7, s12, v[20:21]
	s_cmp_lg_u32 s8, 0
	v_mov_b32_e32 v3, v5
	v_mov_b32_e32 v21, v22
	s_cbranch_scc1 .LBB21_98
; %bb.99:
	v_mov_b32_e32 v22, v21
	s_cbranch_execnz .LBB21_102
.LBB21_100:
	s_load_dwordx4 s[8:11], s[4:5], 0x4
	s_load_dwordx2 s[2:3], s[4:5], 0xc4
	s_cmp_lt_u32 s33, 2
	s_waitcnt lgkmcnt(0)
	v_mul_hi_u32 v3, s9, v1
	v_add_u32_e32 v3, v1, v3
	v_lshrrev_b32_e32 v3, s10, v3
	v_mul_lo_u32 v5, v3, s8
	v_sub_u32_e32 v1, v1, v5
	v_mul_lo_u32 v22, v1, s3
	v_mul_lo_u32 v20, v1, s2
	s_cbranch_scc1 .LBB21_102
; %bb.101:
	s_load_dwordx4 s[8:11], s[4:5], 0x10
	s_load_dwordx2 s[2:3], s[4:5], 0xcc
	s_waitcnt lgkmcnt(0)
	v_mul_hi_u32 v1, s9, v3
	v_add_u32_e32 v1, v3, v1
	v_lshrrev_b32_e32 v1, s10, v1
	v_mul_lo_u32 v1, v1, s8
	v_sub_u32_e32 v1, v3, v1
	v_mad_u64_u32 v[20:21], s[6:7], v1, s2, v[20:21]
	v_mad_u64_u32 v[22:23], s[2:3], v1, s3, v[22:23]
.LBB21_102:
	s_and_b64 vcc, exec, s[0:1]
	v_add_u32_e32 v1, 0x300, v24
	s_cbranch_vccnz .LBB21_109
; %bb.103:
	s_mov_b32 s2, 0
	s_cmp_lg_u32 s33, 0
	v_mov_b32_e32 v26, 0
	v_mov_b32_e32 v24, 0
	s_cbranch_scc0 .LBB21_108
; %bb.104:
	s_min_u32 s30, s56, 15
	s_add_i32 s30, s30, 1
	s_cmp_eq_u32 s56, 2
	s_cbranch_scc1 .LBB21_110
; %bb.105:
	s_add_u32 s6, s4, 0xc4
	s_addc_u32 s7, s5, 0
	s_and_b32 s2, s30, 28
	s_mov_b32 s3, 0
	v_mov_b32_e32 v24, 0
	s_mov_b64 s[28:29], s[4:5]
	v_mov_b32_e32 v3, v1
	v_mov_b32_e32 v26, 0
.LBB21_106:                             ; =>This Inner Loop Header: Depth=1
	s_load_dwordx8 s[16:23], s[28:29], 0x4
	s_load_dwordx4 s[24:27], s[28:29], 0x24
	s_load_dwordx8 s[8:15], s[6:7], 0x0
	s_add_u32 s28, s28, 48
	s_addc_u32 s29, s29, 0
	s_waitcnt lgkmcnt(0)
	v_mul_hi_u32 v5, s17, v3
	v_add_u32_e32 v5, v3, v5
	v_lshrrev_b32_e32 v5, s18, v5
	v_mul_lo_u32 v7, v5, s16
	v_mul_hi_u32 v9, s20, v5
	v_sub_u32_e32 v3, v3, v7
	v_add_u32_e32 v7, v5, v9
	v_lshrrev_b32_e32 v7, s21, v7
	v_mul_lo_u32 v11, v7, s19
	v_mul_hi_u32 v13, s23, v7
	v_sub_u32_e32 v5, v5, v11
	v_add_u32_e32 v11, v7, v13
	v_mul_lo_u32 v9, v3, s9
	v_mul_lo_u32 v3, v3, s8
	;; [unrolled: 1-line block ×4, first 2 shown]
	v_lshrrev_b32_e32 v11, s24, v11
	v_add3_u32 v5, v3, v24, v5
	v_add3_u32 v9, v9, v26, v13
	v_mul_lo_u32 v3, v11, s22
	v_mul_hi_u32 v13, s26, v11
	v_sub_u32_e32 v3, v7, v3
	v_add_u32_e32 v7, v11, v13
	v_mul_lo_u32 v13, v3, s12
	v_mul_lo_u32 v15, v3, s13
	v_lshrrev_b32_e32 v3, s27, v7
	s_add_i32 s3, s3, 4
	v_mul_lo_u32 v7, v3, s25
	s_add_u32 s6, s6, 32
	v_sub_u32_e32 v7, v11, v7
	s_addc_u32 s7, s7, 0
	v_mul_lo_u32 v11, v7, s14
	v_mul_lo_u32 v7, v7, s15
	s_cmp_lg_u32 s2, s3
	v_add3_u32 v26, v15, v9, v7
	v_add3_u32 v24, v13, v5, v11
	s_cbranch_scc1 .LBB21_106
; %bb.107:
	v_mov_b32_e32 v25, v26
	s_and_b32 s8, s30, 3
	s_cmp_eq_u32 s8, 0
	s_cbranch_scc0 .LBB21_111
.LBB21_108:
	s_cbranch_execz .LBB21_114
	s_branch .LBB21_116
.LBB21_109:
                                        ; implicit-def: $vgpr26
                                        ; implicit-def: $vgpr24
	s_branch .LBB21_114
.LBB21_110:
	s_mov_b32 s3, s2
	v_pk_mov_b32 v[24:25], s[2:3], s[2:3] op_sel:[0,1]
                                        ; implicit-def: $vgpr26
	v_mov_b32_e32 v3, v1
	s_and_b32 s8, s30, 3
	s_cmp_eq_u32 s8, 0
	s_cbranch_scc1 .LBB21_108
.LBB21_111:
	s_lshl_b32 s3, s2, 3
	s_add_u32 s3, s3, s4
	s_addc_u32 s7, 0, s5
	s_add_u32 s6, s3, 0xc4
	s_addc_u32 s7, s7, 0
	s_mul_i32 s2, s2, 12
	s_add_u32 s2, s4, s2
	s_addc_u32 s3, 0, s5
.LBB21_112:                             ; =>This Inner Loop Header: Depth=1
	s_load_dwordx2 s[10:11], s[2:3], 0x4
	s_load_dword s9, s[2:3], 0xc
	s_load_dwordx2 s[12:13], s[6:7], 0x0
	s_add_u32 s2, s2, 12
	s_addc_u32 s3, s3, 0
	s_waitcnt lgkmcnt(0)
	v_mul_hi_u32 v5, s11, v3
	v_add_u32_e32 v5, v3, v5
	v_lshrrev_b32_e32 v5, s9, v5
	v_mul_lo_u32 v7, v5, s10
	v_mov_b32_e32 v26, v25
	s_add_u32 s6, s6, 8
	v_sub_u32_e32 v7, v3, v7
	s_addc_u32 s7, s7, 0
	s_add_i32 s8, s8, -1
	v_mad_u64_u32 v[26:27], s[10:11], v7, s13, v[26:27]
	v_mad_u64_u32 v[24:25], s[10:11], v7, s12, v[24:25]
	s_cmp_lg_u32 s8, 0
	v_mov_b32_e32 v3, v5
	v_mov_b32_e32 v25, v26
	s_cbranch_scc1 .LBB21_112
; %bb.113:
	v_mov_b32_e32 v26, v25
	s_cbranch_execnz .LBB21_116
.LBB21_114:
	s_load_dwordx4 s[8:11], s[4:5], 0x4
	s_load_dwordx2 s[2:3], s[4:5], 0xc4
	s_cmp_lt_u32 s33, 2
	s_waitcnt lgkmcnt(0)
	v_mul_hi_u32 v3, s9, v1
	v_add_u32_e32 v3, v1, v3
	v_lshrrev_b32_e32 v3, s10, v3
	v_mul_lo_u32 v5, v3, s8
	v_sub_u32_e32 v1, v1, v5
	v_mul_lo_u32 v26, v1, s3
	v_mul_lo_u32 v24, v1, s2
	s_cbranch_scc1 .LBB21_116
; %bb.115:
	s_load_dwordx4 s[8:11], s[4:5], 0x10
	s_load_dwordx2 s[2:3], s[4:5], 0xcc
	s_waitcnt lgkmcnt(0)
	v_mul_hi_u32 v1, s9, v3
	v_add_u32_e32 v1, v3, v1
	v_lshrrev_b32_e32 v1, s10, v1
	v_mul_lo_u32 v1, v1, s8
	v_sub_u32_e32 v1, v3, v1
	v_mad_u64_u32 v[24:25], s[6:7], v1, s2, v[24:25]
	v_mad_u64_u32 v[26:27], s[2:3], v1, s3, v[26:27]
.LBB21_116:
	s_and_b64 vcc, exec, s[0:1]
	s_cbranch_vccnz .LBB21_123
; %bb.117:
	s_mov_b32 s6, 0
	s_cmp_lg_u32 s33, 0
	v_mov_b32_e32 v30, 0
	v_mov_b32_e32 v28, 0
	s_cbranch_scc0 .LBB21_122
; %bb.118:
	s_min_u32 s28, s56, 15
	s_add_i32 s28, s28, 1
	s_cmp_eq_u32 s56, 2
	s_cbranch_scc1 .LBB21_124
; %bb.119:
	s_add_u32 s24, s4, 0xc4
	s_addc_u32 s25, s5, 0
	s_and_b32 s6, s28, 28
	s_mov_b32 s7, 0
	v_mov_b32_e32 v28, 0
	s_mov_b64 s[26:27], s[4:5]
	v_mov_b32_e32 v1, v31
	v_mov_b32_e32 v30, 0
.LBB21_120:                             ; =>This Inner Loop Header: Depth=1
	s_load_dwordx8 s[16:23], s[26:27], 0x4
	s_load_dwordx4 s[0:3], s[26:27], 0x24
	s_load_dwordx8 s[8:15], s[24:25], 0x0
	s_add_u32 s26, s26, 48
	s_addc_u32 s27, s27, 0
	s_waitcnt lgkmcnt(0)
	v_mul_hi_u32 v3, s17, v1
	v_add_u32_e32 v3, v1, v3
	v_lshrrev_b32_e32 v3, s18, v3
	v_mul_lo_u32 v5, v3, s16
	v_mul_hi_u32 v7, s20, v3
	v_sub_u32_e32 v1, v1, v5
	v_add_u32_e32 v5, v3, v7
	v_lshrrev_b32_e32 v5, s21, v5
	v_mul_lo_u32 v9, v5, s19
	v_mul_hi_u32 v11, s23, v5
	v_sub_u32_e32 v3, v3, v9
	v_add_u32_e32 v9, v5, v11
	v_mul_lo_u32 v7, v1, s9
	v_mul_lo_u32 v1, v1, s8
	;; [unrolled: 1-line block ×4, first 2 shown]
	v_lshrrev_b32_e32 v9, s0, v9
	v_add3_u32 v3, v1, v28, v3
	v_add3_u32 v7, v7, v30, v11
	v_mul_lo_u32 v1, v9, s22
	v_mul_hi_u32 v11, s2, v9
	v_sub_u32_e32 v1, v5, v1
	v_add_u32_e32 v5, v9, v11
	v_mul_lo_u32 v11, v1, s12
	v_mul_lo_u32 v13, v1, s13
	v_lshrrev_b32_e32 v1, s3, v5
	s_add_i32 s7, s7, 4
	v_mul_lo_u32 v5, v1, s1
	s_add_u32 s24, s24, 32
	v_sub_u32_e32 v5, v9, v5
	s_addc_u32 s25, s25, 0
	v_mul_lo_u32 v9, v5, s14
	v_mul_lo_u32 v5, v5, s15
	s_cmp_lg_u32 s6, s7
	v_add3_u32 v30, v13, v7, v5
	v_add3_u32 v28, v11, v3, v9
	s_cbranch_scc1 .LBB21_120
; %bb.121:
	v_mov_b32_e32 v29, v30
	s_and_b32 s7, s28, 3
	s_cmp_eq_u32 s7, 0
	s_cbranch_scc0 .LBB21_125
.LBB21_122:
	s_cbranch_execz .LBB21_128
	s_branch .LBB21_130
.LBB21_123:
                                        ; implicit-def: $vgpr30
                                        ; implicit-def: $vgpr28
	s_branch .LBB21_128
.LBB21_124:
	s_mov_b32 s7, s6
	v_pk_mov_b32 v[28:29], s[6:7], s[6:7] op_sel:[0,1]
                                        ; implicit-def: $vgpr30
	v_mov_b32_e32 v1, v31
	s_and_b32 s7, s28, 3
	s_cmp_eq_u32 s7, 0
	s_cbranch_scc1 .LBB21_122
.LBB21_125:
	s_lshl_b32 s0, s6, 3
	s_add_u32 s0, s0, s4
	s_addc_u32 s1, 0, s5
	s_add_u32 s0, s0, 0xc4
	s_addc_u32 s1, s1, 0
	s_mul_i32 s2, s6, 12
	s_add_u32 s2, s4, s2
	s_addc_u32 s3, 0, s5
.LBB21_126:                             ; =>This Inner Loop Header: Depth=1
	s_load_dwordx2 s[8:9], s[2:3], 0x4
	s_load_dword s6, s[2:3], 0xc
	s_load_dwordx2 s[10:11], s[0:1], 0x0
	s_add_u32 s2, s2, 12
	s_addc_u32 s3, s3, 0
	s_waitcnt lgkmcnt(0)
	v_mul_hi_u32 v3, s9, v1
	v_add_u32_e32 v3, v1, v3
	v_lshrrev_b32_e32 v3, s6, v3
	v_mul_lo_u32 v5, v3, s8
	v_mov_b32_e32 v30, v29
	s_add_u32 s0, s0, 8
	v_sub_u32_e32 v5, v1, v5
	s_addc_u32 s1, s1, 0
	s_add_i32 s7, s7, -1
	v_mad_u64_u32 v[32:33], s[8:9], v5, s11, v[30:31]
	v_mad_u64_u32 v[28:29], s[8:9], v5, s10, v[28:29]
	s_cmp_lg_u32 s7, 0
	v_mov_b32_e32 v1, v3
	v_mov_b32_e32 v29, v32
	s_cbranch_scc1 .LBB21_126
; %bb.127:
	v_mov_b32_e32 v30, v29
	s_cbranch_execnz .LBB21_130
.LBB21_128:
	s_load_dwordx4 s[0:3], s[4:5], 0x4
	s_load_dwordx2 s[6:7], s[4:5], 0xc4
	s_cmp_lt_u32 s33, 2
	s_waitcnt lgkmcnt(0)
	v_mul_hi_u32 v1, s1, v31
	v_add_u32_e32 v1, v31, v1
	v_lshrrev_b32_e32 v1, s2, v1
	v_mul_lo_u32 v3, v1, s0
	v_sub_u32_e32 v3, v31, v3
	v_mul_lo_u32 v30, v3, s7
	v_mul_lo_u32 v28, v3, s6
	s_cbranch_scc1 .LBB21_130
; %bb.129:
	s_load_dwordx4 s[0:3], s[4:5], 0x10
	s_load_dwordx2 s[6:7], s[4:5], 0xcc
	s_waitcnt lgkmcnt(0)
	v_mul_hi_u32 v3, s1, v1
	v_add_u32_e32 v3, v1, v3
	v_lshrrev_b32_e32 v3, s2, v3
	v_mul_lo_u32 v3, v3, s0
	v_sub_u32_e32 v1, v1, v3
	v_mad_u64_u32 v[28:29], s[0:1], v1, s6, v[28:29]
	v_mad_u64_u32 v[30:31], s[0:1], v1, s7, v[30:31]
.LBB21_130:
	s_load_dwordx4 s[16:19], s[4:5], 0x148
	s_load_dword s12, s[4:5], 0x158
	s_waitcnt lgkmcnt(0)
	global_load_ushort v1, v2, s[18:19]
	global_load_ushort v3, v6, s[18:19]
	;; [unrolled: 1-line block ×8, first 2 shown]
	s_waitcnt vmcnt(7)
	v_cmp_nge_f16_e64 s[14:15], v1, -s12
	v_cmp_nge_f16_e32 vcc, s12, v1
	s_waitcnt vmcnt(6)
	v_cmp_nge_f16_e64 s[18:19], v3, -s12
	v_cmp_nge_f16_e64 s[0:1], s12, v3
	s_or_b64 vcc, s[14:15], vcc
	s_waitcnt vmcnt(5)
	v_cmp_nge_f16_e64 s[20:21], v5, -s12
	v_cmp_nge_f16_e64 s[2:3], s12, v5
	v_cndmask_b32_e32 v1, 0, v1, vcc
	s_or_b64 vcc, s[18:19], s[0:1]
	s_waitcnt vmcnt(4)
	v_cmp_nge_f16_e64 s[22:23], v7, -s12
	v_cmp_nge_f16_e64 s[4:5], s12, v7
	v_cndmask_b32_e32 v2, 0, v3, vcc
	s_or_b64 vcc, s[20:21], s[2:3]
	;; [unrolled: 5-line block ×6, first 2 shown]
	v_cndmask_b32_e32 v9, 0, v13, vcc
	s_or_b64 vcc, s[30:31], s[12:13]
	v_cndmask_b32_e32 v10, 0, v15, vcc
	global_store_short v0, v1, s[16:17]
	global_store_short v4, v2, s[16:17]
	;; [unrolled: 1-line block ×8, first 2 shown]
	s_endpgm
.LBB21_131:
	s_mov_b32 s51, s50
	v_pk_mov_b32 v[0:1], s[50:51], s[50:51] op_sel:[0,1]
                                        ; implicit-def: $vgpr2
	v_mov_b32_e32 v3, v24
.LBB21_132:
	s_and_b32 s12, s60, 3
	s_cmp_eq_u32 s12, 0
	s_cbranch_scc1 .LBB21_136
; %bb.133:
	s_lshl_b32 s8, s50, 3
	s_add_u32 s8, s8, s4
	s_addc_u32 s9, s5, 0
	s_add_u32 s8, s8, 0xc4
	s_addc_u32 s9, s9, 0
	s_mul_i32 s10, s50, 12
	s_add_u32 s10, s4, s10
	s_addc_u32 s11, s5, 0
.LBB21_134:                             ; =>This Inner Loop Header: Depth=1
	s_load_dwordx2 s[14:15], s[10:11], 0x4
	s_load_dword s13, s[10:11], 0xc
	s_load_dwordx2 s[16:17], s[8:9], 0x0
	v_mov_b32_e32 v2, v1
	s_add_u32 s10, s10, 12
	s_waitcnt lgkmcnt(0)
	v_mul_hi_u32 v1, s15, v3
	v_add_u32_e32 v1, v3, v1
	v_lshrrev_b32_e32 v1, s13, v1
	s_addc_u32 s11, s11, 0
	v_mul_lo_u32 v4, v1, s14
	s_add_u32 s8, s8, 8
	v_sub_u32_e32 v6, v3, v4
	v_mov_b32_e32 v3, v1
	s_addc_u32 s9, s9, 0
	s_add_i32 s12, s12, -1
	v_mad_u64_u32 v[4:5], s[14:15], v6, s17, v[2:3]
	v_mad_u64_u32 v[0:1], s[14:15], v6, s16, v[0:1]
	s_cmp_lg_u32 s12, 0
	v_mov_b32_e32 v1, v4
	s_cbranch_scc1 .LBB21_134
; %bb.135:
	v_mov_b32_e32 v2, v1
.LBB21_136:
	s_cbranch_execnz .LBB21_139
.LBB21_137:
	s_waitcnt lgkmcnt(0)
	v_mul_hi_u32 v0, s29, v24
	v_add_u32_e32 v0, v24, v0
	v_lshrrev_b32_e32 v1, s30, v0
	v_mul_lo_u32 v0, v1, s28
	v_sub_u32_e32 v0, v24, v0
	v_mul_lo_u32 v2, v0, s25
	s_andn2_b64 vcc, exec, s[42:43]
	v_mul_lo_u32 v0, v0, s24
	s_cbranch_vccnz .LBB21_139
; %bb.138:
	v_mul_hi_u32 v3, s40, v1
	v_add_u32_e32 v3, v1, v3
	v_lshrrev_b32_e32 v3, s41, v3
	v_mul_lo_u32 v3, v3, s31
	v_sub_u32_e32 v3, v1, v3
	v_mad_u64_u32 v[0:1], s[8:9], v3, s26, v[0:1]
	v_mad_u64_u32 v[2:3], s[8:9], v3, s27, v[2:3]
.LBB21_139:
	s_waitcnt lgkmcnt(0)
	global_load_ushort v1, v2, s[2:3]
	v_add_u32_e32 v24, 0x80, v24
	s_waitcnt vmcnt(0)
	v_cmp_nge_f16_e64 s[8:9], v1, -s57
	v_cmp_nge_f16_e32 vcc, s57, v1
	s_or_b64 vcc, s[8:9], vcc
	v_cndmask_b32_e32 v1, 0, v1, vcc
	global_store_short v0, v1, s[0:1]
	s_or_b64 exec, exec, s[48:49]
	v_cmp_gt_i32_e32 vcc, s58, v24
	s_and_saveexec_b64 s[48:49], vcc
	s_cbranch_execnz .LBB21_17
.LBB21_140:
	s_or_b64 exec, exec, s[48:49]
	v_cmp_gt_i32_e32 vcc, s58, v24
	s_and_saveexec_b64 s[48:49], vcc
	s_cbranch_execz .LBB21_157
.LBB21_141:
	s_andn2_b64 vcc, exec, s[6:7]
	s_cbranch_vccnz .LBB21_147
; %bb.142:
	s_mov_b32 s50, 0
	s_andn2_b64 vcc, exec, s[46:47]
	v_mov_b32_e32 v2, 0
	v_mov_b32_e32 v0, 0
	s_cbranch_vccnz .LBB21_170
; %bb.143:
	s_add_i32 s60, s59, 1
	s_cmp_eq_u32 s56, 2
	s_cbranch_scc1 .LBB21_165
; %bb.144:
	s_and_b32 s50, s60, 28
	s_mov_b32 s51, 0
	v_mov_b32_e32 v0, 0
	s_mov_b64 s[52:53], s[4:5]
	s_mov_b64 s[54:55], s[44:45]
	v_mov_b32_e32 v3, v24
	v_mov_b32_e32 v2, 0
.LBB21_145:                             ; =>This Inner Loop Header: Depth=1
	s_load_dwordx8 s[16:23], s[52:53], 0x4
	s_load_dwordx4 s[36:39], s[52:53], 0x24
	s_load_dwordx8 s[8:15], s[54:55], 0x0
	s_add_u32 s52, s52, 48
	s_addc_u32 s53, s53, 0
	s_waitcnt lgkmcnt(0)
	v_mul_hi_u32 v1, s17, v3
	v_add_u32_e32 v1, v3, v1
	v_lshrrev_b32_e32 v1, s18, v1
	v_mul_lo_u32 v4, v1, s16
	v_mul_hi_u32 v5, s20, v1
	v_sub_u32_e32 v3, v3, v4
	v_add_u32_e32 v4, v1, v5
	v_lshrrev_b32_e32 v4, s21, v4
	v_mul_lo_u32 v6, v4, s19
	v_mul_hi_u32 v7, s23, v4
	v_sub_u32_e32 v1, v1, v6
	v_add_u32_e32 v6, v4, v7
	v_mul_lo_u32 v5, v3, s9
	v_mul_lo_u32 v3, v3, s8
	;; [unrolled: 1-line block ×4, first 2 shown]
	v_lshrrev_b32_e32 v6, s36, v6
	v_add3_u32 v0, v3, v0, v1
	v_mul_hi_u32 v3, s38, v6
	v_add_u32_e32 v3, v6, v3
	v_lshrrev_b32_e32 v3, s39, v3
	s_add_i32 s51, s51, 4
	v_add3_u32 v1, v5, v2, v7
	v_mul_lo_u32 v2, v6, s22
	v_mul_lo_u32 v5, v3, s37
	s_add_u32 s54, s54, 32
	v_sub_u32_e32 v2, v4, v2
	v_sub_u32_e32 v5, v6, v5
	s_addc_u32 s55, s55, 0
	v_mul_lo_u32 v4, v2, s12
	v_mul_lo_u32 v2, v2, s13
	;; [unrolled: 1-line block ×4, first 2 shown]
	s_cmp_eq_u32 s50, s51
	v_add3_u32 v2, v2, v1, v5
	v_add3_u32 v0, v4, v0, v6
	s_cbranch_scc0 .LBB21_145
; %bb.146:
	v_mov_b32_e32 v1, v2
	s_branch .LBB21_166
.LBB21_147:
                                        ; implicit-def: $vgpr2
                                        ; implicit-def: $vgpr0
	s_branch .LBB21_171
.LBB21_148:
	s_mov_b32 s51, s50
	v_pk_mov_b32 v[0:1], s[50:51], s[50:51] op_sel:[0,1]
                                        ; implicit-def: $vgpr2
	v_mov_b32_e32 v3, v24
.LBB21_149:
	s_and_b32 s12, s60, 3
	s_cmp_eq_u32 s12, 0
	s_cbranch_scc1 .LBB21_153
; %bb.150:
	s_lshl_b32 s8, s50, 3
	s_add_u32 s8, s8, s4
	s_addc_u32 s9, s5, 0
	s_add_u32 s8, s8, 0xc4
	s_addc_u32 s9, s9, 0
	s_mul_i32 s10, s50, 12
	s_add_u32 s10, s4, s10
	s_addc_u32 s11, s5, 0
.LBB21_151:                             ; =>This Inner Loop Header: Depth=1
	s_load_dwordx2 s[14:15], s[10:11], 0x4
	s_load_dword s13, s[10:11], 0xc
	s_load_dwordx2 s[16:17], s[8:9], 0x0
	v_mov_b32_e32 v2, v1
	s_add_u32 s10, s10, 12
	s_waitcnt lgkmcnt(0)
	v_mul_hi_u32 v1, s15, v3
	v_add_u32_e32 v1, v3, v1
	v_lshrrev_b32_e32 v1, s13, v1
	s_addc_u32 s11, s11, 0
	v_mul_lo_u32 v4, v1, s14
	s_add_u32 s8, s8, 8
	v_sub_u32_e32 v6, v3, v4
	v_mov_b32_e32 v3, v1
	s_addc_u32 s9, s9, 0
	s_add_i32 s12, s12, -1
	v_mad_u64_u32 v[4:5], s[14:15], v6, s17, v[2:3]
	v_mad_u64_u32 v[0:1], s[14:15], v6, s16, v[0:1]
	s_cmp_lg_u32 s12, 0
	v_mov_b32_e32 v1, v4
	s_cbranch_scc1 .LBB21_151
; %bb.152:
	v_mov_b32_e32 v2, v1
.LBB21_153:
	s_cbranch_execnz .LBB21_156
.LBB21_154:
	s_waitcnt lgkmcnt(0)
	v_mul_hi_u32 v0, s29, v24
	v_add_u32_e32 v0, v24, v0
	v_lshrrev_b32_e32 v1, s30, v0
	v_mul_lo_u32 v0, v1, s28
	v_sub_u32_e32 v0, v24, v0
	v_mul_lo_u32 v2, v0, s25
	s_andn2_b64 vcc, exec, s[42:43]
	v_mul_lo_u32 v0, v0, s24
	s_cbranch_vccnz .LBB21_156
; %bb.155:
	v_mul_hi_u32 v3, s40, v1
	v_add_u32_e32 v3, v1, v3
	v_lshrrev_b32_e32 v3, s41, v3
	v_mul_lo_u32 v3, v3, s31
	v_sub_u32_e32 v3, v1, v3
	v_mad_u64_u32 v[0:1], s[8:9], v3, s26, v[0:1]
	v_mad_u64_u32 v[2:3], s[8:9], v3, s27, v[2:3]
.LBB21_156:
	s_waitcnt lgkmcnt(0)
	global_load_ushort v1, v2, s[2:3]
	v_add_u32_e32 v24, 0x80, v24
	s_waitcnt vmcnt(0)
	v_cmp_nge_f16_e64 s[8:9], v1, -s57
	v_cmp_nge_f16_e32 vcc, s57, v1
	s_or_b64 vcc, s[8:9], vcc
	v_cndmask_b32_e32 v1, 0, v1, vcc
	global_store_short v0, v1, s[0:1]
	s_or_b64 exec, exec, s[48:49]
	v_cmp_gt_i32_e32 vcc, s58, v24
	s_and_saveexec_b64 s[48:49], vcc
	s_cbranch_execnz .LBB21_141
.LBB21_157:
	s_or_b64 exec, exec, s[48:49]
	v_cmp_gt_i32_e32 vcc, s58, v24
	s_and_saveexec_b64 s[48:49], vcc
	s_cbranch_execz .LBB21_174
.LBB21_158:
	s_andn2_b64 vcc, exec, s[6:7]
	s_cbranch_vccnz .LBB21_164
; %bb.159:
	s_mov_b32 s50, 0
	s_andn2_b64 vcc, exec, s[46:47]
	v_mov_b32_e32 v2, 0
	v_mov_b32_e32 v0, 0
	s_cbranch_vccnz .LBB21_187
; %bb.160:
	s_add_i32 s60, s59, 1
	s_cmp_eq_u32 s56, 2
	s_cbranch_scc1 .LBB21_182
; %bb.161:
	s_and_b32 s50, s60, 28
	s_mov_b32 s51, 0
	v_mov_b32_e32 v0, 0
	s_mov_b64 s[52:53], s[4:5]
	s_mov_b64 s[54:55], s[44:45]
	v_mov_b32_e32 v3, v24
	v_mov_b32_e32 v2, 0
.LBB21_162:                             ; =>This Inner Loop Header: Depth=1
	s_load_dwordx8 s[16:23], s[52:53], 0x4
	s_load_dwordx4 s[36:39], s[52:53], 0x24
	s_load_dwordx8 s[8:15], s[54:55], 0x0
	s_add_u32 s52, s52, 48
	s_addc_u32 s53, s53, 0
	s_waitcnt lgkmcnt(0)
	v_mul_hi_u32 v1, s17, v3
	v_add_u32_e32 v1, v3, v1
	v_lshrrev_b32_e32 v1, s18, v1
	v_mul_lo_u32 v4, v1, s16
	v_mul_hi_u32 v5, s20, v1
	v_sub_u32_e32 v3, v3, v4
	v_add_u32_e32 v4, v1, v5
	v_lshrrev_b32_e32 v4, s21, v4
	v_mul_lo_u32 v6, v4, s19
	v_mul_hi_u32 v7, s23, v4
	v_sub_u32_e32 v1, v1, v6
	v_add_u32_e32 v6, v4, v7
	v_mul_lo_u32 v5, v3, s9
	v_mul_lo_u32 v3, v3, s8
	;; [unrolled: 1-line block ×4, first 2 shown]
	v_lshrrev_b32_e32 v6, s36, v6
	v_add3_u32 v0, v3, v0, v1
	v_mul_hi_u32 v3, s38, v6
	v_add_u32_e32 v3, v6, v3
	v_lshrrev_b32_e32 v3, s39, v3
	s_add_i32 s51, s51, 4
	v_add3_u32 v1, v5, v2, v7
	v_mul_lo_u32 v2, v6, s22
	v_mul_lo_u32 v5, v3, s37
	s_add_u32 s54, s54, 32
	v_sub_u32_e32 v2, v4, v2
	v_sub_u32_e32 v5, v6, v5
	s_addc_u32 s55, s55, 0
	v_mul_lo_u32 v4, v2, s12
	v_mul_lo_u32 v2, v2, s13
	;; [unrolled: 1-line block ×4, first 2 shown]
	s_cmp_eq_u32 s50, s51
	v_add3_u32 v2, v2, v1, v5
	v_add3_u32 v0, v4, v0, v6
	s_cbranch_scc0 .LBB21_162
; %bb.163:
	v_mov_b32_e32 v1, v2
	s_branch .LBB21_183
.LBB21_164:
                                        ; implicit-def: $vgpr2
                                        ; implicit-def: $vgpr0
	s_branch .LBB21_188
.LBB21_165:
	s_mov_b32 s51, s50
	v_pk_mov_b32 v[0:1], s[50:51], s[50:51] op_sel:[0,1]
                                        ; implicit-def: $vgpr2
	v_mov_b32_e32 v3, v24
.LBB21_166:
	s_and_b32 s12, s60, 3
	s_cmp_eq_u32 s12, 0
	s_cbranch_scc1 .LBB21_170
; %bb.167:
	s_lshl_b32 s8, s50, 3
	s_add_u32 s8, s8, s4
	s_addc_u32 s9, s5, 0
	s_add_u32 s8, s8, 0xc4
	s_addc_u32 s9, s9, 0
	s_mul_i32 s10, s50, 12
	s_add_u32 s10, s4, s10
	s_addc_u32 s11, s5, 0
.LBB21_168:                             ; =>This Inner Loop Header: Depth=1
	s_load_dwordx2 s[14:15], s[10:11], 0x4
	s_load_dword s13, s[10:11], 0xc
	s_load_dwordx2 s[16:17], s[8:9], 0x0
	v_mov_b32_e32 v2, v1
	s_add_u32 s10, s10, 12
	s_waitcnt lgkmcnt(0)
	v_mul_hi_u32 v1, s15, v3
	v_add_u32_e32 v1, v3, v1
	v_lshrrev_b32_e32 v1, s13, v1
	s_addc_u32 s11, s11, 0
	v_mul_lo_u32 v4, v1, s14
	s_add_u32 s8, s8, 8
	v_sub_u32_e32 v6, v3, v4
	v_mov_b32_e32 v3, v1
	s_addc_u32 s9, s9, 0
	s_add_i32 s12, s12, -1
	v_mad_u64_u32 v[4:5], s[14:15], v6, s17, v[2:3]
	v_mad_u64_u32 v[0:1], s[14:15], v6, s16, v[0:1]
	s_cmp_lg_u32 s12, 0
	v_mov_b32_e32 v1, v4
	s_cbranch_scc1 .LBB21_168
; %bb.169:
	v_mov_b32_e32 v2, v1
.LBB21_170:
	s_cbranch_execnz .LBB21_173
.LBB21_171:
	s_waitcnt lgkmcnt(0)
	v_mul_hi_u32 v0, s29, v24
	v_add_u32_e32 v0, v24, v0
	v_lshrrev_b32_e32 v1, s30, v0
	v_mul_lo_u32 v0, v1, s28
	v_sub_u32_e32 v0, v24, v0
	v_mul_lo_u32 v2, v0, s25
	s_andn2_b64 vcc, exec, s[42:43]
	v_mul_lo_u32 v0, v0, s24
	s_cbranch_vccnz .LBB21_173
; %bb.172:
	v_mul_hi_u32 v3, s40, v1
	v_add_u32_e32 v3, v1, v3
	v_lshrrev_b32_e32 v3, s41, v3
	v_mul_lo_u32 v3, v3, s31
	v_sub_u32_e32 v3, v1, v3
	v_mad_u64_u32 v[0:1], s[8:9], v3, s26, v[0:1]
	v_mad_u64_u32 v[2:3], s[8:9], v3, s27, v[2:3]
.LBB21_173:
	s_waitcnt lgkmcnt(0)
	global_load_ushort v1, v2, s[2:3]
	v_add_u32_e32 v24, 0x80, v24
	s_waitcnt vmcnt(0)
	v_cmp_nge_f16_e64 s[8:9], v1, -s57
	v_cmp_nge_f16_e32 vcc, s57, v1
	s_or_b64 vcc, s[8:9], vcc
	v_cndmask_b32_e32 v1, 0, v1, vcc
	global_store_short v0, v1, s[0:1]
	s_or_b64 exec, exec, s[48:49]
	v_cmp_gt_i32_e32 vcc, s58, v24
	s_and_saveexec_b64 s[48:49], vcc
	s_cbranch_execnz .LBB21_158
.LBB21_174:
	s_or_b64 exec, exec, s[48:49]
	v_cmp_gt_i32_e32 vcc, s58, v24
	s_and_saveexec_b64 s[48:49], vcc
	s_cbranch_execz .LBB21_191
.LBB21_175:
	s_andn2_b64 vcc, exec, s[6:7]
	s_cbranch_vccnz .LBB21_181
; %bb.176:
	s_mov_b32 s50, 0
	s_andn2_b64 vcc, exec, s[46:47]
	v_mov_b32_e32 v2, 0
	v_mov_b32_e32 v0, 0
	s_cbranch_vccnz .LBB21_204
; %bb.177:
	s_add_i32 s60, s59, 1
	s_cmp_eq_u32 s56, 2
	s_cbranch_scc1 .LBB21_199
; %bb.178:
	s_and_b32 s50, s60, 28
	s_mov_b32 s51, 0
	v_mov_b32_e32 v0, 0
	s_mov_b64 s[52:53], s[4:5]
	s_mov_b64 s[54:55], s[44:45]
	v_mov_b32_e32 v3, v24
	v_mov_b32_e32 v2, 0
.LBB21_179:                             ; =>This Inner Loop Header: Depth=1
	s_load_dwordx8 s[16:23], s[52:53], 0x4
	s_load_dwordx4 s[36:39], s[52:53], 0x24
	s_load_dwordx8 s[8:15], s[54:55], 0x0
	s_add_u32 s52, s52, 48
	s_addc_u32 s53, s53, 0
	s_waitcnt lgkmcnt(0)
	v_mul_hi_u32 v1, s17, v3
	v_add_u32_e32 v1, v3, v1
	v_lshrrev_b32_e32 v1, s18, v1
	v_mul_lo_u32 v4, v1, s16
	v_mul_hi_u32 v5, s20, v1
	v_sub_u32_e32 v3, v3, v4
	v_add_u32_e32 v4, v1, v5
	v_lshrrev_b32_e32 v4, s21, v4
	v_mul_lo_u32 v6, v4, s19
	v_mul_hi_u32 v7, s23, v4
	v_sub_u32_e32 v1, v1, v6
	v_add_u32_e32 v6, v4, v7
	v_mul_lo_u32 v5, v3, s9
	v_mul_lo_u32 v3, v3, s8
	;; [unrolled: 1-line block ×4, first 2 shown]
	v_lshrrev_b32_e32 v6, s36, v6
	v_add3_u32 v0, v3, v0, v1
	v_mul_hi_u32 v3, s38, v6
	v_add_u32_e32 v3, v6, v3
	v_lshrrev_b32_e32 v3, s39, v3
	s_add_i32 s51, s51, 4
	v_add3_u32 v1, v5, v2, v7
	v_mul_lo_u32 v2, v6, s22
	v_mul_lo_u32 v5, v3, s37
	s_add_u32 s54, s54, 32
	v_sub_u32_e32 v2, v4, v2
	v_sub_u32_e32 v5, v6, v5
	s_addc_u32 s55, s55, 0
	v_mul_lo_u32 v4, v2, s12
	v_mul_lo_u32 v2, v2, s13
	;; [unrolled: 1-line block ×4, first 2 shown]
	s_cmp_eq_u32 s50, s51
	v_add3_u32 v2, v2, v1, v5
	v_add3_u32 v0, v4, v0, v6
	s_cbranch_scc0 .LBB21_179
; %bb.180:
	v_mov_b32_e32 v1, v2
	s_branch .LBB21_200
.LBB21_181:
                                        ; implicit-def: $vgpr2
                                        ; implicit-def: $vgpr0
	s_branch .LBB21_205
.LBB21_182:
	s_mov_b32 s51, s50
	v_pk_mov_b32 v[0:1], s[50:51], s[50:51] op_sel:[0,1]
                                        ; implicit-def: $vgpr2
	v_mov_b32_e32 v3, v24
.LBB21_183:
	s_and_b32 s12, s60, 3
	s_cmp_eq_u32 s12, 0
	s_cbranch_scc1 .LBB21_187
; %bb.184:
	s_lshl_b32 s8, s50, 3
	s_add_u32 s8, s8, s4
	s_addc_u32 s9, s5, 0
	s_add_u32 s8, s8, 0xc4
	s_addc_u32 s9, s9, 0
	s_mul_i32 s10, s50, 12
	s_add_u32 s10, s4, s10
	s_addc_u32 s11, s5, 0
.LBB21_185:                             ; =>This Inner Loop Header: Depth=1
	s_load_dwordx2 s[14:15], s[10:11], 0x4
	s_load_dword s13, s[10:11], 0xc
	s_load_dwordx2 s[16:17], s[8:9], 0x0
	v_mov_b32_e32 v2, v1
	s_add_u32 s10, s10, 12
	s_waitcnt lgkmcnt(0)
	v_mul_hi_u32 v1, s15, v3
	v_add_u32_e32 v1, v3, v1
	v_lshrrev_b32_e32 v1, s13, v1
	s_addc_u32 s11, s11, 0
	v_mul_lo_u32 v4, v1, s14
	s_add_u32 s8, s8, 8
	v_sub_u32_e32 v6, v3, v4
	v_mov_b32_e32 v3, v1
	s_addc_u32 s9, s9, 0
	s_add_i32 s12, s12, -1
	v_mad_u64_u32 v[4:5], s[14:15], v6, s17, v[2:3]
	v_mad_u64_u32 v[0:1], s[14:15], v6, s16, v[0:1]
	s_cmp_lg_u32 s12, 0
	v_mov_b32_e32 v1, v4
	s_cbranch_scc1 .LBB21_185
; %bb.186:
	v_mov_b32_e32 v2, v1
.LBB21_187:
	s_cbranch_execnz .LBB21_190
.LBB21_188:
	s_waitcnt lgkmcnt(0)
	v_mul_hi_u32 v0, s29, v24
	v_add_u32_e32 v0, v24, v0
	v_lshrrev_b32_e32 v1, s30, v0
	v_mul_lo_u32 v0, v1, s28
	v_sub_u32_e32 v0, v24, v0
	v_mul_lo_u32 v2, v0, s25
	s_andn2_b64 vcc, exec, s[42:43]
	v_mul_lo_u32 v0, v0, s24
	s_cbranch_vccnz .LBB21_190
; %bb.189:
	v_mul_hi_u32 v3, s40, v1
	v_add_u32_e32 v3, v1, v3
	v_lshrrev_b32_e32 v3, s41, v3
	v_mul_lo_u32 v3, v3, s31
	v_sub_u32_e32 v3, v1, v3
	v_mad_u64_u32 v[0:1], s[8:9], v3, s26, v[0:1]
	v_mad_u64_u32 v[2:3], s[8:9], v3, s27, v[2:3]
.LBB21_190:
	s_waitcnt lgkmcnt(0)
	global_load_ushort v1, v2, s[2:3]
	v_add_u32_e32 v24, 0x80, v24
	s_waitcnt vmcnt(0)
	v_cmp_nge_f16_e64 s[8:9], v1, -s57
	v_cmp_nge_f16_e32 vcc, s57, v1
	s_or_b64 vcc, s[8:9], vcc
	v_cndmask_b32_e32 v1, 0, v1, vcc
	global_store_short v0, v1, s[0:1]
	s_or_b64 exec, exec, s[48:49]
	v_cmp_gt_i32_e32 vcc, s58, v24
	s_and_saveexec_b64 s[48:49], vcc
	s_cbranch_execnz .LBB21_175
.LBB21_191:
	s_or_b64 exec, exec, s[48:49]
	v_cmp_gt_i32_e32 vcc, s58, v24
	s_and_saveexec_b64 s[48:49], vcc
	s_cbranch_execz .LBB21_208
.LBB21_192:
	s_andn2_b64 vcc, exec, s[6:7]
	s_cbranch_vccnz .LBB21_198
; %bb.193:
	s_mov_b32 s50, 0
	s_andn2_b64 vcc, exec, s[46:47]
	v_mov_b32_e32 v2, 0
	v_mov_b32_e32 v0, 0
	s_cbranch_vccnz .LBB21_221
; %bb.194:
	s_add_i32 s60, s59, 1
	s_cmp_eq_u32 s56, 2
	s_cbranch_scc1 .LBB21_216
; %bb.195:
	s_and_b32 s50, s60, 28
	s_mov_b32 s51, 0
	v_mov_b32_e32 v0, 0
	s_mov_b64 s[52:53], s[4:5]
	s_mov_b64 s[54:55], s[44:45]
	v_mov_b32_e32 v3, v24
	v_mov_b32_e32 v2, 0
.LBB21_196:                             ; =>This Inner Loop Header: Depth=1
	s_load_dwordx8 s[16:23], s[52:53], 0x4
	s_load_dwordx4 s[36:39], s[52:53], 0x24
	s_load_dwordx8 s[8:15], s[54:55], 0x0
	s_add_u32 s52, s52, 48
	s_addc_u32 s53, s53, 0
	s_waitcnt lgkmcnt(0)
	v_mul_hi_u32 v1, s17, v3
	v_add_u32_e32 v1, v3, v1
	v_lshrrev_b32_e32 v1, s18, v1
	v_mul_lo_u32 v4, v1, s16
	v_mul_hi_u32 v5, s20, v1
	v_sub_u32_e32 v3, v3, v4
	v_add_u32_e32 v4, v1, v5
	v_lshrrev_b32_e32 v4, s21, v4
	v_mul_lo_u32 v6, v4, s19
	v_mul_hi_u32 v7, s23, v4
	v_sub_u32_e32 v1, v1, v6
	v_add_u32_e32 v6, v4, v7
	v_mul_lo_u32 v5, v3, s9
	v_mul_lo_u32 v3, v3, s8
	;; [unrolled: 1-line block ×4, first 2 shown]
	v_lshrrev_b32_e32 v6, s36, v6
	v_add3_u32 v0, v3, v0, v1
	v_mul_hi_u32 v3, s38, v6
	v_add_u32_e32 v3, v6, v3
	v_lshrrev_b32_e32 v3, s39, v3
	s_add_i32 s51, s51, 4
	v_add3_u32 v1, v5, v2, v7
	v_mul_lo_u32 v2, v6, s22
	v_mul_lo_u32 v5, v3, s37
	s_add_u32 s54, s54, 32
	v_sub_u32_e32 v2, v4, v2
	v_sub_u32_e32 v5, v6, v5
	s_addc_u32 s55, s55, 0
	v_mul_lo_u32 v4, v2, s12
	v_mul_lo_u32 v2, v2, s13
	;; [unrolled: 1-line block ×4, first 2 shown]
	s_cmp_eq_u32 s50, s51
	v_add3_u32 v2, v2, v1, v5
	v_add3_u32 v0, v4, v0, v6
	s_cbranch_scc0 .LBB21_196
; %bb.197:
	v_mov_b32_e32 v1, v2
	s_branch .LBB21_217
.LBB21_198:
                                        ; implicit-def: $vgpr2
                                        ; implicit-def: $vgpr0
	s_branch .LBB21_222
.LBB21_199:
	s_mov_b32 s51, s50
	v_pk_mov_b32 v[0:1], s[50:51], s[50:51] op_sel:[0,1]
                                        ; implicit-def: $vgpr2
	v_mov_b32_e32 v3, v24
.LBB21_200:
	s_and_b32 s12, s60, 3
	s_cmp_eq_u32 s12, 0
	s_cbranch_scc1 .LBB21_204
; %bb.201:
	s_lshl_b32 s8, s50, 3
	s_add_u32 s8, s8, s4
	s_addc_u32 s9, s5, 0
	s_add_u32 s8, s8, 0xc4
	s_addc_u32 s9, s9, 0
	s_mul_i32 s10, s50, 12
	s_add_u32 s10, s4, s10
	s_addc_u32 s11, s5, 0
.LBB21_202:                             ; =>This Inner Loop Header: Depth=1
	s_load_dwordx2 s[14:15], s[10:11], 0x4
	s_load_dword s13, s[10:11], 0xc
	s_load_dwordx2 s[16:17], s[8:9], 0x0
	v_mov_b32_e32 v2, v1
	s_add_u32 s10, s10, 12
	s_waitcnt lgkmcnt(0)
	v_mul_hi_u32 v1, s15, v3
	v_add_u32_e32 v1, v3, v1
	v_lshrrev_b32_e32 v1, s13, v1
	s_addc_u32 s11, s11, 0
	v_mul_lo_u32 v4, v1, s14
	s_add_u32 s8, s8, 8
	v_sub_u32_e32 v6, v3, v4
	v_mov_b32_e32 v3, v1
	s_addc_u32 s9, s9, 0
	s_add_i32 s12, s12, -1
	v_mad_u64_u32 v[4:5], s[14:15], v6, s17, v[2:3]
	v_mad_u64_u32 v[0:1], s[14:15], v6, s16, v[0:1]
	s_cmp_lg_u32 s12, 0
	v_mov_b32_e32 v1, v4
	s_cbranch_scc1 .LBB21_202
; %bb.203:
	v_mov_b32_e32 v2, v1
.LBB21_204:
	s_cbranch_execnz .LBB21_207
.LBB21_205:
	s_waitcnt lgkmcnt(0)
	v_mul_hi_u32 v0, s29, v24
	v_add_u32_e32 v0, v24, v0
	v_lshrrev_b32_e32 v1, s30, v0
	v_mul_lo_u32 v0, v1, s28
	v_sub_u32_e32 v0, v24, v0
	v_mul_lo_u32 v2, v0, s25
	s_andn2_b64 vcc, exec, s[42:43]
	v_mul_lo_u32 v0, v0, s24
	s_cbranch_vccnz .LBB21_207
; %bb.206:
	v_mul_hi_u32 v3, s40, v1
	v_add_u32_e32 v3, v1, v3
	v_lshrrev_b32_e32 v3, s41, v3
	v_mul_lo_u32 v3, v3, s31
	v_sub_u32_e32 v3, v1, v3
	v_mad_u64_u32 v[0:1], s[8:9], v3, s26, v[0:1]
	v_mad_u64_u32 v[2:3], s[8:9], v3, s27, v[2:3]
.LBB21_207:
	s_waitcnt lgkmcnt(0)
	global_load_ushort v1, v2, s[2:3]
	v_add_u32_e32 v24, 0x80, v24
	s_waitcnt vmcnt(0)
	v_cmp_nge_f16_e64 s[8:9], v1, -s57
	v_cmp_nge_f16_e32 vcc, s57, v1
	s_or_b64 vcc, s[8:9], vcc
	v_cndmask_b32_e32 v1, 0, v1, vcc
	global_store_short v0, v1, s[0:1]
	s_or_b64 exec, exec, s[48:49]
	v_cmp_gt_i32_e32 vcc, s58, v24
	s_and_saveexec_b64 s[48:49], vcc
	s_cbranch_execnz .LBB21_192
.LBB21_208:
	s_or_b64 exec, exec, s[48:49]
	v_cmp_gt_i32_e32 vcc, s58, v24
	s_and_saveexec_b64 s[48:49], vcc
	s_cbranch_execz .LBB21_225
.LBB21_209:
	s_andn2_b64 vcc, exec, s[6:7]
	s_cbranch_vccnz .LBB21_215
; %bb.210:
	s_mov_b32 s50, 0
	s_andn2_b64 vcc, exec, s[46:47]
	v_mov_b32_e32 v2, 0
	v_mov_b32_e32 v0, 0
	s_cbranch_vccnz .LBB21_233
; %bb.211:
	s_add_i32 s60, s59, 1
	s_cmp_eq_u32 s56, 2
	s_cbranch_scc1 .LBB21_228
; %bb.212:
	s_and_b32 s50, s60, 28
	s_mov_b32 s51, 0
	v_mov_b32_e32 v0, 0
	s_mov_b64 s[52:53], s[4:5]
	s_mov_b64 s[54:55], s[44:45]
	v_mov_b32_e32 v3, v24
	v_mov_b32_e32 v2, 0
.LBB21_213:                             ; =>This Inner Loop Header: Depth=1
	s_load_dwordx8 s[16:23], s[52:53], 0x4
	s_load_dwordx4 s[36:39], s[52:53], 0x24
	s_load_dwordx8 s[8:15], s[54:55], 0x0
	s_add_u32 s52, s52, 48
	s_addc_u32 s53, s53, 0
	s_waitcnt lgkmcnt(0)
	v_mul_hi_u32 v1, s17, v3
	v_add_u32_e32 v1, v3, v1
	v_lshrrev_b32_e32 v1, s18, v1
	v_mul_lo_u32 v4, v1, s16
	v_mul_hi_u32 v5, s20, v1
	v_sub_u32_e32 v3, v3, v4
	v_add_u32_e32 v4, v1, v5
	v_lshrrev_b32_e32 v4, s21, v4
	v_mul_lo_u32 v6, v4, s19
	v_mul_hi_u32 v7, s23, v4
	v_sub_u32_e32 v1, v1, v6
	v_add_u32_e32 v6, v4, v7
	v_mul_lo_u32 v5, v3, s9
	v_mul_lo_u32 v3, v3, s8
	;; [unrolled: 1-line block ×4, first 2 shown]
	v_lshrrev_b32_e32 v6, s36, v6
	v_add3_u32 v0, v3, v0, v1
	v_mul_hi_u32 v3, s38, v6
	v_add_u32_e32 v3, v6, v3
	v_lshrrev_b32_e32 v3, s39, v3
	s_add_i32 s51, s51, 4
	v_add3_u32 v1, v5, v2, v7
	v_mul_lo_u32 v2, v6, s22
	v_mul_lo_u32 v5, v3, s37
	s_add_u32 s54, s54, 32
	v_sub_u32_e32 v2, v4, v2
	v_sub_u32_e32 v5, v6, v5
	s_addc_u32 s55, s55, 0
	v_mul_lo_u32 v4, v2, s12
	v_mul_lo_u32 v2, v2, s13
	;; [unrolled: 1-line block ×4, first 2 shown]
	s_cmp_eq_u32 s50, s51
	v_add3_u32 v2, v2, v1, v5
	v_add3_u32 v0, v4, v0, v6
	s_cbranch_scc0 .LBB21_213
; %bb.214:
	v_mov_b32_e32 v1, v2
	s_branch .LBB21_229
.LBB21_215:
                                        ; implicit-def: $vgpr2
                                        ; implicit-def: $vgpr0
	s_branch .LBB21_234
.LBB21_216:
	s_mov_b32 s51, s50
	v_pk_mov_b32 v[0:1], s[50:51], s[50:51] op_sel:[0,1]
                                        ; implicit-def: $vgpr2
	v_mov_b32_e32 v3, v24
.LBB21_217:
	s_and_b32 s12, s60, 3
	s_cmp_eq_u32 s12, 0
	s_cbranch_scc1 .LBB21_221
; %bb.218:
	s_lshl_b32 s8, s50, 3
	s_add_u32 s8, s8, s4
	s_addc_u32 s9, s5, 0
	s_add_u32 s8, s8, 0xc4
	s_addc_u32 s9, s9, 0
	s_mul_i32 s10, s50, 12
	s_add_u32 s10, s4, s10
	s_addc_u32 s11, s5, 0
.LBB21_219:                             ; =>This Inner Loop Header: Depth=1
	s_load_dwordx2 s[14:15], s[10:11], 0x4
	s_load_dword s13, s[10:11], 0xc
	s_load_dwordx2 s[16:17], s[8:9], 0x0
	v_mov_b32_e32 v2, v1
	s_add_u32 s10, s10, 12
	s_waitcnt lgkmcnt(0)
	v_mul_hi_u32 v1, s15, v3
	v_add_u32_e32 v1, v3, v1
	v_lshrrev_b32_e32 v1, s13, v1
	s_addc_u32 s11, s11, 0
	v_mul_lo_u32 v4, v1, s14
	s_add_u32 s8, s8, 8
	v_sub_u32_e32 v6, v3, v4
	v_mov_b32_e32 v3, v1
	s_addc_u32 s9, s9, 0
	s_add_i32 s12, s12, -1
	v_mad_u64_u32 v[4:5], s[14:15], v6, s17, v[2:3]
	v_mad_u64_u32 v[0:1], s[14:15], v6, s16, v[0:1]
	s_cmp_lg_u32 s12, 0
	v_mov_b32_e32 v1, v4
	s_cbranch_scc1 .LBB21_219
; %bb.220:
	v_mov_b32_e32 v2, v1
.LBB21_221:
	s_cbranch_execnz .LBB21_224
.LBB21_222:
	s_waitcnt lgkmcnt(0)
	v_mul_hi_u32 v0, s29, v24
	v_add_u32_e32 v0, v24, v0
	v_lshrrev_b32_e32 v1, s30, v0
	v_mul_lo_u32 v0, v1, s28
	v_sub_u32_e32 v0, v24, v0
	v_mul_lo_u32 v2, v0, s25
	s_andn2_b64 vcc, exec, s[42:43]
	v_mul_lo_u32 v0, v0, s24
	s_cbranch_vccnz .LBB21_224
; %bb.223:
	v_mul_hi_u32 v3, s40, v1
	v_add_u32_e32 v3, v1, v3
	v_lshrrev_b32_e32 v3, s41, v3
	v_mul_lo_u32 v3, v3, s31
	v_sub_u32_e32 v3, v1, v3
	v_mad_u64_u32 v[0:1], s[8:9], v3, s26, v[0:1]
	v_mad_u64_u32 v[2:3], s[8:9], v3, s27, v[2:3]
.LBB21_224:
	s_waitcnt lgkmcnt(0)
	global_load_ushort v1, v2, s[2:3]
	v_add_u32_e32 v24, 0x80, v24
	s_waitcnt vmcnt(0)
	v_cmp_nge_f16_e64 s[8:9], v1, -s57
	v_cmp_nge_f16_e32 vcc, s57, v1
	s_or_b64 vcc, s[8:9], vcc
	v_cndmask_b32_e32 v1, 0, v1, vcc
	global_store_short v0, v1, s[0:1]
	s_or_b64 exec, exec, s[48:49]
	v_cmp_gt_i32_e32 vcc, s58, v24
	s_and_saveexec_b64 s[48:49], vcc
	s_cbranch_execnz .LBB21_209
.LBB21_225:
	s_or_b64 exec, exec, s[48:49]
	v_cmp_gt_i32_e32 vcc, s58, v24
	s_and_saveexec_b64 s[48:49], vcc
	s_cbranch_execnz .LBB21_237
.LBB21_226:
	s_or_b64 exec, exec, s[48:49]
                                        ; implicit-def: $vgpr31
                                        ; implicit-def: $vgpr24
	s_waitcnt lgkmcnt(0)
	s_andn2_saveexec_b64 s[0:1], s[34:35]
	s_cbranch_execnz .LBB21_9
.LBB21_227:
	s_endpgm
.LBB21_228:
	s_mov_b32 s51, s50
	v_pk_mov_b32 v[0:1], s[50:51], s[50:51] op_sel:[0,1]
                                        ; implicit-def: $vgpr2
	v_mov_b32_e32 v3, v24
.LBB21_229:
	s_and_b32 s12, s60, 3
	s_cmp_eq_u32 s12, 0
	s_cbranch_scc1 .LBB21_233
; %bb.230:
	s_lshl_b32 s8, s50, 3
	s_add_u32 s8, s8, s4
	s_addc_u32 s9, s5, 0
	s_add_u32 s8, s8, 0xc4
	s_addc_u32 s9, s9, 0
	s_mul_i32 s10, s50, 12
	s_add_u32 s10, s4, s10
	s_addc_u32 s11, s5, 0
.LBB21_231:                             ; =>This Inner Loop Header: Depth=1
	s_load_dwordx2 s[14:15], s[10:11], 0x4
	s_load_dword s13, s[10:11], 0xc
	s_load_dwordx2 s[16:17], s[8:9], 0x0
	v_mov_b32_e32 v2, v1
	s_add_u32 s10, s10, 12
	s_waitcnt lgkmcnt(0)
	v_mul_hi_u32 v1, s15, v3
	v_add_u32_e32 v1, v3, v1
	v_lshrrev_b32_e32 v1, s13, v1
	s_addc_u32 s11, s11, 0
	v_mul_lo_u32 v4, v1, s14
	s_add_u32 s8, s8, 8
	v_sub_u32_e32 v6, v3, v4
	v_mov_b32_e32 v3, v1
	s_addc_u32 s9, s9, 0
	s_add_i32 s12, s12, -1
	v_mad_u64_u32 v[4:5], s[14:15], v6, s17, v[2:3]
	v_mad_u64_u32 v[0:1], s[14:15], v6, s16, v[0:1]
	s_cmp_lg_u32 s12, 0
	v_mov_b32_e32 v1, v4
	s_cbranch_scc1 .LBB21_231
; %bb.232:
	v_mov_b32_e32 v2, v1
.LBB21_233:
	s_cbranch_execnz .LBB21_236
.LBB21_234:
	s_waitcnt lgkmcnt(0)
	v_mul_hi_u32 v0, s29, v24
	v_add_u32_e32 v0, v24, v0
	v_lshrrev_b32_e32 v1, s30, v0
	v_mul_lo_u32 v0, v1, s28
	v_sub_u32_e32 v0, v24, v0
	v_mul_lo_u32 v2, v0, s25
	s_andn2_b64 vcc, exec, s[42:43]
	v_mul_lo_u32 v0, v0, s24
	s_cbranch_vccnz .LBB21_236
; %bb.235:
	v_mul_hi_u32 v3, s40, v1
	v_add_u32_e32 v3, v1, v3
	v_lshrrev_b32_e32 v3, s41, v3
	v_mul_lo_u32 v3, v3, s31
	v_sub_u32_e32 v3, v1, v3
	v_mad_u64_u32 v[0:1], s[8:9], v3, s26, v[0:1]
	v_mad_u64_u32 v[2:3], s[8:9], v3, s27, v[2:3]
.LBB21_236:
	s_waitcnt lgkmcnt(0)
	global_load_ushort v1, v2, s[2:3]
	v_add_u32_e32 v24, 0x80, v24
	s_waitcnt vmcnt(0)
	v_cmp_nge_f16_e64 s[8:9], v1, -s57
	v_cmp_nge_f16_e32 vcc, s57, v1
	s_or_b64 vcc, s[8:9], vcc
	v_cndmask_b32_e32 v1, 0, v1, vcc
	global_store_short v0, v1, s[0:1]
	s_or_b64 exec, exec, s[48:49]
	v_cmp_gt_i32_e32 vcc, s58, v24
	s_and_saveexec_b64 s[48:49], vcc
	s_cbranch_execz .LBB21_226
.LBB21_237:
	s_andn2_b64 vcc, exec, s[6:7]
	s_cbranch_vccnz .LBB21_243
; %bb.238:
	s_mov_b32 s50, 0
	s_andn2_b64 vcc, exec, s[46:47]
	v_mov_b32_e32 v2, 0
	v_mov_b32_e32 v0, 0
	s_cbranch_vccnz .LBB21_249
; %bb.239:
	s_add_i32 s59, s59, 1
	s_cmp_eq_u32 s56, 2
	s_cbranch_scc1 .LBB21_244
; %bb.240:
	s_and_b32 s50, s59, 28
	s_mov_b32 s51, 0
	v_mov_b32_e32 v0, 0
	s_mov_b64 s[46:47], s[4:5]
	v_mov_b32_e32 v3, v24
	v_mov_b32_e32 v2, 0
.LBB21_241:                             ; =>This Inner Loop Header: Depth=1
	s_load_dwordx8 s[16:23], s[46:47], 0x4
	s_load_dwordx4 s[36:39], s[46:47], 0x24
	s_load_dwordx8 s[8:15], s[44:45], 0x0
	s_add_u32 s46, s46, 48
	s_addc_u32 s47, s47, 0
	s_waitcnt lgkmcnt(0)
	v_mul_hi_u32 v1, s17, v3
	v_add_u32_e32 v1, v3, v1
	v_lshrrev_b32_e32 v1, s18, v1
	v_mul_lo_u32 v4, v1, s16
	v_mul_hi_u32 v5, s20, v1
	v_sub_u32_e32 v3, v3, v4
	v_add_u32_e32 v4, v1, v5
	v_lshrrev_b32_e32 v4, s21, v4
	v_mul_lo_u32 v6, v4, s19
	v_mul_hi_u32 v7, s23, v4
	v_sub_u32_e32 v1, v1, v6
	v_add_u32_e32 v6, v4, v7
	v_mul_lo_u32 v5, v3, s9
	v_mul_lo_u32 v3, v3, s8
	;; [unrolled: 1-line block ×4, first 2 shown]
	v_lshrrev_b32_e32 v6, s36, v6
	v_add3_u32 v0, v3, v0, v1
	v_mul_hi_u32 v3, s38, v6
	v_add_u32_e32 v3, v6, v3
	v_lshrrev_b32_e32 v3, s39, v3
	s_add_i32 s51, s51, 4
	v_add3_u32 v1, v5, v2, v7
	v_mul_lo_u32 v2, v6, s22
	v_mul_lo_u32 v5, v3, s37
	s_add_u32 s44, s44, 32
	v_sub_u32_e32 v2, v4, v2
	v_sub_u32_e32 v5, v6, v5
	s_addc_u32 s45, s45, 0
	v_mul_lo_u32 v4, v2, s12
	v_mul_lo_u32 v2, v2, s13
	;; [unrolled: 1-line block ×4, first 2 shown]
	s_cmp_eq_u32 s50, s51
	v_add3_u32 v2, v2, v1, v5
	v_add3_u32 v0, v4, v0, v6
	s_cbranch_scc0 .LBB21_241
; %bb.242:
	v_mov_b32_e32 v1, v2
	s_branch .LBB21_245
.LBB21_243:
                                        ; implicit-def: $vgpr2
                                        ; implicit-def: $vgpr0
	s_branch .LBB21_250
.LBB21_244:
	s_mov_b32 s51, s50
	v_pk_mov_b32 v[0:1], s[50:51], s[50:51] op_sel:[0,1]
                                        ; implicit-def: $vgpr2
	v_mov_b32_e32 v3, v24
.LBB21_245:
	s_and_b32 s12, s59, 3
	s_cmp_eq_u32 s12, 0
	s_cbranch_scc1 .LBB21_249
; %bb.246:
	s_lshl_b32 s8, s50, 3
	s_add_u32 s8, s8, s4
	s_addc_u32 s9, s5, 0
	s_add_u32 s8, s8, 0xc4
	s_addc_u32 s9, s9, 0
	s_mul_i32 s10, s50, 12
	s_add_u32 s10, s4, s10
	s_addc_u32 s11, s5, 0
.LBB21_247:                             ; =>This Inner Loop Header: Depth=1
	s_load_dwordx2 s[14:15], s[10:11], 0x4
	s_load_dword s13, s[10:11], 0xc
	s_load_dwordx2 s[16:17], s[8:9], 0x0
	v_mov_b32_e32 v2, v1
	s_add_u32 s10, s10, 12
	s_waitcnt lgkmcnt(0)
	v_mul_hi_u32 v1, s15, v3
	v_add_u32_e32 v1, v3, v1
	v_lshrrev_b32_e32 v1, s13, v1
	s_addc_u32 s11, s11, 0
	v_mul_lo_u32 v4, v1, s14
	s_add_u32 s8, s8, 8
	v_sub_u32_e32 v6, v3, v4
	v_mov_b32_e32 v3, v1
	s_addc_u32 s9, s9, 0
	s_add_i32 s12, s12, -1
	v_mad_u64_u32 v[4:5], s[14:15], v6, s17, v[2:3]
	v_mad_u64_u32 v[0:1], s[14:15], v6, s16, v[0:1]
	s_cmp_lg_u32 s12, 0
	v_mov_b32_e32 v1, v4
	s_cbranch_scc1 .LBB21_247
; %bb.248:
	v_mov_b32_e32 v2, v1
.LBB21_249:
	s_cbranch_execnz .LBB21_252
.LBB21_250:
	s_waitcnt lgkmcnt(0)
	v_mul_hi_u32 v0, s29, v24
	v_add_u32_e32 v0, v24, v0
	v_lshrrev_b32_e32 v1, s30, v0
	v_mul_lo_u32 v0, v1, s28
	v_sub_u32_e32 v0, v24, v0
	v_mul_lo_u32 v2, v0, s25
	s_andn2_b64 vcc, exec, s[42:43]
	v_mul_lo_u32 v0, v0, s24
	s_cbranch_vccnz .LBB21_252
; %bb.251:
	v_mul_hi_u32 v3, s40, v1
	v_add_u32_e32 v3, v1, v3
	v_lshrrev_b32_e32 v3, s41, v3
	v_mul_lo_u32 v3, v3, s31
	v_sub_u32_e32 v3, v1, v3
	v_mad_u64_u32 v[0:1], s[8:9], v3, s26, v[0:1]
	v_mad_u64_u32 v[2:3], s[8:9], v3, s27, v[2:3]
.LBB21_252:
	s_waitcnt lgkmcnt(0)
	global_load_ushort v1, v2, s[2:3]
	s_waitcnt vmcnt(0)
	v_cmp_nge_f16_e64 s[2:3], v1, -s57
	v_cmp_nge_f16_e32 vcc, s57, v1
	s_or_b64 vcc, s[2:3], vcc
	v_cndmask_b32_e32 v1, 0, v1, vcc
	global_store_short v0, v1, s[0:1]
	s_or_b64 exec, exec, s[48:49]
                                        ; implicit-def: $vgpr31
                                        ; implicit-def: $vgpr24
	s_andn2_saveexec_b64 s[0:1], s[34:35]
	s_cbranch_execz .LBB21_227
	s_branch .LBB21_9
	.section	.rodata,"a",@progbits
	.p2align	6, 0x0
	.amdhsa_kernel _ZN2at6native32elementwise_kernel_manual_unrollILi128ELi8EZNS0_22gpu_kernel_impl_nocastIZZZNS0_12_GLOBAL__N_117hardshrink_kernelERNS_18TensorIteratorBaseERKN3c106ScalarEENKUlvE_clEvENKUlvE1_clEvEUlNS6_4HalfEE_EEvS5_RKT_EUlibE_EEviT1_
		.amdhsa_group_segment_fixed_size 0
		.amdhsa_private_segment_fixed_size 0
		.amdhsa_kernarg_size 360
		.amdhsa_user_sgpr_count 6
		.amdhsa_user_sgpr_private_segment_buffer 1
		.amdhsa_user_sgpr_dispatch_ptr 0
		.amdhsa_user_sgpr_queue_ptr 0
		.amdhsa_user_sgpr_kernarg_segment_ptr 1
		.amdhsa_user_sgpr_dispatch_id 0
		.amdhsa_user_sgpr_flat_scratch_init 0
		.amdhsa_user_sgpr_kernarg_preload_length 0
		.amdhsa_user_sgpr_kernarg_preload_offset 0
		.amdhsa_user_sgpr_private_segment_size 0
		.amdhsa_uses_dynamic_stack 0
		.amdhsa_system_sgpr_private_segment_wavefront_offset 0
		.amdhsa_system_sgpr_workgroup_id_x 1
		.amdhsa_system_sgpr_workgroup_id_y 0
		.amdhsa_system_sgpr_workgroup_id_z 0
		.amdhsa_system_sgpr_workgroup_info 0
		.amdhsa_system_vgpr_workitem_id 0
		.amdhsa_next_free_vgpr 34
		.amdhsa_next_free_sgpr 61
		.amdhsa_accum_offset 36
		.amdhsa_reserve_vcc 1
		.amdhsa_reserve_flat_scratch 0
		.amdhsa_float_round_mode_32 0
		.amdhsa_float_round_mode_16_64 0
		.amdhsa_float_denorm_mode_32 3
		.amdhsa_float_denorm_mode_16_64 3
		.amdhsa_dx10_clamp 1
		.amdhsa_ieee_mode 1
		.amdhsa_fp16_overflow 0
		.amdhsa_tg_split 0
		.amdhsa_exception_fp_ieee_invalid_op 0
		.amdhsa_exception_fp_denorm_src 0
		.amdhsa_exception_fp_ieee_div_zero 0
		.amdhsa_exception_fp_ieee_overflow 0
		.amdhsa_exception_fp_ieee_underflow 0
		.amdhsa_exception_fp_ieee_inexact 0
		.amdhsa_exception_int_div_zero 0
	.end_amdhsa_kernel
	.section	.text._ZN2at6native32elementwise_kernel_manual_unrollILi128ELi8EZNS0_22gpu_kernel_impl_nocastIZZZNS0_12_GLOBAL__N_117hardshrink_kernelERNS_18TensorIteratorBaseERKN3c106ScalarEENKUlvE_clEvENKUlvE1_clEvEUlNS6_4HalfEE_EEvS5_RKT_EUlibE_EEviT1_,"axG",@progbits,_ZN2at6native32elementwise_kernel_manual_unrollILi128ELi8EZNS0_22gpu_kernel_impl_nocastIZZZNS0_12_GLOBAL__N_117hardshrink_kernelERNS_18TensorIteratorBaseERKN3c106ScalarEENKUlvE_clEvENKUlvE1_clEvEUlNS6_4HalfEE_EEvS5_RKT_EUlibE_EEviT1_,comdat
.Lfunc_end21:
	.size	_ZN2at6native32elementwise_kernel_manual_unrollILi128ELi8EZNS0_22gpu_kernel_impl_nocastIZZZNS0_12_GLOBAL__N_117hardshrink_kernelERNS_18TensorIteratorBaseERKN3c106ScalarEENKUlvE_clEvENKUlvE1_clEvEUlNS6_4HalfEE_EEvS5_RKT_EUlibE_EEviT1_, .Lfunc_end21-_ZN2at6native32elementwise_kernel_manual_unrollILi128ELi8EZNS0_22gpu_kernel_impl_nocastIZZZNS0_12_GLOBAL__N_117hardshrink_kernelERNS_18TensorIteratorBaseERKN3c106ScalarEENKUlvE_clEvENKUlvE1_clEvEUlNS6_4HalfEE_EEvS5_RKT_EUlibE_EEviT1_
                                        ; -- End function
	.section	.AMDGPU.csdata,"",@progbits
; Kernel info:
; codeLenInByte = 11820
; NumSgprs: 65
; NumVgprs: 34
; NumAgprs: 0
; TotalNumVgprs: 34
; ScratchSize: 0
; MemoryBound: 0
; FloatMode: 240
; IeeeMode: 1
; LDSByteSize: 0 bytes/workgroup (compile time only)
; SGPRBlocks: 8
; VGPRBlocks: 4
; NumSGPRsForWavesPerEU: 65
; NumVGPRsForWavesPerEU: 34
; AccumOffset: 36
; Occupancy: 8
; WaveLimiterHint : 1
; COMPUTE_PGM_RSRC2:SCRATCH_EN: 0
; COMPUTE_PGM_RSRC2:USER_SGPR: 6
; COMPUTE_PGM_RSRC2:TRAP_HANDLER: 0
; COMPUTE_PGM_RSRC2:TGID_X_EN: 1
; COMPUTE_PGM_RSRC2:TGID_Y_EN: 0
; COMPUTE_PGM_RSRC2:TGID_Z_EN: 0
; COMPUTE_PGM_RSRC2:TIDIG_COMP_CNT: 0
; COMPUTE_PGM_RSRC3_GFX90A:ACCUM_OFFSET: 8
; COMPUTE_PGM_RSRC3_GFX90A:TG_SPLIT: 0
	.section	.text._ZN2at6native32elementwise_kernel_manual_unrollILi128ELi4EZNS0_15gpu_kernel_implIZZZNS0_12_GLOBAL__N_117hardshrink_kernelERNS_18TensorIteratorBaseERKN3c106ScalarEENKUlvE_clEvENKUlvE1_clEvEUlNS6_4HalfEE_EEvS5_RKT_EUlibE_EEviT1_,"axG",@progbits,_ZN2at6native32elementwise_kernel_manual_unrollILi128ELi4EZNS0_15gpu_kernel_implIZZZNS0_12_GLOBAL__N_117hardshrink_kernelERNS_18TensorIteratorBaseERKN3c106ScalarEENKUlvE_clEvENKUlvE1_clEvEUlNS6_4HalfEE_EEvS5_RKT_EUlibE_EEviT1_,comdat
	.globl	_ZN2at6native32elementwise_kernel_manual_unrollILi128ELi4EZNS0_15gpu_kernel_implIZZZNS0_12_GLOBAL__N_117hardshrink_kernelERNS_18TensorIteratorBaseERKN3c106ScalarEENKUlvE_clEvENKUlvE1_clEvEUlNS6_4HalfEE_EEvS5_RKT_EUlibE_EEviT1_ ; -- Begin function _ZN2at6native32elementwise_kernel_manual_unrollILi128ELi4EZNS0_15gpu_kernel_implIZZZNS0_12_GLOBAL__N_117hardshrink_kernelERNS_18TensorIteratorBaseERKN3c106ScalarEENKUlvE_clEvENKUlvE1_clEvEUlNS6_4HalfEE_EEvS5_RKT_EUlibE_EEviT1_
	.p2align	8
	.type	_ZN2at6native32elementwise_kernel_manual_unrollILi128ELi4EZNS0_15gpu_kernel_implIZZZNS0_12_GLOBAL__N_117hardshrink_kernelERNS_18TensorIteratorBaseERKN3c106ScalarEENKUlvE_clEvENKUlvE1_clEvEUlNS6_4HalfEE_EEvS5_RKT_EUlibE_EEviT1_,@function
_ZN2at6native32elementwise_kernel_manual_unrollILi128ELi4EZNS0_15gpu_kernel_implIZZZNS0_12_GLOBAL__N_117hardshrink_kernelERNS_18TensorIteratorBaseERKN3c106ScalarEENKUlvE_clEvENKUlvE1_clEvEUlNS6_4HalfEE_EEvS5_RKT_EUlibE_EEviT1_: ; @_ZN2at6native32elementwise_kernel_manual_unrollILi128ELi4EZNS0_15gpu_kernel_implIZZZNS0_12_GLOBAL__N_117hardshrink_kernelERNS_18TensorIteratorBaseERKN3c106ScalarEENKUlvE_clEvENKUlvE1_clEvEUlNS6_4HalfEE_EEvS5_RKT_EUlibE_EEviT1_
; %bb.0:
	s_load_dword s42, s[4:5], 0x20
	s_load_dwordx2 s[2:3], s[4:5], 0x18
	s_load_dword s38, s[4:5], 0x0
	s_load_dwordx4 s[8:11], s[4:5], 0x8
	v_lshl_or_b32 v2, s6, 9, v0
	v_or_b32_e32 v0, 0x180, v2
	s_waitcnt lgkmcnt(0)
	s_lshr_b32 s33, s42, 16
	s_lshr_b32 s43, s42, 24
	v_cmp_le_i32_e32 vcc, s38, v0
	s_mov_b64 s[4:5], 0
	s_mov_b64 s[12:13], 0
	s_and_saveexec_b64 s[0:1], vcc
	s_xor_b64 s[6:7], exec, s[0:1]
	s_cbranch_execz .LBB22_1027
; %bb.1:
	v_cmp_gt_i32_e32 vcc, s38, v2
	s_mov_b64 s[18:19], -1
	s_mov_b64 s[20:21], 0
	s_mov_b64 s[14:15], 0
	s_and_saveexec_b64 s[16:17], vcc
	s_cbranch_execz .LBB22_252
; %bb.2:
	v_mul_lo_u32 v0, v2, s3
	v_ashrrev_i32_e32 v1, 31, v0
	v_mov_b32_e32 v3, s11
	v_add_co_u32_e32 v0, vcc, s10, v0
	v_addc_co_u32_e32 v1, vcc, v3, v1, vcc
	v_cmp_lt_i16_e64 s[0:1], s43, 11
	s_and_b64 vcc, exec, s[0:1]
	s_cbranch_vccnz .LBB22_9
; %bb.3:
	v_cmp_gt_i16_e64 s[0:1], s43, 25
	s_and_b64 vcc, exec, s[0:1]
	s_cbranch_vccz .LBB22_18
; %bb.4:
	v_cmp_gt_i16_e64 s[0:1], s43, 28
	s_and_b64 vcc, exec, s[0:1]
	s_cbranch_vccz .LBB22_22
	;; [unrolled: 4-line block ×4, first 2 shown]
; %bb.7:
	v_cmp_eq_u16_e64 s[0:1], s43, 46
	s_and_b64 vcc, exec, s[0:1]
	s_cbranch_vccz .LBB22_28
; %bb.8:
	global_load_dword v3, v[0:1], off
	s_mov_b64 s[0:1], -1
	s_waitcnt vmcnt(0)
	v_lshlrev_b32_e32 v3, 16, v3
	v_cvt_f16_f32_e32 v3, v3
	s_branch .LBB22_30
.LBB22_9:
                                        ; implicit-def: $vgpr3
	s_mov_b64 s[0:1], 0
	s_cbranch_execnz .LBB22_203
.LBB22_10:
	s_andn2_b64 vcc, exec, s[0:1]
	s_cbranch_vccnz .LBB22_250
.LBB22_11:
	s_waitcnt vmcnt(0)
	v_cmp_nge_f16_e64 s[0:1], v3, -s42
	v_cmp_nge_f16_e32 vcc, s42, v3
	s_or_b64 vcc, s[0:1], vcc
	v_mul_lo_u32 v0, v2, s2
	v_cndmask_b32_e32 v3, 0, v3, vcc
	v_ashrrev_i32_e32 v1, 31, v0
	v_mov_b32_e32 v4, s9
	v_add_co_u32_e32 v0, vcc, s8, v0
	v_addc_co_u32_e32 v1, vcc, v4, v1, vcc
	v_mov_b32_e32 v4, 11
	v_cmp_lt_i16_sdwa s[0:1], s33, v4 src0_sel:BYTE_0 src1_sel:DWORD
	s_and_b64 vcc, exec, s[0:1]
	s_cbranch_vccnz .LBB22_19
; %bb.12:
	v_mov_b32_e32 v4, 25
	v_cmp_gt_i16_sdwa s[0:1], s33, v4 src0_sel:BYTE_0 src1_sel:DWORD
	s_and_b64 vcc, exec, s[0:1]
	s_cbranch_vccz .LBB22_23
; %bb.13:
	v_mov_b32_e32 v4, 28
	v_cmp_gt_i16_sdwa s[0:1], s33, v4 src0_sel:BYTE_0 src1_sel:DWORD
	s_and_b64 vcc, exec, s[0:1]
	s_cbranch_vccz .LBB22_25
	;; [unrolled: 5-line block ×4, first 2 shown]
; %bb.16:
	v_mov_b32_e32 v4, 46
	v_cmp_eq_u16_sdwa s[12:13], s33, v4 src0_sel:BYTE_0 src1_sel:DWORD
	s_mov_b64 s[18:19], 0
	s_mov_b64 s[0:1], -1
	s_and_b64 vcc, exec, s[12:13]
	s_mov_b64 s[12:13], 0
	s_cbranch_vccz .LBB22_34
; %bb.17:
	v_cvt_f32_f16_e32 v4, v3
	s_movk_i32 s0, 0x7fff
	v_mov_b32_e32 v5, 0x7fc0
	v_cmp_o_f16_e32 vcc, v3, v3
	v_bfe_u32 v6, v4, 16, 1
	v_add3_u32 v4, v4, v6, s0
	v_lshrrev_b32_e32 v4, 16, v4
	v_cndmask_b32_e32 v4, v5, v4, vcc
	global_store_dword v[0:1], v4, off
	s_mov_b64 s[12:13], -1
	s_mov_b64 s[0:1], 0
	s_branch .LBB22_34
.LBB22_18:
	s_mov_b64 s[0:1], 0
                                        ; implicit-def: $vgpr3
	s_cbranch_execnz .LBB22_168
	s_branch .LBB22_202
.LBB22_19:
	s_mov_b64 s[0:1], 0
	s_mov_b64 s[12:13], 0
	s_cbranch_execnz .LBB22_103
.LBB22_20:
	s_andn2_b64 vcc, exec, s[12:13]
	s_cbranch_vccnz .LBB22_141
.LBB22_21:
	v_add_u32_e32 v2, 0x80, v2
	s_mov_b64 s[18:19], -1
	s_branch .LBB22_251
.LBB22_22:
	s_mov_b64 s[12:13], -1
	s_mov_b64 s[0:1], 0
                                        ; implicit-def: $vgpr3
	s_branch .LBB22_149
.LBB22_23:
	s_mov_b64 s[18:19], -1
	s_mov_b64 s[0:1], 0
	s_mov_b64 s[12:13], 0
	s_branch .LBB22_61
.LBB22_24:
	s_mov_b64 s[12:13], -1
	s_mov_b64 s[0:1], 0
                                        ; implicit-def: $vgpr3
	s_branch .LBB22_144
.LBB22_25:
	s_mov_b64 s[18:19], -1
	s_mov_b64 s[0:1], 0
	s_mov_b64 s[12:13], 0
	s_branch .LBB22_44
.LBB22_26:
	s_mov_b64 s[12:13], -1
	s_branch .LBB22_29
.LBB22_27:
	s_mov_b64 s[18:19], -1
	s_mov_b64 s[0:1], 0
	s_mov_b64 s[12:13], 0
	s_branch .LBB22_40
.LBB22_28:
	s_mov_b64 s[14:15], -1
.LBB22_29:
	s_mov_b64 s[0:1], 0
                                        ; implicit-def: $vgpr3
.LBB22_30:
	s_and_b64 vcc, exec, s[12:13]
	s_cbranch_vccz .LBB22_143
; %bb.31:
	v_cmp_eq_u16_e64 s[12:13], s43, 44
	s_and_b64 vcc, exec, s[12:13]
	s_cbranch_vccz .LBB22_142
; %bb.32:
	global_load_ubyte v3, v[0:1], off
	s_movk_i32 s12, 0xff
	v_mov_b32_e32 v5, 0x7e00
	s_mov_b64 s[0:1], -1
	s_mov_b64 s[14:15], 0
	s_waitcnt vmcnt(0)
	v_lshlrev_b32_e32 v4, 23, v3
	v_cvt_f16_f32_e32 v4, v4
	v_cmp_ne_u32_e32 vcc, s12, v3
	v_cndmask_b32_e32 v4, v5, v4, vcc
	v_cmp_ne_u32_e32 vcc, 0, v3
	v_cndmask_b32_e32 v3, 0, v4, vcc
	s_branch .LBB22_143
.LBB22_33:
	s_mov_b64 s[18:19], -1
	s_mov_b64 s[0:1], 0
	s_mov_b64 s[12:13], 0
.LBB22_34:
	s_and_b64 vcc, exec, s[18:19]
	s_cbranch_vccz .LBB22_39
; %bb.35:
	v_mov_b32_e32 v4, 44
	v_cmp_eq_u16_sdwa s[18:19], s33, v4 src0_sel:BYTE_0 src1_sel:DWORD
	s_mov_b64 s[0:1], -1
	s_and_b64 vcc, exec, s[18:19]
	s_cbranch_vccz .LBB22_39
; %bb.36:
	v_cvt_f32_f16_e32 v4, v3
	s_movk_i32 s0, 0xff
	v_mov_b32_e32 v6, 0xff
	v_bfe_u32 v5, v4, 23, 8
	v_cmp_ne_u32_e32 vcc, s0, v5
	s_and_saveexec_b64 s[12:13], vcc
; %bb.37:
	s_mov_b32 s0, 0x3fffff
	v_lshrrev_b32_e32 v6, 23, v4
	v_and_b32_e32 v7, 0x400000, v4
	v_and_or_b32 v4, v4, s0, v5
	v_cmp_ne_u32_e32 vcc, 0, v7
	v_cmp_ne_u32_e64 s[0:1], 0, v4
	s_and_b64 s[0:1], vcc, s[0:1]
	v_cndmask_b32_e64 v4, 0, 1, s[0:1]
	v_add_u32_e32 v6, v6, v4
; %bb.38:
	s_or_b64 exec, exec, s[12:13]
	s_mov_b64 s[12:13], -1
	s_mov_b64 s[0:1], 0
	global_store_byte v[0:1], v6, off
.LBB22_39:
	s_mov_b64 s[18:19], 0
.LBB22_40:
	s_and_b64 vcc, exec, s[18:19]
	s_cbranch_vccz .LBB22_43
; %bb.41:
	v_mov_b32_e32 v4, 29
	v_cmp_eq_u16_sdwa s[18:19], s33, v4 src0_sel:BYTE_0 src1_sel:DWORD
	s_mov_b64 s[0:1], -1
	s_and_b64 vcc, exec, s[18:19]
	s_cbranch_vccz .LBB22_43
; %bb.42:
	v_cvt_f32_f16_e32 v4, v3
	v_mov_b32_e32 v5, 0
	s_mov_b64 s[12:13], -1
	s_mov_b64 s[0:1], 0
	v_cvt_u32_f32_e32 v4, v4
	s_mov_b64 s[18:19], 0
	global_store_dwordx2 v[0:1], v[4:5], off
	s_branch .LBB22_44
.LBB22_43:
	s_mov_b64 s[18:19], 0
.LBB22_44:
	s_and_b64 vcc, exec, s[18:19]
	s_cbranch_vccz .LBB22_60
; %bb.45:
	v_mov_b32_e32 v4, 27
	v_cmp_lt_i16_sdwa s[18:19], s33, v4 src0_sel:BYTE_0 src1_sel:DWORD
	s_mov_b64 s[12:13], -1
	s_and_b64 vcc, exec, s[18:19]
	s_cbranch_vccnz .LBB22_51
; %bb.46:
	v_cmp_gt_i16_sdwa s[18:19], s33, v4 src0_sel:BYTE_0 src1_sel:DWORD
	s_and_b64 vcc, exec, s[18:19]
	s_cbranch_vccz .LBB22_48
; %bb.47:
	v_cvt_f32_f16_e32 v4, v3
	s_mov_b64 s[12:13], 0
	v_cvt_u32_f32_e32 v4, v4
	global_store_dword v[0:1], v4, off
.LBB22_48:
	s_andn2_b64 vcc, exec, s[12:13]
	s_cbranch_vccnz .LBB22_50
; %bb.49:
	v_cvt_u16_f16_e32 v4, v3
	global_store_short v[0:1], v4, off
.LBB22_50:
	s_mov_b64 s[12:13], 0
.LBB22_51:
	s_andn2_b64 vcc, exec, s[12:13]
	s_cbranch_vccnz .LBB22_59
; %bb.52:
	v_cvt_f32_f16_e32 v4, v3
	s_mov_b32 s12, 0x43800000
	v_mov_b32_e32 v6, 0x80
	v_and_b32_e32 v5, 0x7fffffff, v4
	v_cmp_gt_u32_e32 vcc, s12, v5
	s_and_saveexec_b64 s[12:13], vcc
	s_cbranch_execz .LBB22_58
; %bb.53:
	s_mov_b32 s18, 0x3bffffff
	v_cmp_lt_u32_e32 vcc, s18, v5
	s_mov_b64 s[18:19], 0
                                        ; implicit-def: $vgpr5
	s_and_saveexec_b64 s[22:23], vcc
	s_xor_b64 s[22:23], exec, s[22:23]
	s_cbranch_execz .LBB22_279
; %bb.54:
	v_bfe_u32 v5, v4, 20, 1
	s_mov_b32 s24, 0x487ffff
	v_add3_u32 v5, v4, v5, s24
	s_mov_b64 s[18:19], exec
	v_lshrrev_b32_e32 v5, 20, v5
	s_or_saveexec_b64 s[22:23], s[22:23]
                                        ; implicit-def: $sgpr24
	s_xor_b64 exec, exec, s[22:23]
	s_cbranch_execnz .LBB22_280
.LBB22_55:
	s_or_b64 exec, exec, s[22:23]
	v_mov_b32_e32 v6, s24
	s_and_saveexec_b64 s[22:23], s[18:19]
.LBB22_56:
	v_lshrrev_b32_e32 v4, 24, v4
	s_movk_i32 s18, 0x80
	v_and_or_b32 v6, v4, s18, v5
.LBB22_57:
	s_or_b64 exec, exec, s[22:23]
.LBB22_58:
	s_or_b64 exec, exec, s[12:13]
	global_store_byte v[0:1], v6, off
.LBB22_59:
	s_mov_b64 s[12:13], -1
.LBB22_60:
	s_mov_b64 s[18:19], 0
.LBB22_61:
	s_and_b64 vcc, exec, s[18:19]
	s_cbranch_vccz .LBB22_102
; %bb.62:
	v_mov_b32_e32 v4, 22
	v_cmp_gt_i16_sdwa s[22:23], s33, v4 src0_sel:BYTE_0 src1_sel:DWORD
	s_mov_b64 s[18:19], -1
	s_and_b64 vcc, exec, s[22:23]
	s_cbranch_vccz .LBB22_94
; %bb.63:
	v_mov_b32_e32 v4, 24
	v_cmp_lt_i16_sdwa s[18:19], s33, v4 src0_sel:BYTE_0 src1_sel:DWORD
	s_mov_b64 s[12:13], -1
	s_and_b64 vcc, exec, s[18:19]
	s_cbranch_vccnz .LBB22_83
; %bb.64:
	v_cmp_gt_i16_sdwa s[18:19], s33, v4 src0_sel:BYTE_0 src1_sel:DWORD
	s_and_b64 vcc, exec, s[18:19]
	s_cbranch_vccz .LBB22_72
; %bb.65:
	v_cvt_f32_f16_e32 v4, v3
	s_mov_b32 s12, 0x47800000
	v_mov_b32_e32 v6, 0x80
	v_and_b32_e32 v5, 0x7fffffff, v4
	v_cmp_gt_u32_e32 vcc, s12, v5
	s_and_saveexec_b64 s[12:13], vcc
	s_cbranch_execz .LBB22_71
; %bb.66:
	s_mov_b32 s18, 0x37ffffff
	v_cmp_lt_u32_e32 vcc, s18, v5
	s_mov_b64 s[18:19], 0
                                        ; implicit-def: $vgpr5
	s_and_saveexec_b64 s[22:23], vcc
	s_xor_b64 s[22:23], exec, s[22:23]
	s_cbranch_execz .LBB22_283
; %bb.67:
	v_bfe_u32 v5, v4, 21, 1
	s_mov_b32 s24, 0x88fffff
	v_add3_u32 v5, v4, v5, s24
	s_mov_b64 s[18:19], exec
	v_lshrrev_b32_e32 v5, 21, v5
	s_or_saveexec_b64 s[22:23], s[22:23]
                                        ; implicit-def: $sgpr24
	s_xor_b64 exec, exec, s[22:23]
	s_cbranch_execnz .LBB22_284
.LBB22_68:
	s_or_b64 exec, exec, s[22:23]
	v_mov_b32_e32 v6, s24
	s_and_saveexec_b64 s[22:23], s[18:19]
.LBB22_69:
	v_lshrrev_b32_e32 v4, 24, v4
	s_movk_i32 s18, 0x80
	v_and_or_b32 v6, v4, s18, v5
.LBB22_70:
	s_or_b64 exec, exec, s[22:23]
.LBB22_71:
	s_or_b64 exec, exec, s[12:13]
	s_mov_b64 s[12:13], 0
	global_store_byte v[0:1], v6, off
.LBB22_72:
	s_and_b64 vcc, exec, s[12:13]
	s_cbranch_vccz .LBB22_82
; %bb.73:
	v_cvt_f32_f16_e32 v4, v3
	s_mov_b32 s12, 0x43f00000
                                        ; implicit-def: $vgpr5
	v_and_b32_e32 v6, 0x7fffffff, v4
	v_cmp_gt_u32_e32 vcc, s12, v6
	s_and_saveexec_b64 s[12:13], vcc
	s_xor_b64 s[12:13], exec, s[12:13]
	s_cbranch_execz .LBB22_79
; %bb.74:
	s_mov_b32 s18, 0x3c7fffff
	v_cmp_lt_u32_e32 vcc, s18, v6
                                        ; implicit-def: $vgpr5
	s_and_saveexec_b64 s[18:19], vcc
	s_xor_b64 s[18:19], exec, s[18:19]
; %bb.75:
	v_bfe_u32 v5, v4, 20, 1
	s_mov_b32 s22, 0x407ffff
	v_add3_u32 v5, v4, v5, s22
	v_lshrrev_b32_e32 v6, 20, v5
	v_and_b32_e32 v5, 0xff00000, v5
	s_mov_b32 s22, 0x7f00000
	v_mov_b32_e32 v7, 0x7e
	v_cmp_ne_u32_e32 vcc, s22, v5
	v_cndmask_b32_e32 v5, v7, v6, vcc
; %bb.76:
	s_andn2_saveexec_b64 s[18:19], s[18:19]
; %bb.77:
	s_mov_b32 s22, 0x46800000
	v_add_f32_e64 v5, |v4|, s22
; %bb.78:
	s_or_b64 exec, exec, s[18:19]
                                        ; implicit-def: $vgpr6
.LBB22_79:
	s_andn2_saveexec_b64 s[12:13], s[12:13]
; %bb.80:
	s_mov_b32 s18, 0x7f800000
	v_mov_b32_e32 v5, 0x7e
	v_mov_b32_e32 v7, 0x7f
	v_cmp_lt_u32_e32 vcc, s18, v6
	v_cndmask_b32_e32 v5, v5, v7, vcc
; %bb.81:
	s_or_b64 exec, exec, s[12:13]
	v_lshrrev_b32_e32 v4, 24, v4
	s_movk_i32 s12, 0x80
	v_and_or_b32 v4, v4, s12, v5
	global_store_byte v[0:1], v4, off
.LBB22_82:
	s_mov_b64 s[12:13], 0
.LBB22_83:
	s_andn2_b64 vcc, exec, s[12:13]
	s_cbranch_vccnz .LBB22_93
; %bb.84:
	v_cvt_f32_f16_e32 v4, v3
	s_mov_b32 s12, 0x47800000
                                        ; implicit-def: $vgpr5
	v_and_b32_e32 v6, 0x7fffffff, v4
	v_cmp_gt_u32_e32 vcc, s12, v6
	s_and_saveexec_b64 s[12:13], vcc
	s_xor_b64 s[12:13], exec, s[12:13]
	s_cbranch_execz .LBB22_90
; %bb.85:
	s_mov_b32 s18, 0x387fffff
	v_cmp_lt_u32_e32 vcc, s18, v6
                                        ; implicit-def: $vgpr5
	s_and_saveexec_b64 s[18:19], vcc
	s_xor_b64 s[18:19], exec, s[18:19]
; %bb.86:
	v_bfe_u32 v5, v4, 21, 1
	s_mov_b32 s22, 0x80fffff
	v_add3_u32 v5, v4, v5, s22
	v_lshrrev_b32_e32 v5, 21, v5
; %bb.87:
	s_andn2_saveexec_b64 s[18:19], s[18:19]
; %bb.88:
	s_mov_b32 s22, 0x43000000
	v_add_f32_e64 v5, |v4|, s22
; %bb.89:
	s_or_b64 exec, exec, s[18:19]
                                        ; implicit-def: $vgpr6
.LBB22_90:
	s_andn2_saveexec_b64 s[12:13], s[12:13]
; %bb.91:
	s_mov_b32 s18, 0x7f800000
	v_mov_b32_e32 v5, 0x7c
	v_mov_b32_e32 v7, 0x7f
	v_cmp_lt_u32_e32 vcc, s18, v6
	v_cndmask_b32_e32 v5, v5, v7, vcc
; %bb.92:
	s_or_b64 exec, exec, s[12:13]
	v_lshrrev_b32_e32 v4, 24, v4
	s_movk_i32 s12, 0x80
	v_and_or_b32 v4, v4, s12, v5
	global_store_byte v[0:1], v4, off
.LBB22_93:
	s_mov_b64 s[18:19], 0
	s_mov_b64 s[12:13], -1
.LBB22_94:
	s_andn2_b64 vcc, exec, s[18:19]
	s_cbranch_vccnz .LBB22_102
; %bb.95:
	v_mov_b32_e32 v4, 14
	v_cmp_gt_i16_sdwa s[22:23], s33, v4 src0_sel:BYTE_0 src1_sel:DWORD
	s_mov_b64 s[18:19], -1
	s_and_b64 vcc, exec, s[22:23]
	s_cbranch_vccz .LBB22_99
; %bb.96:
	v_mov_b32_e32 v4, 15
	v_cmp_eq_u16_sdwa s[18:19], s33, v4 src0_sel:BYTE_0 src1_sel:DWORD
	s_mov_b64 s[0:1], -1
	s_and_b64 vcc, exec, s[18:19]
	s_cbranch_vccz .LBB22_98
; %bb.97:
	v_cvt_f32_f16_e32 v4, v3
	s_movk_i32 s0, 0x7fff
	v_mov_b32_e32 v5, 0x7fc0
	v_cmp_o_f16_e32 vcc, v3, v3
	v_bfe_u32 v6, v4, 16, 1
	v_add3_u32 v4, v4, v6, s0
	v_lshrrev_b32_e32 v4, 16, v4
	v_cndmask_b32_e32 v4, v5, v4, vcc
	global_store_short v[0:1], v4, off
	s_mov_b64 s[12:13], -1
	s_mov_b64 s[0:1], 0
.LBB22_98:
	s_mov_b64 s[18:19], 0
.LBB22_99:
	s_and_b64 vcc, exec, s[18:19]
	s_cbranch_vccz .LBB22_102
; %bb.100:
	v_mov_b32_e32 v4, 11
	v_cmp_eq_u16_sdwa s[18:19], s33, v4 src0_sel:BYTE_0 src1_sel:DWORD
	s_mov_b64 s[0:1], -1
	s_and_b64 vcc, exec, s[18:19]
	s_cbranch_vccz .LBB22_102
; %bb.101:
	v_and_b32_e32 v4, 0x7fff, v3
	v_cmp_ne_u16_e32 vcc, 0, v4
	v_cndmask_b32_e64 v4, 0, 1, vcc
	s_mov_b64 s[12:13], -1
	s_mov_b64 s[0:1], 0
	global_store_byte v[0:1], v4, off
.LBB22_102:
	s_branch .LBB22_20
.LBB22_103:
	v_mov_b32_e32 v4, 5
	v_cmp_lt_i16_sdwa s[18:19], s33, v4 src0_sel:BYTE_0 src1_sel:DWORD
	s_mov_b64 s[12:13], -1
	s_and_b64 vcc, exec, s[18:19]
	s_cbranch_vccnz .LBB22_124
; %bb.104:
	v_mov_b32_e32 v4, 8
	v_cmp_lt_i16_sdwa s[18:19], s33, v4 src0_sel:BYTE_0 src1_sel:DWORD
	s_and_b64 vcc, exec, s[18:19]
	s_cbranch_vccnz .LBB22_114
; %bb.105:
	v_mov_b32_e32 v4, 9
	v_cmp_lt_i16_sdwa s[18:19], s33, v4 src0_sel:BYTE_0 src1_sel:DWORD
	s_and_b64 vcc, exec, s[18:19]
	s_cbranch_vccnz .LBB22_111
; %bb.106:
	v_cmp_gt_i16_sdwa s[18:19], s33, v4 src0_sel:BYTE_0 src1_sel:DWORD
	s_and_b64 vcc, exec, s[18:19]
	s_cbranch_vccz .LBB22_108
; %bb.107:
	v_cvt_f32_f16_e32 v4, v3
	v_mov_b32_e32 v6, 0
	v_mov_b32_e32 v7, v6
	s_mov_b64 s[12:13], 0
	v_cvt_f64_f32_e32 v[4:5], v4
	global_store_dwordx4 v[0:1], v[4:7], off
.LBB22_108:
	s_andn2_b64 vcc, exec, s[12:13]
	s_cbranch_vccnz .LBB22_110
; %bb.109:
	v_cvt_f32_f16_e32 v4, v3
	v_mov_b32_e32 v5, 0
	global_store_dwordx2 v[0:1], v[4:5], off
.LBB22_110:
	s_mov_b64 s[12:13], 0
.LBB22_111:
	s_andn2_b64 vcc, exec, s[12:13]
	s_cbranch_vccnz .LBB22_113
; %bb.112:
	v_and_b32_e32 v4, 0xffff, v3
	global_store_dword v[0:1], v4, off
.LBB22_113:
	s_mov_b64 s[12:13], 0
.LBB22_114:
	s_andn2_b64 vcc, exec, s[12:13]
	s_cbranch_vccnz .LBB22_123
; %bb.115:
	v_mov_b32_e32 v4, 6
	v_cmp_lt_i16_sdwa s[18:19], s33, v4 src0_sel:BYTE_0 src1_sel:DWORD
	s_mov_b64 s[12:13], -1
	s_and_b64 vcc, exec, s[18:19]
	s_cbranch_vccnz .LBB22_121
; %bb.116:
	v_cmp_gt_i16_sdwa s[18:19], s33, v4 src0_sel:BYTE_0 src1_sel:DWORD
	s_and_b64 vcc, exec, s[18:19]
	s_cbranch_vccz .LBB22_118
; %bb.117:
	v_cvt_f32_f16_e32 v4, v3
	s_mov_b64 s[12:13], 0
	v_cvt_f64_f32_e32 v[4:5], v4
	global_store_dwordx2 v[0:1], v[4:5], off
.LBB22_118:
	s_andn2_b64 vcc, exec, s[12:13]
	s_cbranch_vccnz .LBB22_120
; %bb.119:
	v_cvt_f32_f16_e32 v4, v3
	global_store_dword v[0:1], v4, off
.LBB22_120:
	s_mov_b64 s[12:13], 0
.LBB22_121:
	s_andn2_b64 vcc, exec, s[12:13]
	s_cbranch_vccnz .LBB22_123
; %bb.122:
	global_store_short v[0:1], v3, off
.LBB22_123:
	s_mov_b64 s[12:13], 0
.LBB22_124:
	s_andn2_b64 vcc, exec, s[12:13]
	s_cbranch_vccnz .LBB22_140
; %bb.125:
	v_mov_b32_e32 v4, 2
	v_cmp_lt_i16_sdwa s[18:19], s33, v4 src0_sel:BYTE_0 src1_sel:DWORD
	s_mov_b64 s[12:13], -1
	s_and_b64 vcc, exec, s[18:19]
	s_cbranch_vccnz .LBB22_135
; %bb.126:
	v_mov_b32_e32 v4, 3
	v_cmp_lt_i16_sdwa s[18:19], s33, v4 src0_sel:BYTE_0 src1_sel:DWORD
	s_and_b64 vcc, exec, s[18:19]
	s_cbranch_vccnz .LBB22_132
; %bb.127:
	v_cmp_gt_i16_sdwa s[18:19], s33, v4 src0_sel:BYTE_0 src1_sel:DWORD
	s_and_b64 vcc, exec, s[18:19]
	s_cbranch_vccz .LBB22_129
; %bb.128:
	v_cvt_f32_f16_e32 v4, v3
	s_mov_b64 s[12:13], 0
	v_cvt_i32_f32_e32 v4, v4
	v_ashrrev_i32_e32 v5, 31, v4
	global_store_dwordx2 v[0:1], v[4:5], off
.LBB22_129:
	s_andn2_b64 vcc, exec, s[12:13]
	s_cbranch_vccnz .LBB22_131
; %bb.130:
	v_cvt_f32_f16_e32 v4, v3
	v_cvt_i32_f32_e32 v4, v4
	global_store_dword v[0:1], v4, off
.LBB22_131:
	s_mov_b64 s[12:13], 0
.LBB22_132:
	s_andn2_b64 vcc, exec, s[12:13]
	s_cbranch_vccnz .LBB22_134
; %bb.133:
	v_cvt_i16_f16_e32 v4, v3
	global_store_short v[0:1], v4, off
.LBB22_134:
	s_mov_b64 s[12:13], 0
.LBB22_135:
	s_andn2_b64 vcc, exec, s[12:13]
	s_cbranch_vccnz .LBB22_140
; %bb.136:
	v_mov_b32_e32 v4, 0
	v_cmp_gt_i16_sdwa s[18:19], s33, v4 src0_sel:BYTE_0 src1_sel:DWORD
	s_mov_b64 s[12:13], -1
	s_and_b64 vcc, exec, s[18:19]
	s_cbranch_vccz .LBB22_138
; %bb.137:
	v_cvt_i16_f16_e32 v4, v3
	global_store_byte v[0:1], v4, off
	s_mov_b64 s[12:13], 0
.LBB22_138:
	s_andn2_b64 vcc, exec, s[12:13]
	s_cbranch_vccnz .LBB22_140
; %bb.139:
	v_cvt_f32_f16_e32 v3, v3
	v_cvt_i32_f32_e32 v3, v3
	global_store_byte v[0:1], v3, off
.LBB22_140:
	s_branch .LBB22_21
.LBB22_141:
	s_mov_b64 s[18:19], 0
                                        ; implicit-def: $vgpr2
	s_branch .LBB22_251
.LBB22_142:
	s_mov_b64 s[14:15], -1
                                        ; implicit-def: $vgpr3
.LBB22_143:
	s_mov_b64 s[12:13], 0
.LBB22_144:
	s_and_b64 vcc, exec, s[12:13]
	s_cbranch_vccz .LBB22_148
; %bb.145:
	v_cmp_eq_u16_e64 s[12:13], s43, 29
	s_and_b64 vcc, exec, s[12:13]
	s_cbranch_vccz .LBB22_147
; %bb.146:
	global_load_dwordx2 v[4:5], v[0:1], off
	s_mov_b64 s[0:1], -1
	s_mov_b64 s[14:15], 0
	s_mov_b64 s[12:13], 0
	s_waitcnt vmcnt(0)
	v_ffbh_u32_e32 v3, v5
	v_min_u32_e32 v3, 32, v3
	v_lshlrev_b64 v[4:5], v3, v[4:5]
	v_min_u32_e32 v4, 1, v4
	v_or_b32_e32 v4, v5, v4
	v_cvt_f32_u32_e32 v4, v4
	v_sub_u32_e32 v3, 32, v3
	v_ldexp_f32 v3, v4, v3
	v_cvt_f16_f32_e32 v3, v3
	s_branch .LBB22_149
.LBB22_147:
	s_mov_b64 s[14:15], -1
                                        ; implicit-def: $vgpr3
.LBB22_148:
	s_mov_b64 s[12:13], 0
.LBB22_149:
	s_and_b64 vcc, exec, s[12:13]
	s_cbranch_vccz .LBB22_167
; %bb.150:
	v_cmp_lt_i16_e64 s[0:1], s43, 27
	s_and_b64 vcc, exec, s[0:1]
	s_cbranch_vccnz .LBB22_153
; %bb.151:
	v_cmp_gt_i16_e64 s[0:1], s43, 27
	s_and_b64 vcc, exec, s[0:1]
	s_cbranch_vccz .LBB22_154
; %bb.152:
	global_load_dword v3, v[0:1], off
	s_mov_b64 s[0:1], 0
	s_waitcnt vmcnt(0)
	v_cvt_f32_u32_e32 v3, v3
	v_cvt_f16_f32_e32 v3, v3
	s_branch .LBB22_155
.LBB22_153:
	s_mov_b64 s[0:1], -1
                                        ; implicit-def: $vgpr3
	s_branch .LBB22_158
.LBB22_154:
	s_mov_b64 s[0:1], -1
                                        ; implicit-def: $vgpr3
.LBB22_155:
	s_andn2_b64 vcc, exec, s[0:1]
	s_cbranch_vccnz .LBB22_157
; %bb.156:
	global_load_ushort v3, v[0:1], off
	s_waitcnt vmcnt(0)
	v_cvt_f16_u16_e32 v3, v3
.LBB22_157:
	s_mov_b64 s[0:1], 0
.LBB22_158:
	s_andn2_b64 vcc, exec, s[0:1]
	s_cbranch_vccnz .LBB22_166
; %bb.159:
	global_load_ubyte v4, v[0:1], off
	s_movk_i32 s0, 0x7f
                                        ; implicit-def: $sgpr22
	s_waitcnt vmcnt(0)
	v_cmp_lt_i16_e32 vcc, s0, v4
	s_mov_b64 s[0:1], 0
	s_and_saveexec_b64 s[12:13], vcc
	s_xor_b64 s[12:13], exec, s[12:13]
	s_cbranch_execz .LBB22_179
; %bb.160:
	s_movk_i32 s0, 0x80
	v_cmp_eq_u16_e32 vcc, s0, v4
	s_mov_b64 s[0:1], -1
                                        ; implicit-def: $sgpr22
	s_and_saveexec_b64 s[18:19], vcc
; %bb.161:
	s_movk_i32 s22, 0x7e00
	s_xor_b64 s[0:1], exec, -1
; %bb.162:
	s_or_b64 exec, exec, s[18:19]
	s_and_b64 s[0:1], s[0:1], exec
	s_or_saveexec_b64 s[12:13], s[12:13]
	v_mov_b32_e32 v3, s22
	s_xor_b64 exec, exec, s[12:13]
	s_cbranch_execnz .LBB22_180
.LBB22_163:
	s_or_b64 exec, exec, s[12:13]
	s_and_saveexec_b64 s[12:13], s[0:1]
	s_cbranch_execz .LBB22_165
.LBB22_164:
	v_lshlrev_b32_e32 v3, 24, v4
	v_and_b32_e32 v4, 0xffff, v4
	v_and_b32_e32 v5, 7, v4
	v_ffbh_u32_e32 v7, v5
	v_min_u32_e32 v7, 32, v7
	v_subrev_u32_e32 v8, 28, v7
	v_bfe_u32 v6, v4, 3, 4
	v_lshlrev_b32_e32 v4, v8, v4
	v_sub_u32_e32 v7, 29, v7
	v_and_b32_e32 v4, 7, v4
	v_cmp_eq_u32_e32 vcc, 0, v6
	v_cndmask_b32_e32 v6, v6, v7, vcc
	v_cndmask_b32_e32 v4, v5, v4, vcc
	v_mov_b32_e32 v5, 0x3b800000
	v_lshlrev_b32_e32 v4, 20, v4
	v_and_b32_e32 v3, 0x80000000, v3
	v_lshl_add_u32 v5, v6, 23, v5
	v_or3_b32 v3, v3, v5, v4
	v_cvt_f16_f32_e32 v3, v3
.LBB22_165:
	s_or_b64 exec, exec, s[12:13]
.LBB22_166:
	s_mov_b64 s[0:1], -1
.LBB22_167:
	s_branch .LBB22_202
.LBB22_168:
	v_cmp_gt_i16_e64 s[12:13], s43, 22
	s_and_b64 vcc, exec, s[12:13]
	s_cbranch_vccz .LBB22_178
; %bb.169:
	v_cmp_lt_i16_e64 s[0:1], s43, 24
	s_and_b64 vcc, exec, s[0:1]
	s_cbranch_vccnz .LBB22_181
; %bb.170:
	v_cmp_gt_i16_e64 s[0:1], s43, 24
	s_and_b64 vcc, exec, s[0:1]
	s_cbranch_vccz .LBB22_182
; %bb.171:
	global_load_ubyte v4, v[0:1], off
	s_movk_i32 s0, 0x7f
                                        ; implicit-def: $sgpr22
	s_waitcnt vmcnt(0)
	v_cmp_lt_i16_e32 vcc, s0, v4
	s_mov_b64 s[0:1], 0
	s_and_saveexec_b64 s[12:13], vcc
	s_xor_b64 s[12:13], exec, s[12:13]
	s_cbranch_execz .LBB22_194
; %bb.172:
	s_movk_i32 s0, 0x80
	v_cmp_eq_u16_e32 vcc, s0, v4
	s_mov_b64 s[0:1], -1
                                        ; implicit-def: $sgpr22
	s_and_saveexec_b64 s[18:19], vcc
; %bb.173:
	s_movk_i32 s22, 0x7e00
	s_xor_b64 s[0:1], exec, -1
; %bb.174:
	s_or_b64 exec, exec, s[18:19]
	s_and_b64 s[0:1], s[0:1], exec
	s_or_saveexec_b64 s[12:13], s[12:13]
	v_mov_b32_e32 v3, s22
	s_xor_b64 exec, exec, s[12:13]
	s_cbranch_execnz .LBB22_195
.LBB22_175:
	s_or_b64 exec, exec, s[12:13]
	s_and_saveexec_b64 s[12:13], s[0:1]
	s_cbranch_execz .LBB22_177
.LBB22_176:
	v_lshlrev_b32_e32 v3, 24, v4
	v_and_b32_e32 v4, 0xffff, v4
	v_and_b32_e32 v5, 3, v4
	v_ffbh_u32_e32 v7, v5
	v_min_u32_e32 v7, 32, v7
	v_subrev_u32_e32 v8, 29, v7
	v_bfe_u32 v6, v4, 2, 5
	v_lshlrev_b32_e32 v4, v8, v4
	v_sub_u32_e32 v7, 30, v7
	v_and_b32_e32 v4, 3, v4
	v_cmp_eq_u32_e32 vcc, 0, v6
	v_cndmask_b32_e32 v6, v6, v7, vcc
	v_cndmask_b32_e32 v4, v5, v4, vcc
	v_mov_b32_e32 v5, 0x37800000
	v_lshlrev_b32_e32 v4, 21, v4
	v_and_b32_e32 v3, 0x80000000, v3
	v_lshl_add_u32 v5, v6, 23, v5
	v_or3_b32 v3, v3, v5, v4
	v_cvt_f16_f32_e32 v3, v3
.LBB22_177:
	s_or_b64 exec, exec, s[12:13]
	s_mov_b64 s[0:1], 0
	s_branch .LBB22_183
.LBB22_178:
	s_mov_b64 s[12:13], -1
                                        ; implicit-def: $vgpr3
	s_branch .LBB22_189
.LBB22_179:
	s_or_saveexec_b64 s[12:13], s[12:13]
	v_mov_b32_e32 v3, s22
	s_xor_b64 exec, exec, s[12:13]
	s_cbranch_execz .LBB22_163
.LBB22_180:
	v_cmp_ne_u16_e32 vcc, 0, v4
	s_andn2_b64 s[0:1], s[0:1], exec
	s_and_b64 s[18:19], vcc, exec
	s_or_b64 s[0:1], s[0:1], s[18:19]
	v_mov_b32_e32 v3, v4
	s_or_b64 exec, exec, s[12:13]
	s_and_saveexec_b64 s[12:13], s[0:1]
	s_cbranch_execnz .LBB22_164
	s_branch .LBB22_165
.LBB22_181:
	s_mov_b64 s[0:1], -1
                                        ; implicit-def: $vgpr3
	s_branch .LBB22_186
.LBB22_182:
	s_mov_b64 s[0:1], -1
                                        ; implicit-def: $vgpr3
.LBB22_183:
	s_and_b64 vcc, exec, s[0:1]
	s_cbranch_vccz .LBB22_185
; %bb.184:
	global_load_ubyte v3, v[0:1], off
	s_mov_b32 s0, 0x7f800000
	s_waitcnt vmcnt(0)
	v_lshlrev_b32_e32 v3, 24, v3
	v_and_b32_e32 v4, 0x7f000000, v3
	v_ffbh_u32_e32 v5, v4
	v_min_u32_e32 v5, 32, v5
	v_sub_u32_e64 v5, v5, 4 clamp
	v_lshlrev_b32_e32 v7, v5, v4
	v_lshlrev_b32_e32 v5, 23, v5
	v_lshrrev_b32_e32 v7, 4, v7
	v_add_u32_e32 v6, 0x1000000, v4
	v_sub_u32_e32 v5, v7, v5
	v_ashrrev_i32_e32 v6, 8, v6
	v_add_u32_e32 v5, 0x3c000000, v5
	v_and_or_b32 v5, v6, s0, v5
	v_cmp_ne_u32_e32 vcc, 0, v4
	v_cndmask_b32_e32 v4, 0, v5, vcc
	s_brev_b32 s0, 1
	v_and_or_b32 v3, v3, s0, v4
	v_cvt_f16_f32_e32 v3, v3
.LBB22_185:
	s_mov_b64 s[0:1], 0
.LBB22_186:
	s_andn2_b64 vcc, exec, s[0:1]
	s_cbranch_vccnz .LBB22_188
; %bb.187:
	global_load_ubyte v3, v[0:1], off
	s_movk_i32 s0, 0x7f00
	s_brev_b32 s1, 16
	s_waitcnt vmcnt(0)
	v_lshlrev_b16_e32 v4, 8, v3
	v_lshlrev_b32_e32 v3, 25, v3
	v_lshrrev_b32_e32 v5, 4, v3
	v_and_or_b32 v6, v4, s0, 0.5
	v_or_b32_e32 v5, 0x70000000, v5
	v_add_f32_e32 v6, -0.5, v6
	v_mul_f32_e32 v5, 0x7800000, v5
	v_cmp_gt_u32_e32 vcc, s1, v3
	v_bfe_i32 v4, v4, 0, 16
	v_cndmask_b32_e32 v3, v5, v6, vcc
	s_brev_b32 s0, 1
	v_and_or_b32 v3, v4, s0, v3
	v_cvt_f16_f32_e32 v3, v3
.LBB22_188:
	s_mov_b64 s[12:13], 0
	s_mov_b64 s[0:1], -1
.LBB22_189:
	s_andn2_b64 vcc, exec, s[12:13]
	s_cbranch_vccnz .LBB22_202
; %bb.190:
	v_cmp_gt_i16_e64 s[12:13], s43, 14
	s_and_b64 vcc, exec, s[12:13]
	s_cbranch_vccz .LBB22_193
; %bb.191:
	v_cmp_eq_u16_e64 s[12:13], s43, 15
	s_and_b64 vcc, exec, s[12:13]
	s_cbranch_vccz .LBB22_196
; %bb.192:
	global_load_ushort v3, v[0:1], off
	s_mov_b64 s[0:1], -1
	s_mov_b64 s[14:15], 0
	s_waitcnt vmcnt(0)
	v_lshlrev_b32_e32 v3, 16, v3
	v_cvt_f16_f32_e32 v3, v3
	s_branch .LBB22_197
.LBB22_193:
	s_mov_b64 s[12:13], -1
                                        ; implicit-def: $vgpr3
	s_branch .LBB22_198
.LBB22_194:
	s_or_saveexec_b64 s[12:13], s[12:13]
	v_mov_b32_e32 v3, s22
	s_xor_b64 exec, exec, s[12:13]
	s_cbranch_execz .LBB22_175
.LBB22_195:
	v_cmp_ne_u16_e32 vcc, 0, v4
	s_andn2_b64 s[0:1], s[0:1], exec
	s_and_b64 s[18:19], vcc, exec
	s_or_b64 s[0:1], s[0:1], s[18:19]
	v_mov_b32_e32 v3, v4
	s_or_b64 exec, exec, s[12:13]
	s_and_saveexec_b64 s[12:13], s[0:1]
	s_cbranch_execnz .LBB22_176
	s_branch .LBB22_177
.LBB22_196:
	s_mov_b64 s[14:15], -1
                                        ; implicit-def: $vgpr3
.LBB22_197:
	s_mov_b64 s[12:13], 0
.LBB22_198:
	s_and_b64 vcc, exec, s[12:13]
	s_cbranch_vccz .LBB22_202
; %bb.199:
	v_cmp_eq_u16_e64 s[12:13], s43, 11
	s_and_b64 vcc, exec, s[12:13]
	s_cbranch_vccz .LBB22_201
; %bb.200:
	global_load_ubyte v3, v[0:1], off
	v_mov_b32_e32 v4, 0x3c00
	s_mov_b64 s[0:1], -1
	s_mov_b64 s[14:15], 0
	s_waitcnt vmcnt(0)
	v_cmp_ne_u16_e32 vcc, 0, v3
	v_cndmask_b32_e32 v3, 0, v4, vcc
	s_branch .LBB22_202
.LBB22_201:
	s_mov_b64 s[14:15], -1
                                        ; implicit-def: $vgpr3
.LBB22_202:
	s_branch .LBB22_10
.LBB22_203:
	v_cmp_lt_i16_e64 s[0:1], s43, 5
	s_and_b64 vcc, exec, s[0:1]
	s_cbranch_vccnz .LBB22_208
; %bb.204:
	v_cmp_lt_i16_e64 s[0:1], s43, 8
	s_and_b64 vcc, exec, s[0:1]
	s_cbranch_vccnz .LBB22_209
; %bb.205:
	;; [unrolled: 4-line block ×3, first 2 shown]
	v_cmp_gt_i16_e64 s[0:1], s43, 9
	s_and_b64 vcc, exec, s[0:1]
	s_cbranch_vccz .LBB22_211
; %bb.207:
	global_load_dwordx2 v[4:5], v[0:1], off
	s_mov_b64 s[0:1], 0
	s_waitcnt vmcnt(0)
	v_cvt_f32_f64_e32 v3, v[4:5]
	v_cvt_f16_f32_e32 v3, v3
	s_branch .LBB22_212
.LBB22_208:
                                        ; implicit-def: $vgpr3
	s_branch .LBB22_230
.LBB22_209:
	s_mov_b64 s[0:1], -1
                                        ; implicit-def: $vgpr3
	s_branch .LBB22_218
.LBB22_210:
	s_mov_b64 s[0:1], -1
                                        ; implicit-def: $vgpr3
	s_branch .LBB22_215
.LBB22_211:
	s_mov_b64 s[0:1], -1
                                        ; implicit-def: $vgpr3
.LBB22_212:
	s_andn2_b64 vcc, exec, s[0:1]
	s_cbranch_vccnz .LBB22_214
; %bb.213:
	global_load_dword v3, v[0:1], off
	s_waitcnt vmcnt(0)
	v_cvt_f16_f32_e32 v3, v3
.LBB22_214:
	s_mov_b64 s[0:1], 0
.LBB22_215:
	s_andn2_b64 vcc, exec, s[0:1]
	s_cbranch_vccnz .LBB22_217
; %bb.216:
	global_load_dword v3, v[0:1], off
.LBB22_217:
	s_mov_b64 s[0:1], 0
.LBB22_218:
	s_andn2_b64 vcc, exec, s[0:1]
	s_cbranch_vccnz .LBB22_229
; %bb.219:
	v_cmp_lt_i16_e64 s[0:1], s43, 6
	s_and_b64 vcc, exec, s[0:1]
	s_cbranch_vccnz .LBB22_222
; %bb.220:
	v_cmp_gt_i16_e64 s[0:1], s43, 6
	s_and_b64 vcc, exec, s[0:1]
	s_cbranch_vccz .LBB22_223
; %bb.221:
	global_load_dwordx2 v[4:5], v[0:1], off
	s_mov_b64 s[0:1], 0
	s_waitcnt vmcnt(0)
	v_cvt_f32_f64_e32 v3, v[4:5]
	v_cvt_f16_f32_e32 v3, v3
	s_branch .LBB22_224
.LBB22_222:
	s_mov_b64 s[0:1], -1
                                        ; implicit-def: $vgpr3
	s_branch .LBB22_227
.LBB22_223:
	s_mov_b64 s[0:1], -1
                                        ; implicit-def: $vgpr3
.LBB22_224:
	s_andn2_b64 vcc, exec, s[0:1]
	s_cbranch_vccnz .LBB22_226
; %bb.225:
	global_load_dword v3, v[0:1], off
	s_waitcnt vmcnt(0)
	v_cvt_f16_f32_e32 v3, v3
.LBB22_226:
	s_mov_b64 s[0:1], 0
.LBB22_227:
	s_andn2_b64 vcc, exec, s[0:1]
	s_cbranch_vccnz .LBB22_229
; %bb.228:
	global_load_ushort v3, v[0:1], off
.LBB22_229:
	s_cbranch_execnz .LBB22_249
.LBB22_230:
	v_cmp_lt_i16_e64 s[0:1], s43, 2
	s_and_b64 vcc, exec, s[0:1]
	s_cbranch_vccnz .LBB22_234
; %bb.231:
	v_cmp_lt_i16_e64 s[0:1], s43, 3
	s_and_b64 vcc, exec, s[0:1]
	s_cbranch_vccnz .LBB22_235
; %bb.232:
	v_cmp_gt_i16_e64 s[0:1], s43, 3
	s_and_b64 vcc, exec, s[0:1]
	s_cbranch_vccz .LBB22_236
; %bb.233:
	global_load_dwordx2 v[4:5], v[0:1], off
	s_mov_b64 s[0:1], 0
	s_waitcnt vmcnt(0)
	v_xor_b32_e32 v6, v4, v5
	v_ffbh_i32_e32 v3, v5
	v_ashrrev_i32_e32 v6, 31, v6
	v_add_u32_e32 v3, -1, v3
	v_add_u32_e32 v6, 32, v6
	v_min_u32_e32 v3, v3, v6
	v_lshlrev_b64 v[4:5], v3, v[4:5]
	v_min_u32_e32 v4, 1, v4
	v_or_b32_e32 v4, v5, v4
	v_cvt_f32_i32_e32 v4, v4
	v_sub_u32_e32 v3, 32, v3
	v_ldexp_f32 v3, v4, v3
	v_cvt_f16_f32_e32 v3, v3
	s_branch .LBB22_237
.LBB22_234:
	s_mov_b64 s[0:1], -1
                                        ; implicit-def: $vgpr3
	s_branch .LBB22_243
.LBB22_235:
	s_mov_b64 s[0:1], -1
                                        ; implicit-def: $vgpr3
	s_branch .LBB22_240
.LBB22_236:
	s_mov_b64 s[0:1], -1
                                        ; implicit-def: $vgpr3
.LBB22_237:
	s_andn2_b64 vcc, exec, s[0:1]
	s_cbranch_vccnz .LBB22_239
; %bb.238:
	global_load_dword v3, v[0:1], off
	s_waitcnt vmcnt(0)
	v_cvt_f32_i32_e32 v3, v3
	v_cvt_f16_f32_e32 v3, v3
.LBB22_239:
	s_mov_b64 s[0:1], 0
.LBB22_240:
	s_andn2_b64 vcc, exec, s[0:1]
	s_cbranch_vccnz .LBB22_242
; %bb.241:
	global_load_ushort v3, v[0:1], off
	s_waitcnt vmcnt(0)
	v_cvt_f16_i16_e32 v3, v3
.LBB22_242:
	s_mov_b64 s[0:1], 0
.LBB22_243:
	s_andn2_b64 vcc, exec, s[0:1]
	s_cbranch_vccnz .LBB22_249
; %bb.244:
	v_cmp_gt_i16_e64 s[0:1], s43, 0
	s_and_b64 vcc, exec, s[0:1]
	s_cbranch_vccz .LBB22_246
; %bb.245:
	global_load_sbyte v3, v[0:1], off
	s_mov_b64 s[0:1], 0
	s_waitcnt vmcnt(0)
	v_cvt_f16_i16_e32 v3, v3
	s_branch .LBB22_247
.LBB22_246:
	s_mov_b64 s[0:1], -1
                                        ; implicit-def: $vgpr3
.LBB22_247:
	s_andn2_b64 vcc, exec, s[0:1]
	s_cbranch_vccnz .LBB22_249
; %bb.248:
	global_load_ubyte v0, v[0:1], off
	s_waitcnt vmcnt(0)
	v_cvt_f16_u16_e32 v3, v0
.LBB22_249:
	s_branch .LBB22_11
.LBB22_250:
	s_mov_b64 s[0:1], 0
                                        ; implicit-def: $vgpr2
	s_mov_b64 s[18:19], 0
.LBB22_251:
	s_and_b64 s[12:13], s[0:1], exec
	s_and_b64 s[14:15], s[14:15], exec
	s_orn2_b64 s[18:19], s[18:19], exec
.LBB22_252:
	s_or_b64 exec, exec, s[16:17]
	s_mov_b64 s[22:23], 0
	s_mov_b64 s[0:1], 0
                                        ; implicit-def: $vgpr0_vgpr1
                                        ; implicit-def: $vgpr5
	s_and_saveexec_b64 s[16:17], s[18:19]
	s_cbranch_execz .LBB22_261
; %bb.253:
	v_cmp_gt_i32_e32 vcc, s38, v2
	s_mov_b64 s[0:1], -1
	s_mov_b64 s[18:19], s[14:15]
	s_mov_b64 s[20:21], s[12:13]
	s_and_saveexec_b64 s[22:23], vcc
	s_cbranch_execz .LBB22_513
; %bb.254:
	v_mul_lo_u32 v0, v2, s3
	v_ashrrev_i32_e32 v1, 31, v0
	s_waitcnt vmcnt(0)
	v_mov_b32_e32 v3, s11
	v_add_co_u32_e32 v0, vcc, s10, v0
	v_addc_co_u32_e32 v1, vcc, v3, v1, vcc
	v_cmp_lt_i16_e64 s[0:1], s43, 11
	s_and_b64 vcc, exec, s[0:1]
	s_cbranch_vccnz .LBB22_264
; %bb.255:
	v_cmp_gt_i16_e64 s[0:1], s43, 25
	s_and_b64 vcc, exec, s[0:1]
	s_cbranch_vccz .LBB22_273
; %bb.256:
	v_cmp_gt_i16_e64 s[0:1], s43, 28
	s_and_b64 vcc, exec, s[0:1]
	s_cbranch_vccz .LBB22_275
	;; [unrolled: 4-line block ×4, first 2 shown]
; %bb.259:
	v_cmp_eq_u16_e64 s[0:1], s43, 46
	s_mov_b64 s[20:21], 0
	s_and_b64 vcc, exec, s[0:1]
	s_cbranch_vccz .LBB22_285
; %bb.260:
	global_load_dword v3, v[0:1], off
	s_mov_b64 s[0:1], -1
	s_mov_b64 s[18:19], 0
	s_waitcnt vmcnt(0)
	v_lshlrev_b32_e32 v3, 16, v3
	v_cvt_f16_f32_e32 v3, v3
	s_branch .LBB22_286
.LBB22_261:
	s_or_b64 exec, exec, s[16:17]
	s_mov_b64 s[16:17], 0
	s_and_saveexec_b64 s[18:19], s[14:15]
	s_cbranch_execnz .LBB22_859
.LBB22_262:
	s_or_b64 exec, exec, s[18:19]
	s_and_saveexec_b64 s[14:15], s[20:21]
	s_xor_b64 s[14:15], exec, s[14:15]
	s_cbranch_execz .LBB22_860
.LBB22_263:
	global_load_ubyte v3, v[0:1], off
	v_mov_b32_e32 v4, 0x3c00
	s_or_b64 s[0:1], s[0:1], exec
	s_waitcnt vmcnt(0)
	v_cmp_ne_u16_e32 vcc, 0, v3
	v_cndmask_b32_e32 v5, 0, v4, vcc
	s_or_b64 exec, exec, s[14:15]
	s_and_saveexec_b64 s[14:15], s[22:23]
	s_cbranch_execz .LBB22_906
	s_branch .LBB22_861
.LBB22_264:
	s_mov_b64 s[0:1], 0
                                        ; implicit-def: $vgpr3
	s_mov_b64 s[18:19], s[14:15]
	s_cbranch_execnz .LBB22_463
.LBB22_265:
	s_andn2_b64 vcc, exec, s[0:1]
	s_cbranch_vccnz .LBB22_511
.LBB22_266:
	s_waitcnt vmcnt(0)
	v_cmp_nge_f16_e64 s[0:1], v3, -s42
	v_cmp_nge_f16_e32 vcc, s42, v3
	s_or_b64 vcc, s[0:1], vcc
	v_mul_lo_u32 v0, v2, s2
	v_cndmask_b32_e32 v3, 0, v3, vcc
	v_ashrrev_i32_e32 v1, 31, v0
	v_mov_b32_e32 v4, s9
	v_add_co_u32_e32 v0, vcc, s8, v0
	v_addc_co_u32_e32 v1, vcc, v4, v1, vcc
	v_mov_b32_e32 v4, 11
	v_cmp_lt_i16_sdwa s[0:1], s33, v4 src0_sel:BYTE_0 src1_sel:DWORD
	s_and_b64 vcc, exec, s[0:1]
	s_cbranch_vccnz .LBB22_274
; %bb.267:
	v_mov_b32_e32 v4, 25
	v_cmp_gt_i16_sdwa s[0:1], s33, v4 src0_sel:BYTE_0 src1_sel:DWORD
	s_and_b64 vcc, exec, s[0:1]
	s_cbranch_vccz .LBB22_276
; %bb.268:
	v_mov_b32_e32 v4, 28
	v_cmp_gt_i16_sdwa s[0:1], s33, v4 src0_sel:BYTE_0 src1_sel:DWORD
	s_and_b64 vcc, exec, s[0:1]
	s_cbranch_vccz .LBB22_278
	;; [unrolled: 5-line block ×4, first 2 shown]
; %bb.271:
	v_mov_b32_e32 v4, 46
	v_cmp_eq_u16_sdwa s[20:21], s33, v4 src0_sel:BYTE_0 src1_sel:DWORD
	s_mov_b64 s[24:25], 0
	s_mov_b64 s[0:1], -1
	s_and_b64 vcc, exec, s[20:21]
	s_mov_b64 s[20:21], 0
	s_cbranch_vccz .LBB22_290
; %bb.272:
	v_cvt_f32_f16_e32 v4, v3
	s_movk_i32 s0, 0x7fff
	v_mov_b32_e32 v5, 0x7fc0
	v_cmp_o_f16_e32 vcc, v3, v3
	v_bfe_u32 v6, v4, 16, 1
	v_add3_u32 v4, v4, v6, s0
	v_lshrrev_b32_e32 v4, 16, v4
	v_cndmask_b32_e32 v4, v5, v4, vcc
	global_store_dword v[0:1], v4, off
	s_mov_b64 s[20:21], -1
	s_mov_b64 s[0:1], 0
	s_branch .LBB22_290
.LBB22_273:
	s_mov_b64 s[20:21], -1
	s_mov_b64 s[0:1], 0
	s_mov_b64 s[18:19], s[14:15]
                                        ; implicit-def: $vgpr3
	s_branch .LBB22_427
.LBB22_274:
	s_mov_b64 s[24:25], -1
	s_mov_b64 s[20:21], 0
	s_mov_b64 s[0:1], s[12:13]
	s_branch .LBB22_359
.LBB22_275:
	s_mov_b64 s[20:21], -1
	s_mov_b64 s[0:1], 0
	s_mov_b64 s[18:19], s[14:15]
                                        ; implicit-def: $vgpr3
	s_branch .LBB22_408
.LBB22_276:
	s_mov_b64 s[24:25], -1
	s_mov_b64 s[20:21], 0
	s_mov_b64 s[0:1], s[12:13]
	s_branch .LBB22_317
.LBB22_277:
	s_mov_b64 s[20:21], -1
	s_mov_b64 s[0:1], 0
	s_mov_b64 s[18:19], s[14:15]
                                        ; implicit-def: $vgpr3
	s_branch .LBB22_403
.LBB22_278:
	s_mov_b64 s[24:25], -1
	s_mov_b64 s[20:21], 0
	s_mov_b64 s[0:1], s[12:13]
	s_branch .LBB22_300
.LBB22_279:
	s_or_saveexec_b64 s[22:23], s[22:23]
                                        ; implicit-def: $sgpr24
	s_xor_b64 exec, exec, s[22:23]
	s_cbranch_execz .LBB22_55
.LBB22_280:
	s_mov_b32 s24, 0x46000000
	v_add_f32_e64 v5, |v4|, s24
	v_and_b32_e32 v5, 0xff, v5
	v_cmp_ne_u32_e32 vcc, 0, v5
	s_andn2_b64 s[18:19], s[18:19], exec
	s_and_b64 s[26:27], vcc, exec
	s_mov_b32 s24, 0
	s_or_b64 s[18:19], s[18:19], s[26:27]
	s_or_b64 exec, exec, s[22:23]
	v_mov_b32_e32 v6, s24
	s_and_saveexec_b64 s[22:23], s[18:19]
	s_cbranch_execnz .LBB22_56
	s_branch .LBB22_57
.LBB22_281:
	s_mov_b64 s[20:21], -1
	s_mov_b64 s[0:1], 0
	s_mov_b64 s[18:19], s[14:15]
                                        ; implicit-def: $vgpr3
	s_branch .LBB22_286
.LBB22_282:
	s_mov_b64 s[24:25], -1
	s_mov_b64 s[20:21], 0
	s_mov_b64 s[0:1], s[12:13]
	s_branch .LBB22_296
.LBB22_283:
	s_or_saveexec_b64 s[22:23], s[22:23]
                                        ; implicit-def: $sgpr24
	s_xor_b64 exec, exec, s[22:23]
	s_cbranch_execz .LBB22_68
.LBB22_284:
	s_mov_b32 s24, 0x42800000
	v_add_f32_e64 v5, |v4|, s24
	v_and_b32_e32 v5, 0xff, v5
	v_cmp_ne_u32_e32 vcc, 0, v5
	s_andn2_b64 s[18:19], s[18:19], exec
	s_and_b64 s[26:27], vcc, exec
	s_mov_b32 s24, 0
	s_or_b64 s[18:19], s[18:19], s[26:27]
	s_or_b64 exec, exec, s[22:23]
	v_mov_b32_e32 v6, s24
	s_and_saveexec_b64 s[22:23], s[18:19]
	s_cbranch_execnz .LBB22_69
	s_branch .LBB22_70
.LBB22_285:
	s_mov_b64 s[18:19], -1
                                        ; implicit-def: $vgpr3
	s_mov_b64 s[0:1], 0
.LBB22_286:
	s_and_b64 vcc, exec, s[20:21]
	s_cbranch_vccz .LBB22_402
; %bb.287:
	v_cmp_eq_u16_e64 s[18:19], s43, 44
	s_and_b64 vcc, exec, s[18:19]
	s_cbranch_vccz .LBB22_401
; %bb.288:
	global_load_ubyte v3, v[0:1], off
	s_movk_i32 s18, 0xff
	v_mov_b32_e32 v5, 0x7e00
	s_mov_b64 s[0:1], -1
	s_waitcnt vmcnt(0)
	v_lshlrev_b32_e32 v4, 23, v3
	v_cvt_f16_f32_e32 v4, v4
	v_cmp_ne_u32_e32 vcc, s18, v3
	s_mov_b64 s[18:19], 0
	v_cndmask_b32_e32 v4, v5, v4, vcc
	v_cmp_ne_u32_e32 vcc, 0, v3
	v_cndmask_b32_e32 v3, 0, v4, vcc
	s_branch .LBB22_402
.LBB22_289:
	s_mov_b64 s[24:25], -1
	s_mov_b64 s[20:21], 0
	s_mov_b64 s[0:1], s[12:13]
.LBB22_290:
	s_and_b64 vcc, exec, s[24:25]
	s_cbranch_vccz .LBB22_295
; %bb.291:
	v_mov_b32_e32 v4, 44
	v_cmp_eq_u16_sdwa s[24:25], s33, v4 src0_sel:BYTE_0 src1_sel:DWORD
	s_mov_b64 s[0:1], -1
	s_and_b64 vcc, exec, s[24:25]
	s_cbranch_vccz .LBB22_295
; %bb.292:
	v_cvt_f32_f16_e32 v4, v3
	s_movk_i32 s0, 0xff
	v_mov_b32_e32 v6, 0xff
	v_bfe_u32 v5, v4, 23, 8
	v_cmp_ne_u32_e32 vcc, s0, v5
	s_and_saveexec_b64 s[20:21], vcc
; %bb.293:
	s_mov_b32 s0, 0x3fffff
	v_lshrrev_b32_e32 v6, 23, v4
	v_and_b32_e32 v7, 0x400000, v4
	v_and_or_b32 v4, v4, s0, v5
	v_cmp_ne_u32_e32 vcc, 0, v7
	v_cmp_ne_u32_e64 s[0:1], 0, v4
	s_and_b64 s[0:1], vcc, s[0:1]
	v_cndmask_b32_e64 v4, 0, 1, s[0:1]
	v_add_u32_e32 v6, v6, v4
; %bb.294:
	s_or_b64 exec, exec, s[20:21]
	s_mov_b64 s[20:21], -1
	s_mov_b64 s[0:1], 0
	global_store_byte v[0:1], v6, off
.LBB22_295:
	s_mov_b64 s[24:25], 0
.LBB22_296:
	s_and_b64 vcc, exec, s[24:25]
	s_cbranch_vccz .LBB22_299
; %bb.297:
	v_mov_b32_e32 v4, 29
	v_cmp_eq_u16_sdwa s[24:25], s33, v4 src0_sel:BYTE_0 src1_sel:DWORD
	s_mov_b64 s[0:1], -1
	s_and_b64 vcc, exec, s[24:25]
	s_cbranch_vccz .LBB22_299
; %bb.298:
	v_cvt_f32_f16_e32 v4, v3
	v_mov_b32_e32 v5, 0
	s_mov_b64 s[20:21], -1
	s_mov_b64 s[0:1], 0
	v_cvt_u32_f32_e32 v4, v4
	s_mov_b64 s[24:25], 0
	global_store_dwordx2 v[0:1], v[4:5], off
	s_branch .LBB22_300
.LBB22_299:
	s_mov_b64 s[24:25], 0
.LBB22_300:
	s_and_b64 vcc, exec, s[24:25]
	s_cbranch_vccz .LBB22_316
; %bb.301:
	v_mov_b32_e32 v4, 27
	v_cmp_lt_i16_sdwa s[24:25], s33, v4 src0_sel:BYTE_0 src1_sel:DWORD
	s_mov_b64 s[20:21], -1
	s_and_b64 vcc, exec, s[24:25]
	s_cbranch_vccnz .LBB22_307
; %bb.302:
	v_cmp_gt_i16_sdwa s[24:25], s33, v4 src0_sel:BYTE_0 src1_sel:DWORD
	s_and_b64 vcc, exec, s[24:25]
	s_cbranch_vccz .LBB22_304
; %bb.303:
	v_cvt_f32_f16_e32 v4, v3
	s_mov_b64 s[20:21], 0
	v_cvt_u32_f32_e32 v4, v4
	global_store_dword v[0:1], v4, off
.LBB22_304:
	s_andn2_b64 vcc, exec, s[20:21]
	s_cbranch_vccnz .LBB22_306
; %bb.305:
	v_cvt_u16_f16_e32 v4, v3
	global_store_short v[0:1], v4, off
.LBB22_306:
	s_mov_b64 s[20:21], 0
.LBB22_307:
	s_andn2_b64 vcc, exec, s[20:21]
	s_cbranch_vccnz .LBB22_315
; %bb.308:
	v_cvt_f32_f16_e32 v4, v3
	s_mov_b32 s20, 0x43800000
	v_mov_b32_e32 v6, 0x80
	v_and_b32_e32 v5, 0x7fffffff, v4
	v_cmp_gt_u32_e32 vcc, s20, v5
	s_and_saveexec_b64 s[20:21], vcc
	s_cbranch_execz .LBB22_314
; %bb.309:
	s_mov_b32 s24, 0x3bffffff
	v_cmp_lt_u32_e32 vcc, s24, v5
	s_mov_b64 s[24:25], 0
                                        ; implicit-def: $vgpr5
	s_and_saveexec_b64 s[26:27], vcc
	s_xor_b64 s[26:27], exec, s[26:27]
	s_cbranch_execz .LBB22_526
; %bb.310:
	v_bfe_u32 v5, v4, 20, 1
	s_mov_b32 s28, 0x487ffff
	v_add3_u32 v5, v4, v5, s28
	s_mov_b64 s[24:25], exec
	v_lshrrev_b32_e32 v5, 20, v5
	s_or_saveexec_b64 s[26:27], s[26:27]
                                        ; implicit-def: $sgpr28
	s_xor_b64 exec, exec, s[26:27]
	s_cbranch_execnz .LBB22_527
.LBB22_311:
	s_or_b64 exec, exec, s[26:27]
	v_mov_b32_e32 v6, s28
	s_and_saveexec_b64 s[26:27], s[24:25]
.LBB22_312:
	v_lshrrev_b32_e32 v4, 24, v4
	s_movk_i32 s24, 0x80
	v_and_or_b32 v6, v4, s24, v5
.LBB22_313:
	s_or_b64 exec, exec, s[26:27]
.LBB22_314:
	s_or_b64 exec, exec, s[20:21]
	global_store_byte v[0:1], v6, off
.LBB22_315:
	s_mov_b64 s[20:21], -1
.LBB22_316:
	s_mov_b64 s[24:25], 0
.LBB22_317:
	s_and_b64 vcc, exec, s[24:25]
	s_cbranch_vccz .LBB22_358
; %bb.318:
	v_mov_b32_e32 v4, 22
	v_cmp_gt_i16_sdwa s[26:27], s33, v4 src0_sel:BYTE_0 src1_sel:DWORD
	s_mov_b64 s[24:25], -1
	s_and_b64 vcc, exec, s[26:27]
	s_cbranch_vccz .LBB22_350
; %bb.319:
	v_mov_b32_e32 v4, 24
	v_cmp_lt_i16_sdwa s[24:25], s33, v4 src0_sel:BYTE_0 src1_sel:DWORD
	s_mov_b64 s[20:21], -1
	s_and_b64 vcc, exec, s[24:25]
	s_cbranch_vccnz .LBB22_339
; %bb.320:
	v_cmp_gt_i16_sdwa s[24:25], s33, v4 src0_sel:BYTE_0 src1_sel:DWORD
	s_and_b64 vcc, exec, s[24:25]
	s_cbranch_vccz .LBB22_328
; %bb.321:
	v_cvt_f32_f16_e32 v4, v3
	s_mov_b32 s20, 0x47800000
	v_mov_b32_e32 v6, 0x80
	v_and_b32_e32 v5, 0x7fffffff, v4
	v_cmp_gt_u32_e32 vcc, s20, v5
	s_and_saveexec_b64 s[20:21], vcc
	s_cbranch_execz .LBB22_327
; %bb.322:
	s_mov_b32 s24, 0x37ffffff
	v_cmp_lt_u32_e32 vcc, s24, v5
	s_mov_b64 s[24:25], 0
                                        ; implicit-def: $vgpr5
	s_and_saveexec_b64 s[26:27], vcc
	s_xor_b64 s[26:27], exec, s[26:27]
	s_cbranch_execz .LBB22_529
; %bb.323:
	v_bfe_u32 v5, v4, 21, 1
	s_mov_b32 s28, 0x88fffff
	v_add3_u32 v5, v4, v5, s28
	s_mov_b64 s[24:25], exec
	v_lshrrev_b32_e32 v5, 21, v5
	s_or_saveexec_b64 s[26:27], s[26:27]
                                        ; implicit-def: $sgpr28
	s_xor_b64 exec, exec, s[26:27]
	s_cbranch_execnz .LBB22_530
.LBB22_324:
	s_or_b64 exec, exec, s[26:27]
	v_mov_b32_e32 v6, s28
	s_and_saveexec_b64 s[26:27], s[24:25]
.LBB22_325:
	v_lshrrev_b32_e32 v4, 24, v4
	s_movk_i32 s24, 0x80
	v_and_or_b32 v6, v4, s24, v5
.LBB22_326:
	s_or_b64 exec, exec, s[26:27]
.LBB22_327:
	s_or_b64 exec, exec, s[20:21]
	s_mov_b64 s[20:21], 0
	global_store_byte v[0:1], v6, off
.LBB22_328:
	s_and_b64 vcc, exec, s[20:21]
	s_cbranch_vccz .LBB22_338
; %bb.329:
	v_cvt_f32_f16_e32 v4, v3
	s_mov_b32 s20, 0x43f00000
                                        ; implicit-def: $vgpr5
	v_and_b32_e32 v6, 0x7fffffff, v4
	v_cmp_gt_u32_e32 vcc, s20, v6
	s_and_saveexec_b64 s[20:21], vcc
	s_xor_b64 s[20:21], exec, s[20:21]
	s_cbranch_execz .LBB22_335
; %bb.330:
	s_mov_b32 s24, 0x3c7fffff
	v_cmp_lt_u32_e32 vcc, s24, v6
                                        ; implicit-def: $vgpr5
	s_and_saveexec_b64 s[24:25], vcc
	s_xor_b64 s[24:25], exec, s[24:25]
; %bb.331:
	v_bfe_u32 v5, v4, 20, 1
	s_mov_b32 s26, 0x407ffff
	v_add3_u32 v5, v4, v5, s26
	v_lshrrev_b32_e32 v6, 20, v5
	v_and_b32_e32 v5, 0xff00000, v5
	s_mov_b32 s26, 0x7f00000
	v_mov_b32_e32 v7, 0x7e
	v_cmp_ne_u32_e32 vcc, s26, v5
	v_cndmask_b32_e32 v5, v7, v6, vcc
; %bb.332:
	s_andn2_saveexec_b64 s[24:25], s[24:25]
; %bb.333:
	s_mov_b32 s26, 0x46800000
	v_add_f32_e64 v5, |v4|, s26
; %bb.334:
	s_or_b64 exec, exec, s[24:25]
                                        ; implicit-def: $vgpr6
.LBB22_335:
	s_andn2_saveexec_b64 s[20:21], s[20:21]
; %bb.336:
	s_mov_b32 s24, 0x7f800000
	v_mov_b32_e32 v5, 0x7e
	v_mov_b32_e32 v7, 0x7f
	v_cmp_lt_u32_e32 vcc, s24, v6
	v_cndmask_b32_e32 v5, v5, v7, vcc
; %bb.337:
	s_or_b64 exec, exec, s[20:21]
	v_lshrrev_b32_e32 v4, 24, v4
	s_movk_i32 s20, 0x80
	v_and_or_b32 v4, v4, s20, v5
	global_store_byte v[0:1], v4, off
.LBB22_338:
	s_mov_b64 s[20:21], 0
.LBB22_339:
	s_andn2_b64 vcc, exec, s[20:21]
	s_cbranch_vccnz .LBB22_349
; %bb.340:
	v_cvt_f32_f16_e32 v4, v3
	s_mov_b32 s20, 0x47800000
                                        ; implicit-def: $vgpr5
	v_and_b32_e32 v6, 0x7fffffff, v4
	v_cmp_gt_u32_e32 vcc, s20, v6
	s_and_saveexec_b64 s[20:21], vcc
	s_xor_b64 s[20:21], exec, s[20:21]
	s_cbranch_execz .LBB22_346
; %bb.341:
	s_mov_b32 s24, 0x387fffff
	v_cmp_lt_u32_e32 vcc, s24, v6
                                        ; implicit-def: $vgpr5
	s_and_saveexec_b64 s[24:25], vcc
	s_xor_b64 s[24:25], exec, s[24:25]
; %bb.342:
	v_bfe_u32 v5, v4, 21, 1
	s_mov_b32 s26, 0x80fffff
	v_add3_u32 v5, v4, v5, s26
	v_lshrrev_b32_e32 v5, 21, v5
; %bb.343:
	s_andn2_saveexec_b64 s[24:25], s[24:25]
; %bb.344:
	s_mov_b32 s26, 0x43000000
	v_add_f32_e64 v5, |v4|, s26
; %bb.345:
	s_or_b64 exec, exec, s[24:25]
                                        ; implicit-def: $vgpr6
.LBB22_346:
	s_andn2_saveexec_b64 s[20:21], s[20:21]
; %bb.347:
	s_mov_b32 s24, 0x7f800000
	v_mov_b32_e32 v5, 0x7c
	v_mov_b32_e32 v7, 0x7f
	v_cmp_lt_u32_e32 vcc, s24, v6
	v_cndmask_b32_e32 v5, v5, v7, vcc
; %bb.348:
	s_or_b64 exec, exec, s[20:21]
	v_lshrrev_b32_e32 v4, 24, v4
	s_movk_i32 s20, 0x80
	v_and_or_b32 v4, v4, s20, v5
	global_store_byte v[0:1], v4, off
.LBB22_349:
	s_mov_b64 s[24:25], 0
	s_mov_b64 s[20:21], -1
.LBB22_350:
	s_andn2_b64 vcc, exec, s[24:25]
	s_cbranch_vccnz .LBB22_358
; %bb.351:
	v_mov_b32_e32 v4, 14
	v_cmp_gt_i16_sdwa s[26:27], s33, v4 src0_sel:BYTE_0 src1_sel:DWORD
	s_mov_b64 s[24:25], -1
	s_and_b64 vcc, exec, s[26:27]
	s_cbranch_vccz .LBB22_355
; %bb.352:
	v_mov_b32_e32 v4, 15
	v_cmp_eq_u16_sdwa s[24:25], s33, v4 src0_sel:BYTE_0 src1_sel:DWORD
	s_mov_b64 s[0:1], -1
	s_and_b64 vcc, exec, s[24:25]
	s_cbranch_vccz .LBB22_354
; %bb.353:
	v_cvt_f32_f16_e32 v4, v3
	s_movk_i32 s0, 0x7fff
	v_mov_b32_e32 v5, 0x7fc0
	v_cmp_o_f16_e32 vcc, v3, v3
	v_bfe_u32 v6, v4, 16, 1
	v_add3_u32 v4, v4, v6, s0
	v_lshrrev_b32_e32 v4, 16, v4
	v_cndmask_b32_e32 v4, v5, v4, vcc
	global_store_short v[0:1], v4, off
	s_mov_b64 s[20:21], -1
	s_mov_b64 s[0:1], 0
.LBB22_354:
	s_mov_b64 s[24:25], 0
.LBB22_355:
	s_and_b64 vcc, exec, s[24:25]
	s_cbranch_vccz .LBB22_358
; %bb.356:
	v_mov_b32_e32 v4, 11
	v_cmp_eq_u16_sdwa s[24:25], s33, v4 src0_sel:BYTE_0 src1_sel:DWORD
	s_mov_b64 s[0:1], -1
	s_and_b64 vcc, exec, s[24:25]
	s_cbranch_vccz .LBB22_358
; %bb.357:
	v_and_b32_e32 v4, 0x7fff, v3
	v_cmp_ne_u16_e32 vcc, 0, v4
	v_cndmask_b32_e64 v4, 0, 1, vcc
	s_mov_b64 s[20:21], -1
	s_mov_b64 s[0:1], 0
	global_store_byte v[0:1], v4, off
.LBB22_358:
	s_mov_b64 s[24:25], 0
.LBB22_359:
	s_and_b64 vcc, exec, s[24:25]
	s_cbranch_vccz .LBB22_398
; %bb.360:
	v_mov_b32_e32 v4, 5
	v_cmp_lt_i16_sdwa s[24:25], s33, v4 src0_sel:BYTE_0 src1_sel:DWORD
	s_mov_b64 s[20:21], -1
	s_and_b64 vcc, exec, s[24:25]
	s_cbranch_vccnz .LBB22_381
; %bb.361:
	v_mov_b32_e32 v4, 8
	v_cmp_lt_i16_sdwa s[24:25], s33, v4 src0_sel:BYTE_0 src1_sel:DWORD
	s_and_b64 vcc, exec, s[24:25]
	s_cbranch_vccnz .LBB22_371
; %bb.362:
	v_mov_b32_e32 v4, 9
	v_cmp_lt_i16_sdwa s[24:25], s33, v4 src0_sel:BYTE_0 src1_sel:DWORD
	s_and_b64 vcc, exec, s[24:25]
	s_cbranch_vccnz .LBB22_368
; %bb.363:
	v_cmp_gt_i16_sdwa s[24:25], s33, v4 src0_sel:BYTE_0 src1_sel:DWORD
	s_and_b64 vcc, exec, s[24:25]
	s_cbranch_vccz .LBB22_365
; %bb.364:
	v_cvt_f32_f16_e32 v4, v3
	v_mov_b32_e32 v6, 0
	v_mov_b32_e32 v7, v6
	s_mov_b64 s[20:21], 0
	v_cvt_f64_f32_e32 v[4:5], v4
	global_store_dwordx4 v[0:1], v[4:7], off
.LBB22_365:
	s_andn2_b64 vcc, exec, s[20:21]
	s_cbranch_vccnz .LBB22_367
; %bb.366:
	v_cvt_f32_f16_e32 v4, v3
	v_mov_b32_e32 v5, 0
	global_store_dwordx2 v[0:1], v[4:5], off
.LBB22_367:
	s_mov_b64 s[20:21], 0
.LBB22_368:
	s_andn2_b64 vcc, exec, s[20:21]
	s_cbranch_vccnz .LBB22_370
; %bb.369:
	v_and_b32_e32 v4, 0xffff, v3
	global_store_dword v[0:1], v4, off
.LBB22_370:
	s_mov_b64 s[20:21], 0
.LBB22_371:
	s_andn2_b64 vcc, exec, s[20:21]
	s_cbranch_vccnz .LBB22_380
; %bb.372:
	v_mov_b32_e32 v4, 6
	v_cmp_lt_i16_sdwa s[24:25], s33, v4 src0_sel:BYTE_0 src1_sel:DWORD
	s_mov_b64 s[20:21], -1
	s_and_b64 vcc, exec, s[24:25]
	s_cbranch_vccnz .LBB22_378
; %bb.373:
	v_cmp_gt_i16_sdwa s[24:25], s33, v4 src0_sel:BYTE_0 src1_sel:DWORD
	s_and_b64 vcc, exec, s[24:25]
	s_cbranch_vccz .LBB22_375
; %bb.374:
	v_cvt_f32_f16_e32 v4, v3
	s_mov_b64 s[20:21], 0
	v_cvt_f64_f32_e32 v[4:5], v4
	global_store_dwordx2 v[0:1], v[4:5], off
.LBB22_375:
	s_andn2_b64 vcc, exec, s[20:21]
	s_cbranch_vccnz .LBB22_377
; %bb.376:
	v_cvt_f32_f16_e32 v4, v3
	global_store_dword v[0:1], v4, off
.LBB22_377:
	s_mov_b64 s[20:21], 0
.LBB22_378:
	s_andn2_b64 vcc, exec, s[20:21]
	s_cbranch_vccnz .LBB22_380
; %bb.379:
	global_store_short v[0:1], v3, off
.LBB22_380:
	s_mov_b64 s[20:21], 0
.LBB22_381:
	s_andn2_b64 vcc, exec, s[20:21]
	s_cbranch_vccnz .LBB22_397
; %bb.382:
	v_mov_b32_e32 v4, 2
	v_cmp_lt_i16_sdwa s[24:25], s33, v4 src0_sel:BYTE_0 src1_sel:DWORD
	s_mov_b64 s[20:21], -1
	s_and_b64 vcc, exec, s[24:25]
	s_cbranch_vccnz .LBB22_392
; %bb.383:
	v_mov_b32_e32 v4, 3
	v_cmp_lt_i16_sdwa s[24:25], s33, v4 src0_sel:BYTE_0 src1_sel:DWORD
	s_and_b64 vcc, exec, s[24:25]
	s_cbranch_vccnz .LBB22_389
; %bb.384:
	v_cmp_gt_i16_sdwa s[24:25], s33, v4 src0_sel:BYTE_0 src1_sel:DWORD
	s_and_b64 vcc, exec, s[24:25]
	s_cbranch_vccz .LBB22_386
; %bb.385:
	v_cvt_f32_f16_e32 v4, v3
	s_mov_b64 s[20:21], 0
	v_cvt_i32_f32_e32 v4, v4
	v_ashrrev_i32_e32 v5, 31, v4
	global_store_dwordx2 v[0:1], v[4:5], off
.LBB22_386:
	s_andn2_b64 vcc, exec, s[20:21]
	s_cbranch_vccnz .LBB22_388
; %bb.387:
	v_cvt_f32_f16_e32 v4, v3
	v_cvt_i32_f32_e32 v4, v4
	global_store_dword v[0:1], v4, off
.LBB22_388:
	s_mov_b64 s[20:21], 0
.LBB22_389:
	s_andn2_b64 vcc, exec, s[20:21]
	s_cbranch_vccnz .LBB22_391
; %bb.390:
	v_cvt_i16_f16_e32 v4, v3
	global_store_short v[0:1], v4, off
.LBB22_391:
	s_mov_b64 s[20:21], 0
.LBB22_392:
	s_andn2_b64 vcc, exec, s[20:21]
	s_cbranch_vccnz .LBB22_397
; %bb.393:
	v_mov_b32_e32 v4, 0
	v_cmp_gt_i16_sdwa s[24:25], s33, v4 src0_sel:BYTE_0 src1_sel:DWORD
	s_mov_b64 s[20:21], -1
	s_and_b64 vcc, exec, s[24:25]
	s_cbranch_vccz .LBB22_395
; %bb.394:
	v_cvt_i16_f16_e32 v4, v3
	s_mov_b64 s[20:21], 0
	global_store_byte v[0:1], v4, off
.LBB22_395:
	s_andn2_b64 vcc, exec, s[20:21]
	s_cbranch_vccnz .LBB22_397
; %bb.396:
	v_cvt_f32_f16_e32 v3, v3
	v_cvt_i32_f32_e32 v3, v3
	global_store_byte v[0:1], v3, off
.LBB22_397:
	s_mov_b64 s[20:21], -1
.LBB22_398:
	s_andn2_b64 vcc, exec, s[20:21]
	s_cbranch_vccnz .LBB22_400
; %bb.399:
	v_add_u32_e32 v2, 0x80, v2
	s_mov_b64 s[24:25], -1
	s_branch .LBB22_512
.LBB22_400:
	s_mov_b64 s[24:25], 0
                                        ; implicit-def: $vgpr2
	s_branch .LBB22_512
.LBB22_401:
	s_mov_b64 s[18:19], -1
                                        ; implicit-def: $vgpr3
.LBB22_402:
	s_mov_b64 s[20:21], 0
.LBB22_403:
	s_and_b64 vcc, exec, s[20:21]
	s_cbranch_vccz .LBB22_407
; %bb.404:
	v_cmp_eq_u16_e64 s[18:19], s43, 29
	s_and_b64 vcc, exec, s[18:19]
	s_cbranch_vccz .LBB22_406
; %bb.405:
	global_load_dwordx2 v[4:5], v[0:1], off
	s_mov_b64 s[0:1], -1
	s_mov_b64 s[18:19], 0
	s_mov_b64 s[20:21], 0
	s_waitcnt vmcnt(0)
	v_ffbh_u32_e32 v3, v5
	v_min_u32_e32 v3, 32, v3
	v_lshlrev_b64 v[4:5], v3, v[4:5]
	v_min_u32_e32 v4, 1, v4
	v_or_b32_e32 v4, v5, v4
	v_cvt_f32_u32_e32 v4, v4
	v_sub_u32_e32 v3, 32, v3
	v_ldexp_f32 v3, v4, v3
	v_cvt_f16_f32_e32 v3, v3
	s_branch .LBB22_408
.LBB22_406:
	s_mov_b64 s[18:19], -1
                                        ; implicit-def: $vgpr3
.LBB22_407:
	s_mov_b64 s[20:21], 0
.LBB22_408:
	s_and_b64 vcc, exec, s[20:21]
	s_cbranch_vccz .LBB22_426
; %bb.409:
	v_cmp_lt_i16_e64 s[0:1], s43, 27
	s_and_b64 vcc, exec, s[0:1]
	s_cbranch_vccnz .LBB22_412
; %bb.410:
	v_cmp_gt_i16_e64 s[0:1], s43, 27
	s_and_b64 vcc, exec, s[0:1]
	s_cbranch_vccz .LBB22_413
; %bb.411:
	global_load_dword v3, v[0:1], off
	s_mov_b64 s[0:1], 0
	s_waitcnt vmcnt(0)
	v_cvt_f32_u32_e32 v3, v3
	v_cvt_f16_f32_e32 v3, v3
	s_branch .LBB22_414
.LBB22_412:
	s_mov_b64 s[0:1], -1
                                        ; implicit-def: $vgpr3
	s_branch .LBB22_417
.LBB22_413:
	s_mov_b64 s[0:1], -1
                                        ; implicit-def: $vgpr3
.LBB22_414:
	s_andn2_b64 vcc, exec, s[0:1]
	s_cbranch_vccnz .LBB22_416
; %bb.415:
	global_load_ushort v3, v[0:1], off
	s_waitcnt vmcnt(0)
	v_cvt_f16_u16_e32 v3, v3
.LBB22_416:
	s_mov_b64 s[0:1], 0
.LBB22_417:
	s_andn2_b64 vcc, exec, s[0:1]
	s_cbranch_vccnz .LBB22_425
; %bb.418:
	global_load_ubyte v4, v[0:1], off
	s_movk_i32 s0, 0x7f
                                        ; implicit-def: $sgpr26
	s_waitcnt vmcnt(0)
	v_cmp_lt_i16_e32 vcc, s0, v4
	s_mov_b64 s[0:1], 0
	s_and_saveexec_b64 s[20:21], vcc
	s_xor_b64 s[20:21], exec, s[20:21]
	s_cbranch_execz .LBB22_439
; %bb.419:
	s_movk_i32 s0, 0x80
	v_cmp_eq_u16_e32 vcc, s0, v4
	s_mov_b64 s[0:1], -1
                                        ; implicit-def: $sgpr26
	s_and_saveexec_b64 s[24:25], vcc
; %bb.420:
	s_movk_i32 s26, 0x7e00
	s_xor_b64 s[0:1], exec, -1
; %bb.421:
	s_or_b64 exec, exec, s[24:25]
	s_and_b64 s[0:1], s[0:1], exec
	s_or_saveexec_b64 s[20:21], s[20:21]
	v_mov_b32_e32 v3, s26
	s_xor_b64 exec, exec, s[20:21]
	s_cbranch_execnz .LBB22_440
.LBB22_422:
	s_or_b64 exec, exec, s[20:21]
	s_and_saveexec_b64 s[20:21], s[0:1]
	s_cbranch_execz .LBB22_424
.LBB22_423:
	v_lshlrev_b32_e32 v3, 24, v4
	v_and_b32_e32 v4, 0xffff, v4
	v_and_b32_e32 v5, 7, v4
	v_ffbh_u32_e32 v7, v5
	v_min_u32_e32 v7, 32, v7
	v_subrev_u32_e32 v8, 28, v7
	v_bfe_u32 v6, v4, 3, 4
	v_lshlrev_b32_e32 v4, v8, v4
	v_sub_u32_e32 v7, 29, v7
	v_and_b32_e32 v4, 7, v4
	v_cmp_eq_u32_e32 vcc, 0, v6
	v_cndmask_b32_e32 v6, v6, v7, vcc
	v_cndmask_b32_e32 v4, v5, v4, vcc
	v_mov_b32_e32 v5, 0x3b800000
	v_lshlrev_b32_e32 v4, 20, v4
	v_and_b32_e32 v3, 0x80000000, v3
	v_lshl_add_u32 v5, v6, 23, v5
	v_or3_b32 v3, v3, v5, v4
	v_cvt_f16_f32_e32 v3, v3
.LBB22_424:
	s_or_b64 exec, exec, s[20:21]
.LBB22_425:
	s_mov_b64 s[0:1], -1
.LBB22_426:
	s_mov_b64 s[20:21], 0
.LBB22_427:
	s_and_b64 vcc, exec, s[20:21]
	s_cbranch_vccz .LBB22_462
; %bb.428:
	v_cmp_gt_i16_e64 s[20:21], s43, 22
	s_and_b64 vcc, exec, s[20:21]
	s_cbranch_vccz .LBB22_438
; %bb.429:
	v_cmp_lt_i16_e64 s[0:1], s43, 24
	s_and_b64 vcc, exec, s[0:1]
	s_cbranch_vccnz .LBB22_441
; %bb.430:
	v_cmp_gt_i16_e64 s[0:1], s43, 24
	s_and_b64 vcc, exec, s[0:1]
	s_cbranch_vccz .LBB22_442
; %bb.431:
	global_load_ubyte v4, v[0:1], off
	s_movk_i32 s0, 0x7f
                                        ; implicit-def: $sgpr26
	s_waitcnt vmcnt(0)
	v_cmp_lt_i16_e32 vcc, s0, v4
	s_mov_b64 s[0:1], 0
	s_and_saveexec_b64 s[20:21], vcc
	s_xor_b64 s[20:21], exec, s[20:21]
	s_cbranch_execz .LBB22_454
; %bb.432:
	s_movk_i32 s0, 0x80
	v_cmp_eq_u16_e32 vcc, s0, v4
	s_mov_b64 s[0:1], -1
                                        ; implicit-def: $sgpr26
	s_and_saveexec_b64 s[24:25], vcc
; %bb.433:
	s_movk_i32 s26, 0x7e00
	s_xor_b64 s[0:1], exec, -1
; %bb.434:
	s_or_b64 exec, exec, s[24:25]
	s_and_b64 s[0:1], s[0:1], exec
	s_or_saveexec_b64 s[20:21], s[20:21]
	v_mov_b32_e32 v3, s26
	s_xor_b64 exec, exec, s[20:21]
	s_cbranch_execnz .LBB22_455
.LBB22_435:
	s_or_b64 exec, exec, s[20:21]
	s_and_saveexec_b64 s[20:21], s[0:1]
	s_cbranch_execz .LBB22_437
.LBB22_436:
	v_lshlrev_b32_e32 v3, 24, v4
	v_and_b32_e32 v4, 0xffff, v4
	v_and_b32_e32 v5, 3, v4
	v_ffbh_u32_e32 v7, v5
	v_min_u32_e32 v7, 32, v7
	v_subrev_u32_e32 v8, 29, v7
	v_bfe_u32 v6, v4, 2, 5
	v_lshlrev_b32_e32 v4, v8, v4
	v_sub_u32_e32 v7, 30, v7
	v_and_b32_e32 v4, 3, v4
	v_cmp_eq_u32_e32 vcc, 0, v6
	v_cndmask_b32_e32 v6, v6, v7, vcc
	v_cndmask_b32_e32 v4, v5, v4, vcc
	v_mov_b32_e32 v5, 0x37800000
	v_lshlrev_b32_e32 v4, 21, v4
	v_and_b32_e32 v3, 0x80000000, v3
	v_lshl_add_u32 v5, v6, 23, v5
	v_or3_b32 v3, v3, v5, v4
	v_cvt_f16_f32_e32 v3, v3
.LBB22_437:
	s_or_b64 exec, exec, s[20:21]
	s_mov_b64 s[0:1], 0
	s_branch .LBB22_443
.LBB22_438:
	s_mov_b64 s[20:21], -1
                                        ; implicit-def: $vgpr3
	s_branch .LBB22_449
.LBB22_439:
	s_or_saveexec_b64 s[20:21], s[20:21]
	v_mov_b32_e32 v3, s26
	s_xor_b64 exec, exec, s[20:21]
	s_cbranch_execz .LBB22_422
.LBB22_440:
	v_cmp_ne_u16_e32 vcc, 0, v4
	s_andn2_b64 s[0:1], s[0:1], exec
	s_and_b64 s[24:25], vcc, exec
	s_or_b64 s[0:1], s[0:1], s[24:25]
	v_mov_b32_e32 v3, v4
	s_or_b64 exec, exec, s[20:21]
	s_and_saveexec_b64 s[20:21], s[0:1]
	s_cbranch_execnz .LBB22_423
	s_branch .LBB22_424
.LBB22_441:
	s_mov_b64 s[0:1], -1
                                        ; implicit-def: $vgpr3
	s_branch .LBB22_446
.LBB22_442:
	s_mov_b64 s[0:1], -1
                                        ; implicit-def: $vgpr3
.LBB22_443:
	s_and_b64 vcc, exec, s[0:1]
	s_cbranch_vccz .LBB22_445
; %bb.444:
	global_load_ubyte v3, v[0:1], off
	s_mov_b32 s0, 0x7f800000
	s_waitcnt vmcnt(0)
	v_lshlrev_b32_e32 v3, 24, v3
	v_and_b32_e32 v4, 0x7f000000, v3
	v_ffbh_u32_e32 v5, v4
	v_min_u32_e32 v5, 32, v5
	v_sub_u32_e64 v5, v5, 4 clamp
	v_lshlrev_b32_e32 v7, v5, v4
	v_lshlrev_b32_e32 v5, 23, v5
	v_lshrrev_b32_e32 v7, 4, v7
	v_add_u32_e32 v6, 0x1000000, v4
	v_sub_u32_e32 v5, v7, v5
	v_ashrrev_i32_e32 v6, 8, v6
	v_add_u32_e32 v5, 0x3c000000, v5
	v_and_or_b32 v5, v6, s0, v5
	v_cmp_ne_u32_e32 vcc, 0, v4
	v_cndmask_b32_e32 v4, 0, v5, vcc
	s_brev_b32 s0, 1
	v_and_or_b32 v3, v3, s0, v4
	v_cvt_f16_f32_e32 v3, v3
.LBB22_445:
	s_mov_b64 s[0:1], 0
.LBB22_446:
	s_andn2_b64 vcc, exec, s[0:1]
	s_cbranch_vccnz .LBB22_448
; %bb.447:
	global_load_ubyte v3, v[0:1], off
	s_movk_i32 s0, 0x7f00
	s_brev_b32 s1, 16
	s_waitcnt vmcnt(0)
	v_lshlrev_b16_e32 v4, 8, v3
	v_lshlrev_b32_e32 v3, 25, v3
	v_lshrrev_b32_e32 v5, 4, v3
	v_and_or_b32 v6, v4, s0, 0.5
	v_or_b32_e32 v5, 0x70000000, v5
	v_add_f32_e32 v6, -0.5, v6
	v_mul_f32_e32 v5, 0x7800000, v5
	v_cmp_gt_u32_e32 vcc, s1, v3
	v_bfe_i32 v4, v4, 0, 16
	v_cndmask_b32_e32 v3, v5, v6, vcc
	s_brev_b32 s0, 1
	v_and_or_b32 v3, v4, s0, v3
	v_cvt_f16_f32_e32 v3, v3
.LBB22_448:
	s_mov_b64 s[20:21], 0
	s_mov_b64 s[0:1], -1
.LBB22_449:
	s_andn2_b64 vcc, exec, s[20:21]
	s_cbranch_vccnz .LBB22_462
; %bb.450:
	v_cmp_gt_i16_e64 s[20:21], s43, 14
	s_and_b64 vcc, exec, s[20:21]
	s_cbranch_vccz .LBB22_453
; %bb.451:
	v_cmp_eq_u16_e64 s[18:19], s43, 15
	s_and_b64 vcc, exec, s[18:19]
	s_cbranch_vccz .LBB22_456
; %bb.452:
	global_load_ushort v3, v[0:1], off
	s_mov_b64 s[0:1], -1
	s_mov_b64 s[18:19], 0
	s_waitcnt vmcnt(0)
	v_lshlrev_b32_e32 v3, 16, v3
	v_cvt_f16_f32_e32 v3, v3
	s_branch .LBB22_457
.LBB22_453:
	s_mov_b64 s[20:21], -1
                                        ; implicit-def: $vgpr3
	s_branch .LBB22_458
.LBB22_454:
	s_or_saveexec_b64 s[20:21], s[20:21]
	v_mov_b32_e32 v3, s26
	s_xor_b64 exec, exec, s[20:21]
	s_cbranch_execz .LBB22_435
.LBB22_455:
	v_cmp_ne_u16_e32 vcc, 0, v4
	s_andn2_b64 s[0:1], s[0:1], exec
	s_and_b64 s[24:25], vcc, exec
	s_or_b64 s[0:1], s[0:1], s[24:25]
	v_mov_b32_e32 v3, v4
	s_or_b64 exec, exec, s[20:21]
	s_and_saveexec_b64 s[20:21], s[0:1]
	s_cbranch_execnz .LBB22_436
	s_branch .LBB22_437
.LBB22_456:
	s_mov_b64 s[18:19], -1
                                        ; implicit-def: $vgpr3
.LBB22_457:
	s_mov_b64 s[20:21], 0
.LBB22_458:
	s_and_b64 vcc, exec, s[20:21]
	s_cbranch_vccz .LBB22_462
; %bb.459:
	v_cmp_eq_u16_e64 s[18:19], s43, 11
	s_and_b64 vcc, exec, s[18:19]
	s_cbranch_vccz .LBB22_461
; %bb.460:
	global_load_ubyte v3, v[0:1], off
	v_mov_b32_e32 v4, 0x3c00
	s_mov_b64 s[0:1], -1
	s_mov_b64 s[18:19], 0
	s_waitcnt vmcnt(0)
	v_cmp_ne_u16_e32 vcc, 0, v3
	v_cndmask_b32_e32 v3, 0, v4, vcc
	s_branch .LBB22_462
.LBB22_461:
	s_mov_b64 s[18:19], -1
                                        ; implicit-def: $vgpr3
.LBB22_462:
	s_branch .LBB22_265
.LBB22_463:
	v_cmp_lt_i16_e64 s[0:1], s43, 5
	s_and_b64 vcc, exec, s[0:1]
	s_cbranch_vccnz .LBB22_468
; %bb.464:
	v_cmp_lt_i16_e64 s[0:1], s43, 8
	s_and_b64 vcc, exec, s[0:1]
	s_cbranch_vccnz .LBB22_469
; %bb.465:
	;; [unrolled: 4-line block ×3, first 2 shown]
	v_cmp_gt_i16_e64 s[0:1], s43, 9
	s_and_b64 vcc, exec, s[0:1]
	s_cbranch_vccz .LBB22_471
; %bb.467:
	global_load_dwordx2 v[4:5], v[0:1], off
	s_mov_b64 s[0:1], 0
	s_waitcnt vmcnt(0)
	v_cvt_f32_f64_e32 v3, v[4:5]
	v_cvt_f16_f32_e32 v3, v3
	s_branch .LBB22_472
.LBB22_468:
	s_mov_b64 s[0:1], -1
                                        ; implicit-def: $vgpr3
	s_branch .LBB22_490
.LBB22_469:
	s_mov_b64 s[0:1], -1
                                        ; implicit-def: $vgpr3
	s_branch .LBB22_478
.LBB22_470:
	s_mov_b64 s[0:1], -1
                                        ; implicit-def: $vgpr3
	s_branch .LBB22_475
.LBB22_471:
	s_mov_b64 s[0:1], -1
                                        ; implicit-def: $vgpr3
.LBB22_472:
	s_andn2_b64 vcc, exec, s[0:1]
	s_cbranch_vccnz .LBB22_474
; %bb.473:
	global_load_dword v3, v[0:1], off
	s_waitcnt vmcnt(0)
	v_cvt_f16_f32_e32 v3, v3
.LBB22_474:
	s_mov_b64 s[0:1], 0
.LBB22_475:
	s_andn2_b64 vcc, exec, s[0:1]
	s_cbranch_vccnz .LBB22_477
; %bb.476:
	global_load_dword v3, v[0:1], off
.LBB22_477:
	s_mov_b64 s[0:1], 0
.LBB22_478:
	s_andn2_b64 vcc, exec, s[0:1]
	s_cbranch_vccnz .LBB22_489
; %bb.479:
	v_cmp_lt_i16_e64 s[0:1], s43, 6
	s_and_b64 vcc, exec, s[0:1]
	s_cbranch_vccnz .LBB22_482
; %bb.480:
	v_cmp_gt_i16_e64 s[0:1], s43, 6
	s_and_b64 vcc, exec, s[0:1]
	s_cbranch_vccz .LBB22_483
; %bb.481:
	global_load_dwordx2 v[4:5], v[0:1], off
	s_mov_b64 s[0:1], 0
	s_waitcnt vmcnt(0)
	v_cvt_f32_f64_e32 v3, v[4:5]
	v_cvt_f16_f32_e32 v3, v3
	s_branch .LBB22_484
.LBB22_482:
	s_mov_b64 s[0:1], -1
                                        ; implicit-def: $vgpr3
	s_branch .LBB22_487
.LBB22_483:
	s_mov_b64 s[0:1], -1
                                        ; implicit-def: $vgpr3
.LBB22_484:
	s_andn2_b64 vcc, exec, s[0:1]
	s_cbranch_vccnz .LBB22_486
; %bb.485:
	global_load_dword v3, v[0:1], off
	s_waitcnt vmcnt(0)
	v_cvt_f16_f32_e32 v3, v3
.LBB22_486:
	s_mov_b64 s[0:1], 0
.LBB22_487:
	s_andn2_b64 vcc, exec, s[0:1]
	s_cbranch_vccnz .LBB22_489
; %bb.488:
	global_load_ushort v3, v[0:1], off
.LBB22_489:
	s_mov_b64 s[0:1], 0
.LBB22_490:
	s_andn2_b64 vcc, exec, s[0:1]
	s_cbranch_vccnz .LBB22_510
; %bb.491:
	v_cmp_lt_i16_e64 s[0:1], s43, 2
	s_and_b64 vcc, exec, s[0:1]
	s_cbranch_vccnz .LBB22_495
; %bb.492:
	v_cmp_lt_i16_e64 s[0:1], s43, 3
	s_and_b64 vcc, exec, s[0:1]
	s_cbranch_vccnz .LBB22_496
; %bb.493:
	v_cmp_gt_i16_e64 s[0:1], s43, 3
	s_and_b64 vcc, exec, s[0:1]
	s_cbranch_vccz .LBB22_497
; %bb.494:
	global_load_dwordx2 v[4:5], v[0:1], off
	s_mov_b64 s[0:1], 0
	s_waitcnt vmcnt(0)
	v_xor_b32_e32 v6, v4, v5
	v_ffbh_i32_e32 v3, v5
	v_ashrrev_i32_e32 v6, 31, v6
	v_add_u32_e32 v3, -1, v3
	v_add_u32_e32 v6, 32, v6
	v_min_u32_e32 v3, v3, v6
	v_lshlrev_b64 v[4:5], v3, v[4:5]
	v_min_u32_e32 v4, 1, v4
	v_or_b32_e32 v4, v5, v4
	v_cvt_f32_i32_e32 v4, v4
	v_sub_u32_e32 v3, 32, v3
	v_ldexp_f32 v3, v4, v3
	v_cvt_f16_f32_e32 v3, v3
	s_branch .LBB22_498
.LBB22_495:
	s_mov_b64 s[0:1], -1
                                        ; implicit-def: $vgpr3
	s_branch .LBB22_504
.LBB22_496:
	s_mov_b64 s[0:1], -1
                                        ; implicit-def: $vgpr3
	s_branch .LBB22_501
.LBB22_497:
	s_mov_b64 s[0:1], -1
                                        ; implicit-def: $vgpr3
.LBB22_498:
	s_andn2_b64 vcc, exec, s[0:1]
	s_cbranch_vccnz .LBB22_500
; %bb.499:
	global_load_dword v3, v[0:1], off
	s_waitcnt vmcnt(0)
	v_cvt_f32_i32_e32 v3, v3
	v_cvt_f16_f32_e32 v3, v3
.LBB22_500:
	s_mov_b64 s[0:1], 0
.LBB22_501:
	s_andn2_b64 vcc, exec, s[0:1]
	s_cbranch_vccnz .LBB22_503
; %bb.502:
	global_load_ushort v3, v[0:1], off
	s_waitcnt vmcnt(0)
	v_cvt_f16_i16_e32 v3, v3
.LBB22_503:
	s_mov_b64 s[0:1], 0
.LBB22_504:
	s_andn2_b64 vcc, exec, s[0:1]
	s_cbranch_vccnz .LBB22_510
; %bb.505:
	v_cmp_gt_i16_e64 s[0:1], s43, 0
	s_and_b64 vcc, exec, s[0:1]
	s_cbranch_vccz .LBB22_507
; %bb.506:
	global_load_sbyte v3, v[0:1], off
	s_mov_b64 s[0:1], 0
	s_waitcnt vmcnt(0)
	v_cvt_f16_i16_e32 v3, v3
	s_branch .LBB22_508
.LBB22_507:
	s_mov_b64 s[0:1], -1
                                        ; implicit-def: $vgpr3
.LBB22_508:
	s_andn2_b64 vcc, exec, s[0:1]
	s_cbranch_vccnz .LBB22_510
; %bb.509:
	global_load_ubyte v0, v[0:1], off
	s_waitcnt vmcnt(0)
	v_cvt_f16_u16_e32 v3, v0
.LBB22_510:
	s_branch .LBB22_266
.LBB22_511:
	s_mov_b64 s[24:25], 0
                                        ; implicit-def: $vgpr2
	s_mov_b64 s[0:1], s[12:13]
.LBB22_512:
	s_andn2_b64 s[20:21], s[12:13], exec
	s_and_b64 s[0:1], s[0:1], exec
	s_or_b64 s[20:21], s[20:21], s[0:1]
	s_andn2_b64 s[0:1], s[14:15], exec
	s_and_b64 s[18:19], s[18:19], exec
	s_or_b64 s[18:19], s[0:1], s[18:19]
	s_orn2_b64 s[0:1], s[24:25], exec
.LBB22_513:
	s_or_b64 exec, exec, s[22:23]
	s_mov_b64 s[24:25], 0
	s_mov_b64 s[26:27], 0
	;; [unrolled: 1-line block ×3, first 2 shown]
                                        ; implicit-def: $vgpr0_vgpr1
                                        ; implicit-def: $vgpr5
	s_and_saveexec_b64 s[22:23], s[0:1]
	s_cbranch_execz .LBB22_858
; %bb.514:
	v_cmp_gt_i32_e32 vcc, s38, v2
	s_mov_b64 s[34:35], -1
	s_mov_b64 s[0:1], s[18:19]
	s_mov_b64 s[28:29], s[20:21]
	s_and_saveexec_b64 s[24:25], vcc
	s_cbranch_execz .LBB22_772
; %bb.515:
	v_mul_lo_u32 v0, v2, s3
	v_ashrrev_i32_e32 v1, 31, v0
	s_waitcnt vmcnt(0)
	v_mov_b32_e32 v3, s11
	v_add_co_u32_e32 v0, vcc, s10, v0
	v_addc_co_u32_e32 v1, vcc, v3, v1, vcc
	v_cmp_lt_i16_e64 s[0:1], s43, 11
	s_and_b64 vcc, exec, s[0:1]
	s_cbranch_vccnz .LBB22_522
; %bb.516:
	v_cmp_gt_i16_e64 s[0:1], s43, 25
	s_and_b64 vcc, exec, s[0:1]
	s_cbranch_vccz .LBB22_523
; %bb.517:
	v_cmp_gt_i16_e64 s[0:1], s43, 28
	s_and_b64 vcc, exec, s[0:1]
	s_cbranch_vccz .LBB22_524
	;; [unrolled: 4-line block ×4, first 2 shown]
; %bb.520:
	v_cmp_eq_u16_e64 s[0:1], s43, 46
	s_mov_b64 s[28:29], 0
	s_and_b64 vcc, exec, s[0:1]
	s_cbranch_vccz .LBB22_531
; %bb.521:
	global_load_dword v3, v[0:1], off
	s_mov_b64 s[0:1], -1
	s_waitcnt vmcnt(0)
	v_lshlrev_b32_e32 v3, 16, v3
	v_cvt_f16_f32_e32 v3, v3
	s_branch .LBB22_532
.LBB22_522:
	s_mov_b64 s[28:29], -1
	s_mov_b64 s[0:1], 0
                                        ; implicit-def: $vgpr3
	s_mov_b64 s[26:27], s[18:19]
	s_branch .LBB22_597
.LBB22_523:
	s_mov_b64 s[28:29], -1
	s_mov_b64 s[0:1], 0
	s_mov_b64 s[26:27], s[18:19]
                                        ; implicit-def: $vgpr3
	s_branch .LBB22_561
.LBB22_524:
	s_mov_b64 s[28:29], -1
	s_mov_b64 s[0:1], 0
	s_mov_b64 s[26:27], s[18:19]
                                        ; implicit-def: $vgpr3
	s_branch .LBB22_542
.LBB22_525:
	s_mov_b64 s[28:29], -1
	s_mov_b64 s[0:1], 0
	s_mov_b64 s[26:27], s[18:19]
                                        ; implicit-def: $vgpr3
	s_branch .LBB22_537
.LBB22_526:
	s_or_saveexec_b64 s[26:27], s[26:27]
                                        ; implicit-def: $sgpr28
	s_xor_b64 exec, exec, s[26:27]
	s_cbranch_execz .LBB22_311
.LBB22_527:
	s_mov_b32 s28, 0x46000000
	v_add_f32_e64 v5, |v4|, s28
	v_and_b32_e32 v5, 0xff, v5
	v_cmp_ne_u32_e32 vcc, 0, v5
	s_andn2_b64 s[24:25], s[24:25], exec
	s_and_b64 s[30:31], vcc, exec
	s_mov_b32 s28, 0
	s_or_b64 s[24:25], s[24:25], s[30:31]
	s_or_b64 exec, exec, s[26:27]
	v_mov_b32_e32 v6, s28
	s_and_saveexec_b64 s[26:27], s[24:25]
	s_cbranch_execnz .LBB22_312
	s_branch .LBB22_313
.LBB22_528:
	s_mov_b64 s[28:29], -1
	s_mov_b64 s[0:1], 0
	s_mov_b64 s[26:27], s[18:19]
                                        ; implicit-def: $vgpr3
	s_branch .LBB22_532
.LBB22_529:
	s_or_saveexec_b64 s[26:27], s[26:27]
                                        ; implicit-def: $sgpr28
	s_xor_b64 exec, exec, s[26:27]
	s_cbranch_execz .LBB22_324
.LBB22_530:
	s_mov_b32 s28, 0x42800000
	v_add_f32_e64 v5, |v4|, s28
	v_and_b32_e32 v5, 0xff, v5
	v_cmp_ne_u32_e32 vcc, 0, v5
	s_andn2_b64 s[24:25], s[24:25], exec
	s_and_b64 s[30:31], vcc, exec
	s_mov_b32 s28, 0
	s_or_b64 s[24:25], s[24:25], s[30:31]
	s_or_b64 exec, exec, s[26:27]
	v_mov_b32_e32 v6, s28
	s_and_saveexec_b64 s[26:27], s[24:25]
	s_cbranch_execnz .LBB22_325
	s_branch .LBB22_326
.LBB22_531:
	s_mov_b64 s[26:27], -1
                                        ; implicit-def: $vgpr3
	s_mov_b64 s[0:1], 0
.LBB22_532:
	s_and_b64 vcc, exec, s[28:29]
	s_cbranch_vccz .LBB22_536
; %bb.533:
	v_cmp_eq_u16_e64 s[26:27], s43, 44
	s_and_b64 vcc, exec, s[26:27]
	s_cbranch_vccz .LBB22_535
; %bb.534:
	global_load_ubyte v3, v[0:1], off
	s_movk_i32 s26, 0xff
	v_mov_b32_e32 v5, 0x7e00
	s_mov_b64 s[0:1], -1
	s_waitcnt vmcnt(0)
	v_lshlrev_b32_e32 v4, 23, v3
	v_cvt_f16_f32_e32 v4, v4
	v_cmp_ne_u32_e32 vcc, s26, v3
	s_mov_b64 s[26:27], 0
	v_cndmask_b32_e32 v4, v5, v4, vcc
	v_cmp_ne_u32_e32 vcc, 0, v3
	v_cndmask_b32_e32 v3, 0, v4, vcc
	s_branch .LBB22_536
.LBB22_535:
	s_mov_b64 s[26:27], -1
                                        ; implicit-def: $vgpr3
.LBB22_536:
	s_mov_b64 s[28:29], 0
.LBB22_537:
	s_and_b64 vcc, exec, s[28:29]
	s_cbranch_vccz .LBB22_541
; %bb.538:
	v_cmp_eq_u16_e64 s[26:27], s43, 29
	s_and_b64 vcc, exec, s[26:27]
	s_cbranch_vccz .LBB22_540
; %bb.539:
	global_load_dwordx2 v[4:5], v[0:1], off
	s_mov_b64 s[0:1], -1
	s_mov_b64 s[26:27], 0
	s_mov_b64 s[28:29], 0
	s_waitcnt vmcnt(0)
	v_ffbh_u32_e32 v3, v5
	v_min_u32_e32 v3, 32, v3
	v_lshlrev_b64 v[4:5], v3, v[4:5]
	v_min_u32_e32 v4, 1, v4
	v_or_b32_e32 v4, v5, v4
	v_cvt_f32_u32_e32 v4, v4
	v_sub_u32_e32 v3, 32, v3
	v_ldexp_f32 v3, v4, v3
	v_cvt_f16_f32_e32 v3, v3
	s_branch .LBB22_542
.LBB22_540:
	s_mov_b64 s[26:27], -1
                                        ; implicit-def: $vgpr3
.LBB22_541:
	s_mov_b64 s[28:29], 0
.LBB22_542:
	s_and_b64 vcc, exec, s[28:29]
	s_cbranch_vccz .LBB22_560
; %bb.543:
	v_cmp_lt_i16_e64 s[0:1], s43, 27
	s_and_b64 vcc, exec, s[0:1]
	s_cbranch_vccnz .LBB22_546
; %bb.544:
	v_cmp_gt_i16_e64 s[0:1], s43, 27
	s_and_b64 vcc, exec, s[0:1]
	s_cbranch_vccz .LBB22_547
; %bb.545:
	global_load_dword v3, v[0:1], off
	s_mov_b64 s[0:1], 0
	s_waitcnt vmcnt(0)
	v_cvt_f32_u32_e32 v3, v3
	v_cvt_f16_f32_e32 v3, v3
	s_branch .LBB22_548
.LBB22_546:
	s_mov_b64 s[0:1], -1
                                        ; implicit-def: $vgpr3
	s_branch .LBB22_551
.LBB22_547:
	s_mov_b64 s[0:1], -1
                                        ; implicit-def: $vgpr3
.LBB22_548:
	s_andn2_b64 vcc, exec, s[0:1]
	s_cbranch_vccnz .LBB22_550
; %bb.549:
	global_load_ushort v3, v[0:1], off
	s_waitcnt vmcnt(0)
	v_cvt_f16_u16_e32 v3, v3
.LBB22_550:
	s_mov_b64 s[0:1], 0
.LBB22_551:
	s_andn2_b64 vcc, exec, s[0:1]
	s_cbranch_vccnz .LBB22_559
; %bb.552:
	global_load_ubyte v4, v[0:1], off
	s_movk_i32 s0, 0x7f
                                        ; implicit-def: $sgpr34
	s_waitcnt vmcnt(0)
	v_cmp_lt_i16_e32 vcc, s0, v4
	s_mov_b64 s[0:1], 0
	s_and_saveexec_b64 s[28:29], vcc
	s_xor_b64 s[28:29], exec, s[28:29]
	s_cbranch_execz .LBB22_573
; %bb.553:
	s_movk_i32 s0, 0x80
	v_cmp_eq_u16_e32 vcc, s0, v4
	s_mov_b64 s[0:1], -1
                                        ; implicit-def: $sgpr34
	s_and_saveexec_b64 s[30:31], vcc
; %bb.554:
	s_movk_i32 s34, 0x7e00
	s_xor_b64 s[0:1], exec, -1
; %bb.555:
	s_or_b64 exec, exec, s[30:31]
	s_and_b64 s[0:1], s[0:1], exec
	s_or_saveexec_b64 s[28:29], s[28:29]
	v_mov_b32_e32 v3, s34
	s_xor_b64 exec, exec, s[28:29]
	s_cbranch_execnz .LBB22_574
.LBB22_556:
	s_or_b64 exec, exec, s[28:29]
	s_and_saveexec_b64 s[28:29], s[0:1]
	s_cbranch_execz .LBB22_558
.LBB22_557:
	v_lshlrev_b32_e32 v3, 24, v4
	v_and_b32_e32 v4, 0xffff, v4
	v_and_b32_e32 v5, 7, v4
	v_ffbh_u32_e32 v7, v5
	v_min_u32_e32 v7, 32, v7
	v_subrev_u32_e32 v8, 28, v7
	v_bfe_u32 v6, v4, 3, 4
	v_lshlrev_b32_e32 v4, v8, v4
	v_sub_u32_e32 v7, 29, v7
	v_and_b32_e32 v4, 7, v4
	v_cmp_eq_u32_e32 vcc, 0, v6
	v_cndmask_b32_e32 v6, v6, v7, vcc
	v_cndmask_b32_e32 v4, v5, v4, vcc
	v_mov_b32_e32 v5, 0x3b800000
	v_lshlrev_b32_e32 v4, 20, v4
	v_and_b32_e32 v3, 0x80000000, v3
	v_lshl_add_u32 v5, v6, 23, v5
	v_or3_b32 v3, v3, v5, v4
	v_cvt_f16_f32_e32 v3, v3
.LBB22_558:
	s_or_b64 exec, exec, s[28:29]
.LBB22_559:
	s_mov_b64 s[0:1], -1
.LBB22_560:
	s_mov_b64 s[28:29], 0
.LBB22_561:
	s_and_b64 vcc, exec, s[28:29]
	s_cbranch_vccz .LBB22_596
; %bb.562:
	v_cmp_gt_i16_e64 s[28:29], s43, 22
	s_and_b64 vcc, exec, s[28:29]
	s_cbranch_vccz .LBB22_572
; %bb.563:
	v_cmp_lt_i16_e64 s[0:1], s43, 24
	s_and_b64 vcc, exec, s[0:1]
	s_cbranch_vccnz .LBB22_575
; %bb.564:
	v_cmp_gt_i16_e64 s[0:1], s43, 24
	s_and_b64 vcc, exec, s[0:1]
	s_cbranch_vccz .LBB22_576
; %bb.565:
	global_load_ubyte v4, v[0:1], off
	s_movk_i32 s0, 0x7f
                                        ; implicit-def: $sgpr34
	s_waitcnt vmcnt(0)
	v_cmp_lt_i16_e32 vcc, s0, v4
	s_mov_b64 s[0:1], 0
	s_and_saveexec_b64 s[28:29], vcc
	s_xor_b64 s[28:29], exec, s[28:29]
	s_cbranch_execz .LBB22_588
; %bb.566:
	s_movk_i32 s0, 0x80
	v_cmp_eq_u16_e32 vcc, s0, v4
	s_mov_b64 s[0:1], -1
                                        ; implicit-def: $sgpr34
	s_and_saveexec_b64 s[30:31], vcc
; %bb.567:
	s_movk_i32 s34, 0x7e00
	s_xor_b64 s[0:1], exec, -1
; %bb.568:
	s_or_b64 exec, exec, s[30:31]
	s_and_b64 s[0:1], s[0:1], exec
	s_or_saveexec_b64 s[28:29], s[28:29]
	v_mov_b32_e32 v3, s34
	s_xor_b64 exec, exec, s[28:29]
	s_cbranch_execnz .LBB22_589
.LBB22_569:
	s_or_b64 exec, exec, s[28:29]
	s_and_saveexec_b64 s[28:29], s[0:1]
	s_cbranch_execz .LBB22_571
.LBB22_570:
	v_lshlrev_b32_e32 v3, 24, v4
	v_and_b32_e32 v4, 0xffff, v4
	v_and_b32_e32 v5, 3, v4
	v_ffbh_u32_e32 v7, v5
	v_min_u32_e32 v7, 32, v7
	v_subrev_u32_e32 v8, 29, v7
	v_bfe_u32 v6, v4, 2, 5
	v_lshlrev_b32_e32 v4, v8, v4
	v_sub_u32_e32 v7, 30, v7
	v_and_b32_e32 v4, 3, v4
	v_cmp_eq_u32_e32 vcc, 0, v6
	v_cndmask_b32_e32 v6, v6, v7, vcc
	v_cndmask_b32_e32 v4, v5, v4, vcc
	v_mov_b32_e32 v5, 0x37800000
	v_lshlrev_b32_e32 v4, 21, v4
	v_and_b32_e32 v3, 0x80000000, v3
	v_lshl_add_u32 v5, v6, 23, v5
	v_or3_b32 v3, v3, v5, v4
	v_cvt_f16_f32_e32 v3, v3
.LBB22_571:
	s_or_b64 exec, exec, s[28:29]
	s_mov_b64 s[0:1], 0
	s_branch .LBB22_577
.LBB22_572:
	s_mov_b64 s[28:29], -1
                                        ; implicit-def: $vgpr3
	s_branch .LBB22_583
.LBB22_573:
	s_or_saveexec_b64 s[28:29], s[28:29]
	v_mov_b32_e32 v3, s34
	s_xor_b64 exec, exec, s[28:29]
	s_cbranch_execz .LBB22_556
.LBB22_574:
	v_cmp_ne_u16_e32 vcc, 0, v4
	s_andn2_b64 s[0:1], s[0:1], exec
	s_and_b64 s[30:31], vcc, exec
	s_or_b64 s[0:1], s[0:1], s[30:31]
	v_mov_b32_e32 v3, v4
	s_or_b64 exec, exec, s[28:29]
	s_and_saveexec_b64 s[28:29], s[0:1]
	s_cbranch_execnz .LBB22_557
	s_branch .LBB22_558
.LBB22_575:
	s_mov_b64 s[0:1], -1
                                        ; implicit-def: $vgpr3
	s_branch .LBB22_580
.LBB22_576:
	s_mov_b64 s[0:1], -1
                                        ; implicit-def: $vgpr3
.LBB22_577:
	s_and_b64 vcc, exec, s[0:1]
	s_cbranch_vccz .LBB22_579
; %bb.578:
	global_load_ubyte v3, v[0:1], off
	s_mov_b32 s0, 0x7f800000
	s_waitcnt vmcnt(0)
	v_lshlrev_b32_e32 v3, 24, v3
	v_and_b32_e32 v4, 0x7f000000, v3
	v_ffbh_u32_e32 v5, v4
	v_min_u32_e32 v5, 32, v5
	v_sub_u32_e64 v5, v5, 4 clamp
	v_lshlrev_b32_e32 v7, v5, v4
	v_lshlrev_b32_e32 v5, 23, v5
	v_lshrrev_b32_e32 v7, 4, v7
	v_add_u32_e32 v6, 0x1000000, v4
	v_sub_u32_e32 v5, v7, v5
	v_ashrrev_i32_e32 v6, 8, v6
	v_add_u32_e32 v5, 0x3c000000, v5
	v_and_or_b32 v5, v6, s0, v5
	v_cmp_ne_u32_e32 vcc, 0, v4
	v_cndmask_b32_e32 v4, 0, v5, vcc
	s_brev_b32 s0, 1
	v_and_or_b32 v3, v3, s0, v4
	v_cvt_f16_f32_e32 v3, v3
.LBB22_579:
	s_mov_b64 s[0:1], 0
.LBB22_580:
	s_andn2_b64 vcc, exec, s[0:1]
	s_cbranch_vccnz .LBB22_582
; %bb.581:
	global_load_ubyte v3, v[0:1], off
	s_movk_i32 s0, 0x7f00
	s_brev_b32 s1, 16
	s_waitcnt vmcnt(0)
	v_lshlrev_b16_e32 v4, 8, v3
	v_lshlrev_b32_e32 v3, 25, v3
	v_lshrrev_b32_e32 v5, 4, v3
	v_and_or_b32 v6, v4, s0, 0.5
	v_or_b32_e32 v5, 0x70000000, v5
	v_add_f32_e32 v6, -0.5, v6
	v_mul_f32_e32 v5, 0x7800000, v5
	v_cmp_gt_u32_e32 vcc, s1, v3
	v_bfe_i32 v4, v4, 0, 16
	v_cndmask_b32_e32 v3, v5, v6, vcc
	s_brev_b32 s0, 1
	v_and_or_b32 v3, v4, s0, v3
	v_cvt_f16_f32_e32 v3, v3
.LBB22_582:
	s_mov_b64 s[28:29], 0
	s_mov_b64 s[0:1], -1
.LBB22_583:
	s_andn2_b64 vcc, exec, s[28:29]
	s_cbranch_vccnz .LBB22_596
; %bb.584:
	v_cmp_gt_i16_e64 s[28:29], s43, 14
	s_and_b64 vcc, exec, s[28:29]
	s_cbranch_vccz .LBB22_587
; %bb.585:
	v_cmp_eq_u16_e64 s[26:27], s43, 15
	s_and_b64 vcc, exec, s[26:27]
	s_cbranch_vccz .LBB22_590
; %bb.586:
	global_load_ushort v3, v[0:1], off
	s_mov_b64 s[0:1], -1
	s_mov_b64 s[26:27], 0
	s_waitcnt vmcnt(0)
	v_lshlrev_b32_e32 v3, 16, v3
	v_cvt_f16_f32_e32 v3, v3
	s_branch .LBB22_591
.LBB22_587:
	s_mov_b64 s[28:29], -1
                                        ; implicit-def: $vgpr3
	s_branch .LBB22_592
.LBB22_588:
	s_or_saveexec_b64 s[28:29], s[28:29]
	v_mov_b32_e32 v3, s34
	s_xor_b64 exec, exec, s[28:29]
	s_cbranch_execz .LBB22_569
.LBB22_589:
	v_cmp_ne_u16_e32 vcc, 0, v4
	s_andn2_b64 s[0:1], s[0:1], exec
	s_and_b64 s[30:31], vcc, exec
	s_or_b64 s[0:1], s[0:1], s[30:31]
	v_mov_b32_e32 v3, v4
	s_or_b64 exec, exec, s[28:29]
	s_and_saveexec_b64 s[28:29], s[0:1]
	s_cbranch_execnz .LBB22_570
	s_branch .LBB22_571
.LBB22_590:
	s_mov_b64 s[26:27], -1
                                        ; implicit-def: $vgpr3
.LBB22_591:
	s_mov_b64 s[28:29], 0
.LBB22_592:
	s_and_b64 vcc, exec, s[28:29]
	s_cbranch_vccz .LBB22_596
; %bb.593:
	v_cmp_eq_u16_e64 s[26:27], s43, 11
	s_and_b64 vcc, exec, s[26:27]
	s_cbranch_vccz .LBB22_595
; %bb.594:
	global_load_ubyte v3, v[0:1], off
	v_mov_b32_e32 v4, 0x3c00
	s_mov_b64 s[0:1], -1
	s_mov_b64 s[26:27], 0
	s_waitcnt vmcnt(0)
	v_cmp_ne_u16_e32 vcc, 0, v3
	v_cndmask_b32_e32 v3, 0, v4, vcc
	s_branch .LBB22_596
.LBB22_595:
	s_mov_b64 s[26:27], -1
                                        ; implicit-def: $vgpr3
.LBB22_596:
	s_mov_b64 s[28:29], 0
.LBB22_597:
	s_and_b64 vcc, exec, s[28:29]
	s_cbranch_vccz .LBB22_646
; %bb.598:
	v_cmp_lt_i16_e64 s[0:1], s43, 5
	s_and_b64 vcc, exec, s[0:1]
	s_cbranch_vccnz .LBB22_603
; %bb.599:
	v_cmp_lt_i16_e64 s[0:1], s43, 8
	s_and_b64 vcc, exec, s[0:1]
	s_cbranch_vccnz .LBB22_604
	;; [unrolled: 4-line block ×3, first 2 shown]
; %bb.601:
	v_cmp_gt_i16_e64 s[0:1], s43, 9
	s_and_b64 vcc, exec, s[0:1]
	s_cbranch_vccz .LBB22_606
; %bb.602:
	global_load_dwordx2 v[4:5], v[0:1], off
	s_mov_b64 s[0:1], 0
	s_waitcnt vmcnt(0)
	v_cvt_f32_f64_e32 v3, v[4:5]
	v_cvt_f16_f32_e32 v3, v3
	s_branch .LBB22_607
.LBB22_603:
	s_mov_b64 s[0:1], -1
                                        ; implicit-def: $vgpr3
	s_branch .LBB22_625
.LBB22_604:
	s_mov_b64 s[0:1], -1
                                        ; implicit-def: $vgpr3
	s_branch .LBB22_613
.LBB22_605:
	s_mov_b64 s[0:1], -1
                                        ; implicit-def: $vgpr3
	s_branch .LBB22_610
.LBB22_606:
	s_mov_b64 s[0:1], -1
                                        ; implicit-def: $vgpr3
.LBB22_607:
	s_andn2_b64 vcc, exec, s[0:1]
	s_cbranch_vccnz .LBB22_609
; %bb.608:
	global_load_dword v3, v[0:1], off
	s_waitcnt vmcnt(0)
	v_cvt_f16_f32_e32 v3, v3
.LBB22_609:
	s_mov_b64 s[0:1], 0
.LBB22_610:
	s_andn2_b64 vcc, exec, s[0:1]
	s_cbranch_vccnz .LBB22_612
; %bb.611:
	global_load_dword v3, v[0:1], off
.LBB22_612:
	s_mov_b64 s[0:1], 0
.LBB22_613:
	s_andn2_b64 vcc, exec, s[0:1]
	s_cbranch_vccnz .LBB22_624
; %bb.614:
	v_cmp_lt_i16_e64 s[0:1], s43, 6
	s_and_b64 vcc, exec, s[0:1]
	s_cbranch_vccnz .LBB22_617
; %bb.615:
	v_cmp_gt_i16_e64 s[0:1], s43, 6
	s_and_b64 vcc, exec, s[0:1]
	s_cbranch_vccz .LBB22_618
; %bb.616:
	global_load_dwordx2 v[4:5], v[0:1], off
	s_mov_b64 s[0:1], 0
	s_waitcnt vmcnt(0)
	v_cvt_f32_f64_e32 v3, v[4:5]
	v_cvt_f16_f32_e32 v3, v3
	s_branch .LBB22_619
.LBB22_617:
	s_mov_b64 s[0:1], -1
                                        ; implicit-def: $vgpr3
	s_branch .LBB22_622
.LBB22_618:
	s_mov_b64 s[0:1], -1
                                        ; implicit-def: $vgpr3
.LBB22_619:
	s_andn2_b64 vcc, exec, s[0:1]
	s_cbranch_vccnz .LBB22_621
; %bb.620:
	global_load_dword v3, v[0:1], off
	s_waitcnt vmcnt(0)
	v_cvt_f16_f32_e32 v3, v3
.LBB22_621:
	s_mov_b64 s[0:1], 0
.LBB22_622:
	s_andn2_b64 vcc, exec, s[0:1]
	s_cbranch_vccnz .LBB22_624
; %bb.623:
	global_load_ushort v3, v[0:1], off
.LBB22_624:
	s_mov_b64 s[0:1], 0
.LBB22_625:
	s_andn2_b64 vcc, exec, s[0:1]
	s_cbranch_vccnz .LBB22_645
; %bb.626:
	v_cmp_lt_i16_e64 s[0:1], s43, 2
	s_and_b64 vcc, exec, s[0:1]
	s_cbranch_vccnz .LBB22_630
; %bb.627:
	v_cmp_lt_i16_e64 s[0:1], s43, 3
	s_and_b64 vcc, exec, s[0:1]
	s_cbranch_vccnz .LBB22_631
; %bb.628:
	v_cmp_gt_i16_e64 s[0:1], s43, 3
	s_and_b64 vcc, exec, s[0:1]
	s_cbranch_vccz .LBB22_632
; %bb.629:
	global_load_dwordx2 v[4:5], v[0:1], off
	s_mov_b64 s[0:1], 0
	s_waitcnt vmcnt(0)
	v_xor_b32_e32 v6, v4, v5
	v_ffbh_i32_e32 v3, v5
	v_ashrrev_i32_e32 v6, 31, v6
	v_add_u32_e32 v3, -1, v3
	v_add_u32_e32 v6, 32, v6
	v_min_u32_e32 v3, v3, v6
	v_lshlrev_b64 v[4:5], v3, v[4:5]
	v_min_u32_e32 v4, 1, v4
	v_or_b32_e32 v4, v5, v4
	v_cvt_f32_i32_e32 v4, v4
	v_sub_u32_e32 v3, 32, v3
	v_ldexp_f32 v3, v4, v3
	v_cvt_f16_f32_e32 v3, v3
	s_branch .LBB22_633
.LBB22_630:
	s_mov_b64 s[0:1], -1
                                        ; implicit-def: $vgpr3
	s_branch .LBB22_639
.LBB22_631:
	s_mov_b64 s[0:1], -1
                                        ; implicit-def: $vgpr3
	s_branch .LBB22_636
.LBB22_632:
	s_mov_b64 s[0:1], -1
                                        ; implicit-def: $vgpr3
.LBB22_633:
	s_andn2_b64 vcc, exec, s[0:1]
	s_cbranch_vccnz .LBB22_635
; %bb.634:
	global_load_dword v3, v[0:1], off
	s_waitcnt vmcnt(0)
	v_cvt_f32_i32_e32 v3, v3
	v_cvt_f16_f32_e32 v3, v3
.LBB22_635:
	s_mov_b64 s[0:1], 0
.LBB22_636:
	s_andn2_b64 vcc, exec, s[0:1]
	s_cbranch_vccnz .LBB22_638
; %bb.637:
	global_load_ushort v3, v[0:1], off
	s_waitcnt vmcnt(0)
	v_cvt_f16_i16_e32 v3, v3
.LBB22_638:
	s_mov_b64 s[0:1], 0
.LBB22_639:
	s_andn2_b64 vcc, exec, s[0:1]
	s_cbranch_vccnz .LBB22_645
; %bb.640:
	v_cmp_gt_i16_e64 s[0:1], s43, 0
	s_and_b64 vcc, exec, s[0:1]
	s_cbranch_vccz .LBB22_642
; %bb.641:
	global_load_sbyte v3, v[0:1], off
	s_mov_b64 s[0:1], 0
	s_waitcnt vmcnt(0)
	v_cvt_f16_i16_e32 v3, v3
	s_branch .LBB22_643
.LBB22_642:
	s_mov_b64 s[0:1], -1
                                        ; implicit-def: $vgpr3
.LBB22_643:
	s_andn2_b64 vcc, exec, s[0:1]
	s_cbranch_vccnz .LBB22_645
; %bb.644:
	global_load_ubyte v0, v[0:1], off
	s_waitcnt vmcnt(0)
	v_cvt_f16_u16_e32 v3, v0
.LBB22_645:
	s_mov_b64 s[0:1], -1
.LBB22_646:
	s_andn2_b64 vcc, exec, s[0:1]
	s_cbranch_vccnz .LBB22_654
; %bb.647:
	s_waitcnt vmcnt(0)
	v_cmp_nge_f16_e64 s[0:1], v3, -s42
	v_cmp_nge_f16_e32 vcc, s42, v3
	s_or_b64 vcc, s[0:1], vcc
	v_mul_lo_u32 v0, v2, s2
	v_cndmask_b32_e32 v3, 0, v3, vcc
	v_ashrrev_i32_e32 v1, 31, v0
	v_mov_b32_e32 v4, s9
	v_add_co_u32_e32 v0, vcc, s8, v0
	v_addc_co_u32_e32 v1, vcc, v4, v1, vcc
	v_mov_b32_e32 v4, 11
	v_cmp_lt_i16_sdwa s[0:1], s33, v4 src0_sel:BYTE_0 src1_sel:DWORD
	s_and_b64 vcc, exec, s[0:1]
	s_cbranch_vccnz .LBB22_655
; %bb.648:
	v_mov_b32_e32 v4, 25
	v_cmp_gt_i16_sdwa s[0:1], s33, v4 src0_sel:BYTE_0 src1_sel:DWORD
	s_and_b64 vcc, exec, s[0:1]
	s_cbranch_vccz .LBB22_656
; %bb.649:
	v_mov_b32_e32 v4, 28
	v_cmp_gt_i16_sdwa s[0:1], s33, v4 src0_sel:BYTE_0 src1_sel:DWORD
	s_and_b64 vcc, exec, s[0:1]
	s_cbranch_vccz .LBB22_657
	;; [unrolled: 5-line block ×4, first 2 shown]
; %bb.652:
	v_mov_b32_e32 v4, 46
	v_cmp_eq_u16_sdwa s[28:29], s33, v4 src0_sel:BYTE_0 src1_sel:DWORD
	s_mov_b64 s[30:31], 0
	s_mov_b64 s[0:1], -1
	s_and_b64 vcc, exec, s[28:29]
	s_mov_b64 s[28:29], 0
	s_cbranch_vccz .LBB22_660
; %bb.653:
	v_cvt_f32_f16_e32 v4, v3
	s_movk_i32 s0, 0x7fff
	v_mov_b32_e32 v5, 0x7fc0
	v_cmp_o_f16_e32 vcc, v3, v3
	v_bfe_u32 v6, v4, 16, 1
	v_add3_u32 v4, v4, v6, s0
	v_lshrrev_b32_e32 v4, 16, v4
	v_cndmask_b32_e32 v4, v5, v4, vcc
	global_store_dword v[0:1], v4, off
	s_mov_b64 s[28:29], -1
	s_mov_b64 s[0:1], 0
	s_branch .LBB22_660
.LBB22_654:
	s_mov_b64 s[30:31], 0
                                        ; implicit-def: $vgpr2
	s_mov_b64 s[0:1], s[20:21]
	s_branch .LBB22_771
.LBB22_655:
	s_mov_b64 s[30:31], -1
	s_mov_b64 s[28:29], 0
	s_mov_b64 s[0:1], s[20:21]
	s_branch .LBB22_729
.LBB22_656:
	s_mov_b64 s[30:31], -1
	s_mov_b64 s[28:29], 0
	s_mov_b64 s[0:1], s[20:21]
	s_branch .LBB22_687
.LBB22_657:
	s_mov_b64 s[30:31], -1
	s_mov_b64 s[28:29], 0
	s_mov_b64 s[0:1], s[20:21]
	s_branch .LBB22_670
.LBB22_658:
	s_mov_b64 s[30:31], -1
	s_mov_b64 s[28:29], 0
	s_mov_b64 s[0:1], s[20:21]
	s_branch .LBB22_666
.LBB22_659:
	s_mov_b64 s[30:31], -1
	s_mov_b64 s[28:29], 0
	s_mov_b64 s[0:1], s[20:21]
.LBB22_660:
	s_and_b64 vcc, exec, s[30:31]
	s_cbranch_vccz .LBB22_665
; %bb.661:
	v_mov_b32_e32 v4, 44
	v_cmp_eq_u16_sdwa s[30:31], s33, v4 src0_sel:BYTE_0 src1_sel:DWORD
	s_mov_b64 s[0:1], -1
	s_and_b64 vcc, exec, s[30:31]
	s_cbranch_vccz .LBB22_665
; %bb.662:
	v_cvt_f32_f16_e32 v4, v3
	s_movk_i32 s0, 0xff
	v_mov_b32_e32 v6, 0xff
	v_bfe_u32 v5, v4, 23, 8
	v_cmp_ne_u32_e32 vcc, s0, v5
	s_and_saveexec_b64 s[28:29], vcc
; %bb.663:
	s_mov_b32 s0, 0x3fffff
	v_lshrrev_b32_e32 v6, 23, v4
	v_and_b32_e32 v7, 0x400000, v4
	v_and_or_b32 v4, v4, s0, v5
	v_cmp_ne_u32_e32 vcc, 0, v7
	v_cmp_ne_u32_e64 s[0:1], 0, v4
	s_and_b64 s[0:1], vcc, s[0:1]
	v_cndmask_b32_e64 v4, 0, 1, s[0:1]
	v_add_u32_e32 v6, v6, v4
; %bb.664:
	s_or_b64 exec, exec, s[28:29]
	s_mov_b64 s[28:29], -1
	s_mov_b64 s[0:1], 0
	global_store_byte v[0:1], v6, off
.LBB22_665:
	s_mov_b64 s[30:31], 0
.LBB22_666:
	s_and_b64 vcc, exec, s[30:31]
	s_cbranch_vccz .LBB22_669
; %bb.667:
	v_mov_b32_e32 v4, 29
	v_cmp_eq_u16_sdwa s[30:31], s33, v4 src0_sel:BYTE_0 src1_sel:DWORD
	s_mov_b64 s[0:1], -1
	s_and_b64 vcc, exec, s[30:31]
	s_cbranch_vccz .LBB22_669
; %bb.668:
	v_cvt_f32_f16_e32 v4, v3
	v_mov_b32_e32 v5, 0
	s_mov_b64 s[28:29], -1
	s_mov_b64 s[0:1], 0
	v_cvt_u32_f32_e32 v4, v4
	s_mov_b64 s[30:31], 0
	global_store_dwordx2 v[0:1], v[4:5], off
	s_branch .LBB22_670
.LBB22_669:
	s_mov_b64 s[30:31], 0
.LBB22_670:
	s_and_b64 vcc, exec, s[30:31]
	s_cbranch_vccz .LBB22_686
; %bb.671:
	v_mov_b32_e32 v4, 27
	v_cmp_lt_i16_sdwa s[30:31], s33, v4 src0_sel:BYTE_0 src1_sel:DWORD
	s_mov_b64 s[28:29], -1
	s_and_b64 vcc, exec, s[30:31]
	s_cbranch_vccnz .LBB22_677
; %bb.672:
	v_cmp_gt_i16_sdwa s[30:31], s33, v4 src0_sel:BYTE_0 src1_sel:DWORD
	s_and_b64 vcc, exec, s[30:31]
	s_cbranch_vccz .LBB22_674
; %bb.673:
	v_cvt_f32_f16_e32 v4, v3
	s_mov_b64 s[28:29], 0
	v_cvt_u32_f32_e32 v4, v4
	global_store_dword v[0:1], v4, off
.LBB22_674:
	s_andn2_b64 vcc, exec, s[28:29]
	s_cbranch_vccnz .LBB22_676
; %bb.675:
	v_cvt_u16_f16_e32 v4, v3
	global_store_short v[0:1], v4, off
.LBB22_676:
	s_mov_b64 s[28:29], 0
.LBB22_677:
	s_andn2_b64 vcc, exec, s[28:29]
	s_cbranch_vccnz .LBB22_685
; %bb.678:
	v_cvt_f32_f16_e32 v4, v3
	s_mov_b32 s28, 0x43800000
	v_mov_b32_e32 v6, 0x80
	v_and_b32_e32 v5, 0x7fffffff, v4
	v_cmp_gt_u32_e32 vcc, s28, v5
	s_and_saveexec_b64 s[28:29], vcc
	s_cbranch_execz .LBB22_684
; %bb.679:
	s_mov_b32 s30, 0x3bffffff
	v_cmp_lt_u32_e32 vcc, s30, v5
	s_mov_b64 s[30:31], 0
                                        ; implicit-def: $vgpr5
	s_and_saveexec_b64 s[34:35], vcc
	s_xor_b64 s[34:35], exec, s[34:35]
	s_cbranch_execz .LBB22_785
; %bb.680:
	v_bfe_u32 v5, v4, 20, 1
	s_mov_b32 s36, 0x487ffff
	v_add3_u32 v5, v4, v5, s36
	s_mov_b64 s[30:31], exec
	v_lshrrev_b32_e32 v5, 20, v5
	s_or_saveexec_b64 s[34:35], s[34:35]
                                        ; implicit-def: $sgpr36
	s_xor_b64 exec, exec, s[34:35]
	s_cbranch_execnz .LBB22_786
.LBB22_681:
	s_or_b64 exec, exec, s[34:35]
	v_mov_b32_e32 v6, s36
	s_and_saveexec_b64 s[34:35], s[30:31]
.LBB22_682:
	v_lshrrev_b32_e32 v4, 24, v4
	s_movk_i32 s30, 0x80
	v_and_or_b32 v6, v4, s30, v5
.LBB22_683:
	s_or_b64 exec, exec, s[34:35]
.LBB22_684:
	s_or_b64 exec, exec, s[28:29]
	global_store_byte v[0:1], v6, off
.LBB22_685:
	s_mov_b64 s[28:29], -1
.LBB22_686:
	s_mov_b64 s[30:31], 0
.LBB22_687:
	s_and_b64 vcc, exec, s[30:31]
	s_cbranch_vccz .LBB22_728
; %bb.688:
	v_mov_b32_e32 v4, 22
	v_cmp_gt_i16_sdwa s[34:35], s33, v4 src0_sel:BYTE_0 src1_sel:DWORD
	s_mov_b64 s[30:31], -1
	s_and_b64 vcc, exec, s[34:35]
	s_cbranch_vccz .LBB22_720
; %bb.689:
	v_mov_b32_e32 v4, 24
	v_cmp_lt_i16_sdwa s[30:31], s33, v4 src0_sel:BYTE_0 src1_sel:DWORD
	s_mov_b64 s[28:29], -1
	s_and_b64 vcc, exec, s[30:31]
	s_cbranch_vccnz .LBB22_709
; %bb.690:
	v_cmp_gt_i16_sdwa s[30:31], s33, v4 src0_sel:BYTE_0 src1_sel:DWORD
	s_and_b64 vcc, exec, s[30:31]
	s_cbranch_vccz .LBB22_698
; %bb.691:
	v_cvt_f32_f16_e32 v4, v3
	s_mov_b32 s28, 0x47800000
	v_mov_b32_e32 v6, 0x80
	v_and_b32_e32 v5, 0x7fffffff, v4
	v_cmp_gt_u32_e32 vcc, s28, v5
	s_and_saveexec_b64 s[28:29], vcc
	s_cbranch_execz .LBB22_697
; %bb.692:
	s_mov_b32 s30, 0x37ffffff
	v_cmp_lt_u32_e32 vcc, s30, v5
	s_mov_b64 s[30:31], 0
                                        ; implicit-def: $vgpr5
	s_and_saveexec_b64 s[34:35], vcc
	s_xor_b64 s[34:35], exec, s[34:35]
	s_cbranch_execz .LBB22_788
; %bb.693:
	v_bfe_u32 v5, v4, 21, 1
	s_mov_b32 s36, 0x88fffff
	v_add3_u32 v5, v4, v5, s36
	s_mov_b64 s[30:31], exec
	v_lshrrev_b32_e32 v5, 21, v5
	s_or_saveexec_b64 s[34:35], s[34:35]
                                        ; implicit-def: $sgpr36
	s_xor_b64 exec, exec, s[34:35]
	s_cbranch_execnz .LBB22_789
.LBB22_694:
	s_or_b64 exec, exec, s[34:35]
	v_mov_b32_e32 v6, s36
	s_and_saveexec_b64 s[34:35], s[30:31]
.LBB22_695:
	v_lshrrev_b32_e32 v4, 24, v4
	s_movk_i32 s30, 0x80
	v_and_or_b32 v6, v4, s30, v5
.LBB22_696:
	s_or_b64 exec, exec, s[34:35]
.LBB22_697:
	s_or_b64 exec, exec, s[28:29]
	s_mov_b64 s[28:29], 0
	global_store_byte v[0:1], v6, off
.LBB22_698:
	s_and_b64 vcc, exec, s[28:29]
	s_cbranch_vccz .LBB22_708
; %bb.699:
	v_cvt_f32_f16_e32 v4, v3
	s_mov_b32 s28, 0x43f00000
                                        ; implicit-def: $vgpr5
	v_and_b32_e32 v6, 0x7fffffff, v4
	v_cmp_gt_u32_e32 vcc, s28, v6
	s_and_saveexec_b64 s[28:29], vcc
	s_xor_b64 s[28:29], exec, s[28:29]
	s_cbranch_execz .LBB22_705
; %bb.700:
	s_mov_b32 s30, 0x3c7fffff
	v_cmp_lt_u32_e32 vcc, s30, v6
                                        ; implicit-def: $vgpr5
	s_and_saveexec_b64 s[30:31], vcc
	s_xor_b64 s[30:31], exec, s[30:31]
; %bb.701:
	v_bfe_u32 v5, v4, 20, 1
	s_mov_b32 s34, 0x407ffff
	v_add3_u32 v5, v4, v5, s34
	v_lshrrev_b32_e32 v6, 20, v5
	v_and_b32_e32 v5, 0xff00000, v5
	s_mov_b32 s34, 0x7f00000
	v_mov_b32_e32 v7, 0x7e
	v_cmp_ne_u32_e32 vcc, s34, v5
	v_cndmask_b32_e32 v5, v7, v6, vcc
; %bb.702:
	s_andn2_saveexec_b64 s[30:31], s[30:31]
; %bb.703:
	s_mov_b32 s34, 0x46800000
	v_add_f32_e64 v5, |v4|, s34
; %bb.704:
	s_or_b64 exec, exec, s[30:31]
                                        ; implicit-def: $vgpr6
.LBB22_705:
	s_andn2_saveexec_b64 s[28:29], s[28:29]
; %bb.706:
	s_mov_b32 s30, 0x7f800000
	v_mov_b32_e32 v5, 0x7e
	v_mov_b32_e32 v7, 0x7f
	v_cmp_lt_u32_e32 vcc, s30, v6
	v_cndmask_b32_e32 v5, v5, v7, vcc
; %bb.707:
	s_or_b64 exec, exec, s[28:29]
	v_lshrrev_b32_e32 v4, 24, v4
	s_movk_i32 s28, 0x80
	v_and_or_b32 v4, v4, s28, v5
	global_store_byte v[0:1], v4, off
.LBB22_708:
	s_mov_b64 s[28:29], 0
.LBB22_709:
	s_andn2_b64 vcc, exec, s[28:29]
	s_cbranch_vccnz .LBB22_719
; %bb.710:
	v_cvt_f32_f16_e32 v4, v3
	s_mov_b32 s28, 0x47800000
                                        ; implicit-def: $vgpr5
	v_and_b32_e32 v6, 0x7fffffff, v4
	v_cmp_gt_u32_e32 vcc, s28, v6
	s_and_saveexec_b64 s[28:29], vcc
	s_xor_b64 s[28:29], exec, s[28:29]
	s_cbranch_execz .LBB22_716
; %bb.711:
	s_mov_b32 s30, 0x387fffff
	v_cmp_lt_u32_e32 vcc, s30, v6
                                        ; implicit-def: $vgpr5
	s_and_saveexec_b64 s[30:31], vcc
	s_xor_b64 s[30:31], exec, s[30:31]
; %bb.712:
	v_bfe_u32 v5, v4, 21, 1
	s_mov_b32 s34, 0x80fffff
	v_add3_u32 v5, v4, v5, s34
	v_lshrrev_b32_e32 v5, 21, v5
; %bb.713:
	s_andn2_saveexec_b64 s[30:31], s[30:31]
; %bb.714:
	s_mov_b32 s34, 0x43000000
	v_add_f32_e64 v5, |v4|, s34
; %bb.715:
	s_or_b64 exec, exec, s[30:31]
                                        ; implicit-def: $vgpr6
.LBB22_716:
	s_andn2_saveexec_b64 s[28:29], s[28:29]
; %bb.717:
	s_mov_b32 s30, 0x7f800000
	v_mov_b32_e32 v5, 0x7c
	v_mov_b32_e32 v7, 0x7f
	v_cmp_lt_u32_e32 vcc, s30, v6
	v_cndmask_b32_e32 v5, v5, v7, vcc
; %bb.718:
	s_or_b64 exec, exec, s[28:29]
	v_lshrrev_b32_e32 v4, 24, v4
	s_movk_i32 s28, 0x80
	v_and_or_b32 v4, v4, s28, v5
	global_store_byte v[0:1], v4, off
.LBB22_719:
	s_mov_b64 s[30:31], 0
	s_mov_b64 s[28:29], -1
.LBB22_720:
	s_andn2_b64 vcc, exec, s[30:31]
	s_cbranch_vccnz .LBB22_728
; %bb.721:
	v_mov_b32_e32 v4, 14
	v_cmp_gt_i16_sdwa s[34:35], s33, v4 src0_sel:BYTE_0 src1_sel:DWORD
	s_mov_b64 s[30:31], -1
	s_and_b64 vcc, exec, s[34:35]
	s_cbranch_vccz .LBB22_725
; %bb.722:
	v_mov_b32_e32 v4, 15
	v_cmp_eq_u16_sdwa s[30:31], s33, v4 src0_sel:BYTE_0 src1_sel:DWORD
	s_mov_b64 s[0:1], -1
	s_and_b64 vcc, exec, s[30:31]
	s_cbranch_vccz .LBB22_724
; %bb.723:
	v_cvt_f32_f16_e32 v4, v3
	s_movk_i32 s0, 0x7fff
	v_mov_b32_e32 v5, 0x7fc0
	v_cmp_o_f16_e32 vcc, v3, v3
	v_bfe_u32 v6, v4, 16, 1
	v_add3_u32 v4, v4, v6, s0
	v_lshrrev_b32_e32 v4, 16, v4
	v_cndmask_b32_e32 v4, v5, v4, vcc
	global_store_short v[0:1], v4, off
	s_mov_b64 s[28:29], -1
	s_mov_b64 s[0:1], 0
.LBB22_724:
	s_mov_b64 s[30:31], 0
.LBB22_725:
	s_and_b64 vcc, exec, s[30:31]
	s_cbranch_vccz .LBB22_728
; %bb.726:
	v_mov_b32_e32 v4, 11
	v_cmp_eq_u16_sdwa s[30:31], s33, v4 src0_sel:BYTE_0 src1_sel:DWORD
	s_mov_b64 s[0:1], -1
	s_and_b64 vcc, exec, s[30:31]
	s_cbranch_vccz .LBB22_728
; %bb.727:
	v_and_b32_e32 v4, 0x7fff, v3
	v_cmp_ne_u16_e32 vcc, 0, v4
	v_cndmask_b32_e64 v4, 0, 1, vcc
	s_mov_b64 s[28:29], -1
	s_mov_b64 s[0:1], 0
	global_store_byte v[0:1], v4, off
.LBB22_728:
	s_mov_b64 s[30:31], 0
.LBB22_729:
	s_and_b64 vcc, exec, s[30:31]
	s_cbranch_vccz .LBB22_768
; %bb.730:
	v_mov_b32_e32 v4, 5
	v_cmp_lt_i16_sdwa s[30:31], s33, v4 src0_sel:BYTE_0 src1_sel:DWORD
	s_mov_b64 s[28:29], -1
	s_and_b64 vcc, exec, s[30:31]
	s_cbranch_vccnz .LBB22_751
; %bb.731:
	v_mov_b32_e32 v4, 8
	v_cmp_lt_i16_sdwa s[30:31], s33, v4 src0_sel:BYTE_0 src1_sel:DWORD
	s_and_b64 vcc, exec, s[30:31]
	s_cbranch_vccnz .LBB22_741
; %bb.732:
	v_mov_b32_e32 v4, 9
	v_cmp_lt_i16_sdwa s[30:31], s33, v4 src0_sel:BYTE_0 src1_sel:DWORD
	s_and_b64 vcc, exec, s[30:31]
	s_cbranch_vccnz .LBB22_738
; %bb.733:
	v_cmp_gt_i16_sdwa s[30:31], s33, v4 src0_sel:BYTE_0 src1_sel:DWORD
	s_and_b64 vcc, exec, s[30:31]
	s_cbranch_vccz .LBB22_735
; %bb.734:
	v_cvt_f32_f16_e32 v4, v3
	v_mov_b32_e32 v6, 0
	v_mov_b32_e32 v7, v6
	s_mov_b64 s[28:29], 0
	v_cvt_f64_f32_e32 v[4:5], v4
	global_store_dwordx4 v[0:1], v[4:7], off
.LBB22_735:
	s_andn2_b64 vcc, exec, s[28:29]
	s_cbranch_vccnz .LBB22_737
; %bb.736:
	v_cvt_f32_f16_e32 v4, v3
	v_mov_b32_e32 v5, 0
	global_store_dwordx2 v[0:1], v[4:5], off
.LBB22_737:
	s_mov_b64 s[28:29], 0
.LBB22_738:
	s_andn2_b64 vcc, exec, s[28:29]
	s_cbranch_vccnz .LBB22_740
; %bb.739:
	v_and_b32_e32 v4, 0xffff, v3
	global_store_dword v[0:1], v4, off
.LBB22_740:
	s_mov_b64 s[28:29], 0
.LBB22_741:
	s_andn2_b64 vcc, exec, s[28:29]
	s_cbranch_vccnz .LBB22_750
; %bb.742:
	v_mov_b32_e32 v4, 6
	v_cmp_lt_i16_sdwa s[30:31], s33, v4 src0_sel:BYTE_0 src1_sel:DWORD
	s_mov_b64 s[28:29], -1
	s_and_b64 vcc, exec, s[30:31]
	s_cbranch_vccnz .LBB22_748
; %bb.743:
	v_cmp_gt_i16_sdwa s[30:31], s33, v4 src0_sel:BYTE_0 src1_sel:DWORD
	s_and_b64 vcc, exec, s[30:31]
	s_cbranch_vccz .LBB22_745
; %bb.744:
	v_cvt_f32_f16_e32 v4, v3
	s_mov_b64 s[28:29], 0
	v_cvt_f64_f32_e32 v[4:5], v4
	global_store_dwordx2 v[0:1], v[4:5], off
.LBB22_745:
	s_andn2_b64 vcc, exec, s[28:29]
	s_cbranch_vccnz .LBB22_747
; %bb.746:
	v_cvt_f32_f16_e32 v4, v3
	global_store_dword v[0:1], v4, off
.LBB22_747:
	s_mov_b64 s[28:29], 0
.LBB22_748:
	s_andn2_b64 vcc, exec, s[28:29]
	s_cbranch_vccnz .LBB22_750
; %bb.749:
	global_store_short v[0:1], v3, off
.LBB22_750:
	s_mov_b64 s[28:29], 0
.LBB22_751:
	s_andn2_b64 vcc, exec, s[28:29]
	s_cbranch_vccnz .LBB22_767
; %bb.752:
	v_mov_b32_e32 v4, 2
	v_cmp_lt_i16_sdwa s[30:31], s33, v4 src0_sel:BYTE_0 src1_sel:DWORD
	s_mov_b64 s[28:29], -1
	s_and_b64 vcc, exec, s[30:31]
	s_cbranch_vccnz .LBB22_762
; %bb.753:
	v_mov_b32_e32 v4, 3
	v_cmp_lt_i16_sdwa s[30:31], s33, v4 src0_sel:BYTE_0 src1_sel:DWORD
	s_and_b64 vcc, exec, s[30:31]
	s_cbranch_vccnz .LBB22_759
; %bb.754:
	v_cmp_gt_i16_sdwa s[30:31], s33, v4 src0_sel:BYTE_0 src1_sel:DWORD
	s_and_b64 vcc, exec, s[30:31]
	s_cbranch_vccz .LBB22_756
; %bb.755:
	v_cvt_f32_f16_e32 v4, v3
	s_mov_b64 s[28:29], 0
	v_cvt_i32_f32_e32 v4, v4
	v_ashrrev_i32_e32 v5, 31, v4
	global_store_dwordx2 v[0:1], v[4:5], off
.LBB22_756:
	s_andn2_b64 vcc, exec, s[28:29]
	s_cbranch_vccnz .LBB22_758
; %bb.757:
	v_cvt_f32_f16_e32 v4, v3
	v_cvt_i32_f32_e32 v4, v4
	global_store_dword v[0:1], v4, off
.LBB22_758:
	s_mov_b64 s[28:29], 0
.LBB22_759:
	s_andn2_b64 vcc, exec, s[28:29]
	s_cbranch_vccnz .LBB22_761
; %bb.760:
	v_cvt_i16_f16_e32 v4, v3
	global_store_short v[0:1], v4, off
.LBB22_761:
	s_mov_b64 s[28:29], 0
.LBB22_762:
	s_andn2_b64 vcc, exec, s[28:29]
	s_cbranch_vccnz .LBB22_767
; %bb.763:
	v_mov_b32_e32 v4, 0
	v_cmp_gt_i16_sdwa s[30:31], s33, v4 src0_sel:BYTE_0 src1_sel:DWORD
	s_mov_b64 s[28:29], -1
	s_and_b64 vcc, exec, s[30:31]
	s_cbranch_vccz .LBB22_765
; %bb.764:
	v_cvt_i16_f16_e32 v4, v3
	s_mov_b64 s[28:29], 0
	global_store_byte v[0:1], v4, off
.LBB22_765:
	s_andn2_b64 vcc, exec, s[28:29]
	s_cbranch_vccnz .LBB22_767
; %bb.766:
	v_cvt_f32_f16_e32 v3, v3
	v_cvt_i32_f32_e32 v3, v3
	global_store_byte v[0:1], v3, off
.LBB22_767:
	s_mov_b64 s[28:29], -1
.LBB22_768:
	s_andn2_b64 vcc, exec, s[28:29]
	s_cbranch_vccnz .LBB22_770
; %bb.769:
	v_add_u32_e32 v2, 0x80, v2
	s_mov_b64 s[30:31], -1
	s_branch .LBB22_771
.LBB22_770:
	s_mov_b64 s[30:31], 0
                                        ; implicit-def: $vgpr2
.LBB22_771:
	s_andn2_b64 s[28:29], s[20:21], exec
	s_and_b64 s[0:1], s[0:1], exec
	s_or_b64 s[28:29], s[28:29], s[0:1]
	s_andn2_b64 s[0:1], s[18:19], exec
	s_and_b64 s[26:27], s[26:27], exec
	s_or_b64 s[0:1], s[0:1], s[26:27]
	s_orn2_b64 s[34:35], s[30:31], exec
.LBB22_772:
	s_or_b64 exec, exec, s[24:25]
	s_mov_b64 s[30:31], 0
	s_mov_b64 s[26:27], 0
	;; [unrolled: 1-line block ×3, first 2 shown]
                                        ; implicit-def: $vgpr0_vgpr1
                                        ; implicit-def: $vgpr5
	s_and_saveexec_b64 s[24:25], s[34:35]
	s_cbranch_execz .LBB22_857
; %bb.773:
	v_cmp_gt_i32_e32 vcc, s38, v2
	s_mov_b64 s[34:35], 0
	s_mov_b64 s[38:39], s[0:1]
	;; [unrolled: 1-line block ×3, first 2 shown]
                                        ; implicit-def: $vgpr0_vgpr1
                                        ; implicit-def: $vgpr5
	s_and_saveexec_b64 s[26:27], vcc
	s_cbranch_execz .LBB22_856
; %bb.774:
	v_mul_lo_u32 v0, v2, s3
	v_ashrrev_i32_e32 v1, 31, v0
	s_waitcnt vmcnt(0)
	v_mov_b32_e32 v3, s11
	v_add_co_u32_e32 v0, vcc, s10, v0
	v_addc_co_u32_e32 v1, vcc, v3, v1, vcc
	v_cmp_lt_i16_e64 s[30:31], s43, 11
	s_and_b64 vcc, exec, s[30:31]
	s_cbranch_vccnz .LBB22_781
; %bb.775:
	v_cmp_gt_i16_e64 s[30:31], s43, 25
	s_and_b64 vcc, exec, s[30:31]
	s_cbranch_vccz .LBB22_782
; %bb.776:
	v_cmp_gt_i16_e64 s[30:31], s43, 28
	s_and_b64 vcc, exec, s[30:31]
	s_cbranch_vccz .LBB22_783
	;; [unrolled: 4-line block ×4, first 2 shown]
; %bb.779:
	v_cmp_eq_u16_e64 s[30:31], s43, 46
	s_mov_b64 s[38:39], 0
	s_and_b64 vcc, exec, s[30:31]
	s_cbranch_vccz .LBB22_790
; %bb.780:
	global_load_dword v3, v[0:1], off
	s_mov_b64 s[30:31], 0
	s_mov_b64 s[36:37], -1
	s_waitcnt vmcnt(0)
	v_lshlrev_b32_e32 v3, 16, v3
	v_cvt_f16_f32_e32 v5, v3
	s_branch .LBB22_792
.LBB22_781:
	s_mov_b64 s[38:39], -1
                                        ; implicit-def: $vgpr5
	s_mov_b64 s[30:31], s[0:1]
	s_branch .LBB22_855
.LBB22_782:
	s_mov_b64 s[38:39], -1
	s_mov_b64 s[30:31], s[0:1]
                                        ; implicit-def: $vgpr5
	s_branch .LBB22_821
.LBB22_783:
	s_mov_b64 s[38:39], -1
	s_mov_b64 s[30:31], s[0:1]
                                        ; implicit-def: $vgpr5
	s_branch .LBB22_802
.LBB22_784:
	s_mov_b64 s[38:39], -1
	s_mov_b64 s[30:31], s[0:1]
                                        ; implicit-def: $vgpr5
	s_branch .LBB22_797
.LBB22_785:
	s_or_saveexec_b64 s[34:35], s[34:35]
                                        ; implicit-def: $sgpr36
	s_xor_b64 exec, exec, s[34:35]
	s_cbranch_execz .LBB22_681
.LBB22_786:
	s_mov_b32 s36, 0x46000000
	v_add_f32_e64 v5, |v4|, s36
	v_and_b32_e32 v5, 0xff, v5
	v_cmp_ne_u32_e32 vcc, 0, v5
	s_andn2_b64 s[30:31], s[30:31], exec
	s_and_b64 s[40:41], vcc, exec
	s_mov_b32 s36, 0
	s_or_b64 s[30:31], s[30:31], s[40:41]
	s_or_b64 exec, exec, s[34:35]
	v_mov_b32_e32 v6, s36
	s_and_saveexec_b64 s[34:35], s[30:31]
	s_cbranch_execnz .LBB22_682
	s_branch .LBB22_683
.LBB22_787:
	s_mov_b64 s[38:39], -1
	s_mov_b64 s[30:31], s[0:1]
	s_branch .LBB22_791
.LBB22_788:
	s_or_saveexec_b64 s[34:35], s[34:35]
                                        ; implicit-def: $sgpr36
	s_xor_b64 exec, exec, s[34:35]
	s_cbranch_execz .LBB22_694
.LBB22_789:
	s_mov_b32 s36, 0x42800000
	v_add_f32_e64 v5, |v4|, s36
	v_and_b32_e32 v5, 0xff, v5
	v_cmp_ne_u32_e32 vcc, 0, v5
	s_andn2_b64 s[30:31], s[30:31], exec
	s_and_b64 s[40:41], vcc, exec
	s_mov_b32 s36, 0
	s_or_b64 s[30:31], s[30:31], s[40:41]
	s_or_b64 exec, exec, s[34:35]
	v_mov_b32_e32 v6, s36
	s_and_saveexec_b64 s[34:35], s[30:31]
	s_cbranch_execnz .LBB22_695
	s_branch .LBB22_696
.LBB22_790:
	s_mov_b64 s[30:31], -1
.LBB22_791:
                                        ; implicit-def: $vgpr5
.LBB22_792:
	s_and_b64 vcc, exec, s[38:39]
	s_cbranch_vccz .LBB22_796
; %bb.793:
	v_cmp_eq_u16_e64 s[30:31], s43, 44
	s_and_b64 vcc, exec, s[30:31]
	s_cbranch_vccz .LBB22_795
; %bb.794:
	global_load_ubyte v3, v[0:1], off
	s_movk_i32 s36, 0xff
	v_mov_b32_e32 v5, 0x7e00
	s_mov_b64 s[30:31], 0
	s_waitcnt vmcnt(0)
	v_lshlrev_b32_e32 v4, 23, v3
	v_cvt_f16_f32_e32 v4, v4
	v_cmp_ne_u32_e32 vcc, s36, v3
	s_mov_b64 s[36:37], -1
	v_cndmask_b32_e32 v4, v5, v4, vcc
	v_cmp_ne_u32_e32 vcc, 0, v3
	v_cndmask_b32_e32 v5, 0, v4, vcc
	s_branch .LBB22_796
.LBB22_795:
	s_mov_b64 s[30:31], -1
                                        ; implicit-def: $vgpr5
.LBB22_796:
	s_mov_b64 s[38:39], 0
.LBB22_797:
	s_and_b64 vcc, exec, s[38:39]
	s_cbranch_vccz .LBB22_801
; %bb.798:
	v_cmp_eq_u16_e64 s[30:31], s43, 29
	s_and_b64 vcc, exec, s[30:31]
	s_cbranch_vccz .LBB22_800
; %bb.799:
	global_load_dwordx2 v[4:5], v[0:1], off
	s_mov_b64 s[30:31], 0
	s_mov_b64 s[36:37], -1
	s_mov_b64 s[38:39], 0
	s_waitcnt vmcnt(0)
	v_ffbh_u32_e32 v3, v5
	v_min_u32_e32 v3, 32, v3
	v_lshlrev_b64 v[4:5], v3, v[4:5]
	v_min_u32_e32 v4, 1, v4
	v_or_b32_e32 v4, v5, v4
	v_cvt_f32_u32_e32 v4, v4
	v_sub_u32_e32 v3, 32, v3
	v_ldexp_f32 v3, v4, v3
	v_cvt_f16_f32_e32 v5, v3
	s_branch .LBB22_802
.LBB22_800:
	s_mov_b64 s[30:31], -1
                                        ; implicit-def: $vgpr5
.LBB22_801:
	s_mov_b64 s[38:39], 0
.LBB22_802:
	s_and_b64 vcc, exec, s[38:39]
	s_cbranch_vccz .LBB22_820
; %bb.803:
	v_cmp_lt_i16_e64 s[36:37], s43, 27
	s_and_b64 vcc, exec, s[36:37]
	s_cbranch_vccnz .LBB22_806
; %bb.804:
	v_cmp_gt_i16_e64 s[36:37], s43, 27
	s_and_b64 vcc, exec, s[36:37]
	s_cbranch_vccz .LBB22_807
; %bb.805:
	global_load_dword v3, v[0:1], off
	s_mov_b64 s[36:37], 0
	s_waitcnt vmcnt(0)
	v_cvt_f32_u32_e32 v3, v3
	v_cvt_f16_f32_e32 v5, v3
	s_branch .LBB22_808
.LBB22_806:
	s_mov_b64 s[36:37], -1
                                        ; implicit-def: $vgpr5
	s_branch .LBB22_811
.LBB22_807:
	s_mov_b64 s[36:37], -1
                                        ; implicit-def: $vgpr5
.LBB22_808:
	s_andn2_b64 vcc, exec, s[36:37]
	s_cbranch_vccnz .LBB22_810
; %bb.809:
	global_load_ushort v3, v[0:1], off
	s_waitcnt vmcnt(0)
	v_cvt_f16_u16_e32 v5, v3
.LBB22_810:
	s_mov_b64 s[36:37], 0
.LBB22_811:
	s_andn2_b64 vcc, exec, s[36:37]
	s_cbranch_vccnz .LBB22_819
; %bb.812:
	global_load_ubyte v3, v[0:1], off
	s_movk_i32 s36, 0x7f
                                        ; implicit-def: $sgpr44
	s_waitcnt vmcnt(0)
	v_cmp_lt_i16_e32 vcc, s36, v3
	s_mov_b64 s[36:37], 0
	s_and_saveexec_b64 s[38:39], vcc
	s_xor_b64 s[38:39], exec, s[38:39]
	s_cbranch_execz .LBB22_833
; %bb.813:
	s_movk_i32 s36, 0x80
	v_cmp_eq_u16_e32 vcc, s36, v3
	s_mov_b64 s[36:37], -1
                                        ; implicit-def: $sgpr44
	s_and_saveexec_b64 s[40:41], vcc
; %bb.814:
	s_movk_i32 s44, 0x7e00
	s_xor_b64 s[36:37], exec, -1
; %bb.815:
	s_or_b64 exec, exec, s[40:41]
	s_and_b64 s[36:37], s[36:37], exec
	s_or_saveexec_b64 s[38:39], s[38:39]
	v_mov_b32_e32 v5, s44
	s_xor_b64 exec, exec, s[38:39]
	s_cbranch_execnz .LBB22_834
.LBB22_816:
	s_or_b64 exec, exec, s[38:39]
	s_and_saveexec_b64 s[38:39], s[36:37]
	s_cbranch_execz .LBB22_818
.LBB22_817:
	v_lshlrev_b32_e32 v4, 24, v3
	v_and_b32_e32 v3, 0xffff, v3
	v_and_b32_e32 v5, 7, v3
	v_ffbh_u32_e32 v7, v5
	v_min_u32_e32 v7, 32, v7
	v_subrev_u32_e32 v8, 28, v7
	v_bfe_u32 v6, v3, 3, 4
	v_lshlrev_b32_e32 v3, v8, v3
	v_sub_u32_e32 v7, 29, v7
	v_and_b32_e32 v3, 7, v3
	v_cmp_eq_u32_e32 vcc, 0, v6
	v_cndmask_b32_e32 v6, v6, v7, vcc
	v_cndmask_b32_e32 v3, v5, v3, vcc
	v_mov_b32_e32 v5, 0x3b800000
	v_lshlrev_b32_e32 v3, 20, v3
	v_and_b32_e32 v4, 0x80000000, v4
	v_lshl_add_u32 v5, v6, 23, v5
	v_or3_b32 v3, v4, v5, v3
	v_cvt_f16_f32_e32 v5, v3
.LBB22_818:
	s_or_b64 exec, exec, s[38:39]
.LBB22_819:
	s_mov_b64 s[36:37], -1
.LBB22_820:
	s_mov_b64 s[38:39], 0
.LBB22_821:
	s_and_b64 vcc, exec, s[38:39]
	s_cbranch_vccz .LBB22_854
; %bb.822:
	v_cmp_gt_i16_e64 s[34:35], s43, 22
	s_and_b64 vcc, exec, s[34:35]
	s_cbranch_vccz .LBB22_832
; %bb.823:
	v_cmp_lt_i16_e64 s[34:35], s43, 24
	s_and_b64 vcc, exec, s[34:35]
	s_cbranch_vccnz .LBB22_835
; %bb.824:
	v_cmp_gt_i16_e64 s[34:35], s43, 24
	s_and_b64 vcc, exec, s[34:35]
	s_cbranch_vccz .LBB22_836
; %bb.825:
	global_load_ubyte v3, v[0:1], off
	s_movk_i32 s34, 0x7f
                                        ; implicit-def: $sgpr40
	s_waitcnt vmcnt(0)
	v_cmp_lt_i16_e32 vcc, s34, v3
	s_mov_b64 s[34:35], 0
	s_and_saveexec_b64 s[36:37], vcc
	s_xor_b64 s[36:37], exec, s[36:37]
	s_cbranch_execz .LBB22_848
; %bb.826:
	s_movk_i32 s34, 0x80
	v_cmp_eq_u16_e32 vcc, s34, v3
	s_mov_b64 s[34:35], -1
                                        ; implicit-def: $sgpr40
	s_and_saveexec_b64 s[38:39], vcc
; %bb.827:
	s_movk_i32 s40, 0x7e00
	s_xor_b64 s[34:35], exec, -1
; %bb.828:
	s_or_b64 exec, exec, s[38:39]
	s_and_b64 s[34:35], s[34:35], exec
	s_or_saveexec_b64 s[36:37], s[36:37]
	v_mov_b32_e32 v5, s40
	s_xor_b64 exec, exec, s[36:37]
	s_cbranch_execnz .LBB22_849
.LBB22_829:
	s_or_b64 exec, exec, s[36:37]
	s_and_saveexec_b64 s[36:37], s[34:35]
	s_cbranch_execz .LBB22_831
.LBB22_830:
	v_lshlrev_b32_e32 v4, 24, v3
	v_and_b32_e32 v3, 0xffff, v3
	v_and_b32_e32 v5, 3, v3
	v_ffbh_u32_e32 v7, v5
	v_min_u32_e32 v7, 32, v7
	v_subrev_u32_e32 v8, 29, v7
	v_bfe_u32 v6, v3, 2, 5
	v_lshlrev_b32_e32 v3, v8, v3
	v_sub_u32_e32 v7, 30, v7
	v_and_b32_e32 v3, 3, v3
	v_cmp_eq_u32_e32 vcc, 0, v6
	v_cndmask_b32_e32 v6, v6, v7, vcc
	v_cndmask_b32_e32 v3, v5, v3, vcc
	v_mov_b32_e32 v5, 0x37800000
	v_lshlrev_b32_e32 v3, 21, v3
	v_and_b32_e32 v4, 0x80000000, v4
	v_lshl_add_u32 v5, v6, 23, v5
	v_or3_b32 v3, v4, v5, v3
	v_cvt_f16_f32_e32 v5, v3
.LBB22_831:
	s_or_b64 exec, exec, s[36:37]
	s_mov_b64 s[34:35], 0
	s_branch .LBB22_837
.LBB22_832:
	s_mov_b64 s[34:35], -1
                                        ; implicit-def: $vgpr5
	s_branch .LBB22_843
.LBB22_833:
	s_or_saveexec_b64 s[38:39], s[38:39]
	v_mov_b32_e32 v5, s44
	s_xor_b64 exec, exec, s[38:39]
	s_cbranch_execz .LBB22_816
.LBB22_834:
	v_cmp_ne_u16_e32 vcc, 0, v3
	s_andn2_b64 s[36:37], s[36:37], exec
	s_and_b64 s[40:41], vcc, exec
	s_or_b64 s[36:37], s[36:37], s[40:41]
	v_mov_b32_e32 v5, v3
	s_or_b64 exec, exec, s[38:39]
	s_and_saveexec_b64 s[38:39], s[36:37]
	s_cbranch_execnz .LBB22_817
	s_branch .LBB22_818
.LBB22_835:
	s_mov_b64 s[34:35], -1
                                        ; implicit-def: $vgpr5
	s_branch .LBB22_840
.LBB22_836:
	s_mov_b64 s[34:35], -1
                                        ; implicit-def: $vgpr5
.LBB22_837:
	s_and_b64 vcc, exec, s[34:35]
	s_cbranch_vccz .LBB22_839
; %bb.838:
	global_load_ubyte v3, v[0:1], off
	s_mov_b32 s34, 0x7f800000
	s_waitcnt vmcnt(0)
	v_lshlrev_b32_e32 v3, 24, v3
	v_and_b32_e32 v4, 0x7f000000, v3
	v_ffbh_u32_e32 v5, v4
	v_min_u32_e32 v5, 32, v5
	v_sub_u32_e64 v5, v5, 4 clamp
	v_lshlrev_b32_e32 v7, v5, v4
	v_lshlrev_b32_e32 v5, 23, v5
	v_lshrrev_b32_e32 v7, 4, v7
	v_add_u32_e32 v6, 0x1000000, v4
	v_sub_u32_e32 v5, v7, v5
	v_ashrrev_i32_e32 v6, 8, v6
	v_add_u32_e32 v5, 0x3c000000, v5
	v_and_or_b32 v5, v6, s34, v5
	v_cmp_ne_u32_e32 vcc, 0, v4
	v_cndmask_b32_e32 v4, 0, v5, vcc
	s_brev_b32 s34, 1
	v_and_or_b32 v3, v3, s34, v4
	v_cvt_f16_f32_e32 v5, v3
.LBB22_839:
	s_mov_b64 s[34:35], 0
.LBB22_840:
	s_andn2_b64 vcc, exec, s[34:35]
	s_cbranch_vccnz .LBB22_842
; %bb.841:
	global_load_ubyte v3, v[0:1], off
	s_movk_i32 s34, 0x7f00
	s_brev_b32 s35, 16
	s_waitcnt vmcnt(0)
	v_lshlrev_b16_e32 v4, 8, v3
	v_lshlrev_b32_e32 v3, 25, v3
	v_lshrrev_b32_e32 v5, 4, v3
	v_and_or_b32 v6, v4, s34, 0.5
	v_or_b32_e32 v5, 0x70000000, v5
	v_add_f32_e32 v6, -0.5, v6
	v_mul_f32_e32 v5, 0x7800000, v5
	v_cmp_gt_u32_e32 vcc, s35, v3
	v_bfe_i32 v4, v4, 0, 16
	v_cndmask_b32_e32 v3, v5, v6, vcc
	s_brev_b32 s34, 1
	v_and_or_b32 v3, v4, s34, v3
	v_cvt_f16_f32_e32 v5, v3
.LBB22_842:
	s_mov_b64 s[34:35], 0
	s_mov_b64 s[36:37], -1
.LBB22_843:
	s_andn2_b64 vcc, exec, s[34:35]
	s_mov_b64 s[34:35], 0
	s_cbranch_vccnz .LBB22_854
; %bb.844:
	v_cmp_gt_i16_e64 s[34:35], s43, 14
	s_and_b64 vcc, exec, s[34:35]
	s_cbranch_vccz .LBB22_847
; %bb.845:
	v_cmp_eq_u16_e64 s[30:31], s43, 15
	s_and_b64 vcc, exec, s[30:31]
	s_cbranch_vccz .LBB22_850
; %bb.846:
	global_load_ushort v3, v[0:1], off
	s_mov_b64 s[30:31], 0
	s_mov_b64 s[36:37], -1
	s_waitcnt vmcnt(0)
	v_lshlrev_b32_e32 v3, 16, v3
	v_cvt_f16_f32_e32 v5, v3
	s_branch .LBB22_851
.LBB22_847:
	s_mov_b64 s[38:39], -1
                                        ; implicit-def: $vgpr5
	s_branch .LBB22_852
.LBB22_848:
	s_or_saveexec_b64 s[36:37], s[36:37]
	v_mov_b32_e32 v5, s40
	s_xor_b64 exec, exec, s[36:37]
	s_cbranch_execz .LBB22_829
.LBB22_849:
	v_cmp_ne_u16_e32 vcc, 0, v3
	s_andn2_b64 s[34:35], s[34:35], exec
	s_and_b64 s[38:39], vcc, exec
	s_or_b64 s[34:35], s[34:35], s[38:39]
	v_mov_b32_e32 v5, v3
	s_or_b64 exec, exec, s[36:37]
	s_and_saveexec_b64 s[36:37], s[34:35]
	s_cbranch_execnz .LBB22_830
	s_branch .LBB22_831
.LBB22_850:
	s_mov_b64 s[30:31], -1
                                        ; implicit-def: $vgpr5
.LBB22_851:
	s_mov_b64 s[38:39], 0
.LBB22_852:
	s_mov_b64 s[34:35], 0
	s_and_b64 vcc, exec, s[38:39]
	s_cbranch_vccz .LBB22_854
; %bb.853:
	v_cmp_ne_u16_e64 s[38:39], s43, 11
	s_andn2_b64 s[30:31], s[30:31], exec
	s_and_b64 s[38:39], s[38:39], exec
	s_mov_b64 s[34:35], -1
	s_or_b64 s[30:31], s[30:31], s[38:39]
                                        ; implicit-def: $vgpr5
.LBB22_854:
	s_mov_b64 s[38:39], 0
.LBB22_855:
	s_and_b64 s[40:41], s[38:39], exec
	s_andn2_b64 s[38:39], s[0:1], exec
	s_and_b64 s[30:31], s[30:31], exec
	s_and_b64 s[36:37], s[36:37], exec
	;; [unrolled: 1-line block ×3, first 2 shown]
	s_or_b64 s[38:39], s[38:39], s[30:31]
.LBB22_856:
	s_or_b64 exec, exec, s[26:27]
	s_and_b64 s[30:31], s[34:35], exec
	s_andn2_b64 s[0:1], s[0:1], exec
	s_and_b64 s[34:35], s[38:39], exec
	s_and_b64 s[36:37], s[36:37], exec
	;; [unrolled: 1-line block ×3, first 2 shown]
	s_or_b64 s[0:1], s[0:1], s[34:35]
.LBB22_857:
	s_or_b64 exec, exec, s[24:25]
	s_andn2_b64 s[20:21], s[20:21], exec
	s_and_b64 s[24:25], s[28:29], exec
	s_andn2_b64 s[18:19], s[18:19], exec
	s_and_b64 s[0:1], s[0:1], exec
	s_or_b64 s[20:21], s[20:21], s[24:25]
	s_and_b64 s[28:29], s[36:37], exec
	s_and_b64 s[26:27], s[26:27], exec
	;; [unrolled: 1-line block ×3, first 2 shown]
	s_or_b64 s[18:19], s[18:19], s[0:1]
.LBB22_858:
	s_or_b64 exec, exec, s[22:23]
	s_andn2_b64 s[0:1], s[12:13], exec
	s_and_b64 s[12:13], s[20:21], exec
	s_andn2_b64 s[14:15], s[14:15], exec
	s_and_b64 s[18:19], s[18:19], exec
	s_or_b64 s[12:13], s[0:1], s[12:13]
	s_and_b64 s[0:1], s[28:29], exec
	s_and_b64 s[22:23], s[26:27], exec
	;; [unrolled: 1-line block ×3, first 2 shown]
	s_or_b64 s[14:15], s[14:15], s[18:19]
	s_or_b64 exec, exec, s[16:17]
	s_mov_b64 s[16:17], 0
	s_and_saveexec_b64 s[18:19], s[14:15]
	s_cbranch_execz .LBB22_262
.LBB22_859:
	s_mov_b64 s[16:17], exec
	s_andn2_b64 s[20:21], s[20:21], exec
	s_trap 2
                                        ; implicit-def: $vgpr5
	s_or_b64 exec, exec, s[18:19]
	s_and_saveexec_b64 s[14:15], s[20:21]
	s_xor_b64 s[14:15], exec, s[14:15]
	s_cbranch_execnz .LBB22_263
.LBB22_860:
	s_or_b64 exec, exec, s[14:15]
	s_and_saveexec_b64 s[14:15], s[22:23]
	s_cbranch_execz .LBB22_906
.LBB22_861:
	v_cmp_lt_i16_e64 s[18:19], s43, 5
	s_and_b64 vcc, exec, s[18:19]
	s_cbranch_vccnz .LBB22_866
; %bb.862:
	v_cmp_lt_i16_e64 s[18:19], s43, 8
	s_and_b64 vcc, exec, s[18:19]
	s_cbranch_vccnz .LBB22_867
; %bb.863:
	;; [unrolled: 4-line block ×3, first 2 shown]
	v_cmp_gt_i16_e64 s[18:19], s43, 9
	s_and_b64 vcc, exec, s[18:19]
	s_cbranch_vccz .LBB22_869
; %bb.865:
	global_load_dwordx2 v[4:5], v[0:1], off
	s_mov_b64 s[18:19], 0
	s_waitcnt vmcnt(0)
	v_cvt_f32_f64_e32 v3, v[4:5]
	v_cvt_f16_f32_e32 v5, v3
	s_branch .LBB22_870
.LBB22_866:
                                        ; implicit-def: $vgpr5
	s_branch .LBB22_887
.LBB22_867:
                                        ; implicit-def: $vgpr5
	s_branch .LBB22_876
.LBB22_868:
	s_mov_b64 s[18:19], -1
                                        ; implicit-def: $vgpr5
	s_branch .LBB22_873
.LBB22_869:
	s_mov_b64 s[18:19], -1
                                        ; implicit-def: $vgpr5
.LBB22_870:
	s_andn2_b64 vcc, exec, s[18:19]
	s_cbranch_vccnz .LBB22_872
; %bb.871:
	global_load_dword v3, v[0:1], off
	s_waitcnt vmcnt(0)
	v_cvt_f16_f32_e32 v5, v3
.LBB22_872:
	s_mov_b64 s[18:19], 0
.LBB22_873:
	s_andn2_b64 vcc, exec, s[18:19]
	s_cbranch_vccnz .LBB22_875
; %bb.874:
	global_load_dword v5, v[0:1], off
.LBB22_875:
	s_cbranch_execnz .LBB22_886
.LBB22_876:
	v_cmp_lt_i16_e64 s[18:19], s43, 6
	s_and_b64 vcc, exec, s[18:19]
	s_cbranch_vccnz .LBB22_879
; %bb.877:
	v_cmp_gt_i16_e64 s[18:19], s43, 6
	s_and_b64 vcc, exec, s[18:19]
	s_cbranch_vccz .LBB22_880
; %bb.878:
	global_load_dwordx2 v[4:5], v[0:1], off
	s_mov_b64 s[18:19], 0
	s_waitcnt vmcnt(0)
	v_cvt_f32_f64_e32 v3, v[4:5]
	v_cvt_f16_f32_e32 v5, v3
	s_branch .LBB22_881
.LBB22_879:
	s_mov_b64 s[18:19], -1
                                        ; implicit-def: $vgpr5
	s_branch .LBB22_884
.LBB22_880:
	s_mov_b64 s[18:19], -1
                                        ; implicit-def: $vgpr5
.LBB22_881:
	s_andn2_b64 vcc, exec, s[18:19]
	s_cbranch_vccnz .LBB22_883
; %bb.882:
	global_load_dword v3, v[0:1], off
	s_waitcnt vmcnt(0)
	v_cvt_f16_f32_e32 v5, v3
.LBB22_883:
	s_mov_b64 s[18:19], 0
.LBB22_884:
	s_andn2_b64 vcc, exec, s[18:19]
	s_cbranch_vccnz .LBB22_886
; %bb.885:
	global_load_ushort v5, v[0:1], off
.LBB22_886:
	s_cbranch_execnz .LBB22_905
.LBB22_887:
	v_cmp_lt_i16_e64 s[18:19], s43, 2
	s_and_b64 vcc, exec, s[18:19]
	s_cbranch_vccnz .LBB22_891
; %bb.888:
	v_cmp_lt_i16_e64 s[18:19], s43, 3
	s_and_b64 vcc, exec, s[18:19]
	s_cbranch_vccnz .LBB22_892
; %bb.889:
	v_cmp_gt_i16_e64 s[18:19], s43, 3
	s_and_b64 vcc, exec, s[18:19]
	s_cbranch_vccz .LBB22_893
; %bb.890:
	global_load_dwordx2 v[4:5], v[0:1], off
	s_mov_b64 s[18:19], 0
	s_waitcnt vmcnt(0)
	v_xor_b32_e32 v6, v4, v5
	v_ffbh_i32_e32 v3, v5
	v_ashrrev_i32_e32 v6, 31, v6
	v_add_u32_e32 v3, -1, v3
	v_add_u32_e32 v6, 32, v6
	v_min_u32_e32 v3, v3, v6
	v_lshlrev_b64 v[4:5], v3, v[4:5]
	v_min_u32_e32 v4, 1, v4
	v_or_b32_e32 v4, v5, v4
	v_cvt_f32_i32_e32 v4, v4
	v_sub_u32_e32 v3, 32, v3
	v_ldexp_f32 v3, v4, v3
	v_cvt_f16_f32_e32 v5, v3
	s_branch .LBB22_894
.LBB22_891:
                                        ; implicit-def: $vgpr5
	s_branch .LBB22_900
.LBB22_892:
	s_mov_b64 s[18:19], -1
                                        ; implicit-def: $vgpr5
	s_branch .LBB22_897
.LBB22_893:
	s_mov_b64 s[18:19], -1
                                        ; implicit-def: $vgpr5
.LBB22_894:
	s_andn2_b64 vcc, exec, s[18:19]
	s_cbranch_vccnz .LBB22_896
; %bb.895:
	global_load_dword v3, v[0:1], off
	s_waitcnt vmcnt(0)
	v_cvt_f32_i32_e32 v3, v3
	v_cvt_f16_f32_e32 v5, v3
.LBB22_896:
	s_mov_b64 s[18:19], 0
.LBB22_897:
	s_andn2_b64 vcc, exec, s[18:19]
	s_cbranch_vccnz .LBB22_899
; %bb.898:
	global_load_ushort v3, v[0:1], off
	s_waitcnt vmcnt(0)
	v_cvt_f16_i16_e32 v5, v3
.LBB22_899:
	s_cbranch_execnz .LBB22_905
.LBB22_900:
	v_cmp_gt_i16_e64 s[18:19], s43, 0
	s_and_b64 vcc, exec, s[18:19]
	s_cbranch_vccz .LBB22_902
; %bb.901:
	global_load_sbyte v3, v[0:1], off
	s_mov_b64 s[18:19], 0
	s_waitcnt vmcnt(0)
	v_cvt_f16_i16_e32 v5, v3
	s_branch .LBB22_903
.LBB22_902:
	s_mov_b64 s[18:19], -1
                                        ; implicit-def: $vgpr5
.LBB22_903:
	s_andn2_b64 vcc, exec, s[18:19]
	s_cbranch_vccnz .LBB22_905
; %bb.904:
	global_load_ubyte v0, v[0:1], off
	s_waitcnt vmcnt(0)
	v_cvt_f16_u16_e32 v5, v0
.LBB22_905:
	s_or_b64 s[0:1], s[0:1], exec
.LBB22_906:
	s_or_b64 exec, exec, s[14:15]
	s_mov_b64 s[20:21], 0
	s_mov_b64 s[18:19], 0
                                        ; implicit-def: $vgpr4
                                        ; implicit-def: $vgpr0_vgpr1
                                        ; implicit-def: $vgpr3
	s_and_saveexec_b64 s[14:15], s[0:1]
	s_cbranch_execz .LBB22_924
; %bb.907:
	s_waitcnt vmcnt(0)
	v_cmp_nge_f16_e64 s[0:1], v5, -s42
	v_cmp_nge_f16_e32 vcc, s42, v5
	s_or_b64 vcc, s[0:1], vcc
	v_mul_lo_u32 v0, v2, s2
	v_cndmask_b32_e32 v3, 0, v5, vcc
	v_ashrrev_i32_e32 v1, 31, v0
	v_mov_b32_e32 v2, s9
	v_add_co_u32_e32 v0, vcc, s8, v0
	v_addc_co_u32_e32 v1, vcc, v2, v1, vcc
	v_mov_b32_e32 v2, 0xff
	v_and_b32_e32 v4, s33, v2
	v_cmp_gt_i16_e32 vcc, 11, v4
	s_cbranch_vccnz .LBB22_927
; %bb.908:
	v_cmp_lt_i16_e32 vcc, 25, v4
	s_mov_b64 s[20:21], -1
	s_mov_b64 s[0:1], s[12:13]
	s_cbranch_vccz .LBB22_945
; %bb.909:
	v_cmp_lt_i16_e32 vcc, 28, v4
	s_mov_b64 s[18:19], -1
	s_mov_b64 s[0:1], s[12:13]
	s_cbranch_vccz .LBB22_929
; %bb.910:
	v_cmp_lt_i16_e32 vcc, 43, v4
	s_mov_b64 s[0:1], s[12:13]
	s_cbranch_vccz .LBB22_921
; %bb.911:
	v_cmp_lt_i16_e32 vcc, 45, v4
	s_mov_b64 s[0:1], s[12:13]
	s_cbranch_vccz .LBB22_915
; %bb.912:
	v_cmp_eq_u16_e32 vcc, 46, v4
	s_mov_b64 s[0:1], -1
	s_cbranch_vccz .LBB22_914
; %bb.913:
	v_cvt_f32_f16_e32 v2, v3
	s_movk_i32 s0, 0x7fff
	v_mov_b32_e32 v5, 0x7fc0
	v_cmp_o_f16_e32 vcc, v3, v3
	v_bfe_u32 v6, v2, 16, 1
	v_add3_u32 v2, v2, v6, s0
	v_lshrrev_b32_e32 v2, 16, v2
	v_cndmask_b32_e32 v2, v5, v2, vcc
	global_store_dword v[0:1], v2, off
	s_mov_b64 s[0:1], 0
.LBB22_914:
	s_mov_b64 s[18:19], 0
.LBB22_915:
	s_and_b64 vcc, exec, s[18:19]
	s_cbranch_vccz .LBB22_920
; %bb.916:
	v_cmp_eq_u16_e32 vcc, 44, v4
	s_mov_b64 s[0:1], -1
	s_cbranch_vccz .LBB22_920
; %bb.917:
	v_cvt_f32_f16_e32 v2, v3
	s_movk_i32 s0, 0xff
	v_mov_b32_e32 v6, 0xff
	v_bfe_u32 v5, v2, 23, 8
	v_cmp_ne_u32_e32 vcc, s0, v5
	s_and_saveexec_b64 s[18:19], vcc
; %bb.918:
	s_mov_b32 s0, 0x3fffff
	v_lshrrev_b32_e32 v6, 23, v2
	v_and_b32_e32 v7, 0x400000, v2
	v_and_or_b32 v2, v2, s0, v5
	v_cmp_ne_u32_e32 vcc, 0, v7
	v_cmp_ne_u32_e64 s[0:1], 0, v2
	s_and_b64 s[0:1], vcc, s[0:1]
	v_cndmask_b32_e64 v2, 0, 1, s[0:1]
	v_add_u32_e32 v6, v6, v2
; %bb.919:
	s_or_b64 exec, exec, s[18:19]
	s_mov_b64 s[0:1], 0
	global_store_byte v[0:1], v6, off
.LBB22_920:
	s_mov_b64 s[18:19], 0
.LBB22_921:
	s_and_b64 vcc, exec, s[18:19]
	s_cbranch_vccz .LBB22_928
; %bb.922:
	v_cmp_eq_u16_e32 vcc, 29, v4
	s_mov_b64 s[0:1], -1
	s_cbranch_vccz .LBB22_928
; %bb.923:
	v_cvt_f32_f16_e32 v2, v3
	v_mov_b32_e32 v7, 0
	s_mov_b64 s[0:1], 0
	s_mov_b64 s[18:19], 0
	v_cvt_u32_f32_e32 v6, v2
	global_store_dwordx2 v[0:1], v[6:7], off
	s_branch .LBB22_929
.LBB22_924:
	s_or_b64 exec, exec, s[14:15]
	s_and_saveexec_b64 s[0:1], s[12:13]
	s_cbranch_execnz .LBB22_987
.LBB22_925:
	s_or_b64 exec, exec, s[0:1]
	s_and_saveexec_b64 s[0:1], s[20:21]
	s_xor_b64 s[0:1], exec, s[0:1]
	s_cbranch_execz .LBB22_988
.LBB22_926:
	s_waitcnt vmcnt(0)
	v_and_b32_e32 v2, 0x7fff, v3
	v_cmp_ne_u16_e32 vcc, 0, v2
	v_cndmask_b32_e64 v2, 0, 1, vcc
	global_store_byte v[0:1], v2, off
	s_or_b64 exec, exec, s[0:1]
	s_and_saveexec_b64 s[0:1], s[18:19]
	s_xor_b64 s[0:1], exec, s[0:1]
	s_cbranch_execz .LBB22_1026
	s_branch .LBB22_989
.LBB22_927:
	s_mov_b64 s[18:19], -1
	s_mov_b64 s[0:1], s[12:13]
	s_branch .LBB22_986
.LBB22_928:
	s_mov_b64 s[18:19], 0
.LBB22_929:
	s_and_b64 vcc, exec, s[18:19]
	s_cbranch_vccz .LBB22_944
; %bb.930:
	v_cmp_gt_i16_e32 vcc, 27, v4
	s_mov_b64 s[18:19], -1
	s_cbranch_vccnz .LBB22_936
; %bb.931:
	v_cmp_lt_i16_e32 vcc, 27, v4
	s_cbranch_vccz .LBB22_933
; %bb.932:
	v_cvt_f32_f16_e32 v2, v3
	s_mov_b64 s[18:19], 0
	v_cvt_u32_f32_e32 v2, v2
	global_store_dword v[0:1], v2, off
.LBB22_933:
	s_andn2_b64 vcc, exec, s[18:19]
	s_cbranch_vccnz .LBB22_935
; %bb.934:
	v_cvt_u16_f16_e32 v2, v3
	global_store_short v[0:1], v2, off
.LBB22_935:
	s_mov_b64 s[18:19], 0
.LBB22_936:
	s_andn2_b64 vcc, exec, s[18:19]
	s_cbranch_vccnz .LBB22_944
; %bb.937:
	v_cvt_f32_f16_e32 v2, v3
	s_mov_b32 s18, 0x43800000
	v_mov_b32_e32 v6, 0x80
	v_and_b32_e32 v5, 0x7fffffff, v2
	v_cmp_gt_u32_e32 vcc, s18, v5
	s_and_saveexec_b64 s[18:19], vcc
	s_cbranch_execz .LBB22_943
; %bb.938:
	s_mov_b32 s20, 0x3bffffff
	v_cmp_lt_u32_e32 vcc, s20, v5
	s_mov_b64 s[20:21], 0
                                        ; implicit-def: $vgpr5
	s_and_saveexec_b64 s[22:23], vcc
	s_xor_b64 s[22:23], exec, s[22:23]
	s_cbranch_execz .LBB22_1041
; %bb.939:
	v_bfe_u32 v5, v2, 20, 1
	s_mov_b32 s24, 0x487ffff
	v_add3_u32 v5, v2, v5, s24
	s_mov_b64 s[20:21], exec
	v_lshrrev_b32_e32 v5, 20, v5
	s_or_saveexec_b64 s[22:23], s[22:23]
                                        ; implicit-def: $sgpr24
	s_xor_b64 exec, exec, s[22:23]
	s_cbranch_execnz .LBB22_1042
.LBB22_940:
	s_or_b64 exec, exec, s[22:23]
	v_mov_b32_e32 v6, s24
	s_and_saveexec_b64 s[22:23], s[20:21]
.LBB22_941:
	v_lshrrev_b32_e32 v2, 24, v2
	s_movk_i32 s20, 0x80
	v_and_or_b32 v6, v2, s20, v5
.LBB22_942:
	s_or_b64 exec, exec, s[22:23]
.LBB22_943:
	s_or_b64 exec, exec, s[18:19]
	global_store_byte v[0:1], v6, off
.LBB22_944:
	s_mov_b64 s[20:21], 0
.LBB22_945:
	s_mov_b64 s[18:19], 0
	s_and_b64 vcc, exec, s[20:21]
	s_cbranch_vccz .LBB22_985
; %bb.946:
	v_cmp_lt_i16_e32 vcc, 22, v4
	s_mov_b64 s[20:21], -1
	s_cbranch_vccz .LBB22_978
; %bb.947:
	v_cmp_gt_i16_e32 vcc, 24, v4
	s_cbranch_vccnz .LBB22_967
; %bb.948:
	v_cmp_lt_i16_e32 vcc, 24, v4
	s_cbranch_vccz .LBB22_956
; %bb.949:
	v_cvt_f32_f16_e32 v2, v3
	s_mov_b32 s20, 0x47800000
	v_mov_b32_e32 v6, 0x80
	v_and_b32_e32 v5, 0x7fffffff, v2
	v_cmp_gt_u32_e32 vcc, s20, v5
	s_and_saveexec_b64 s[20:21], vcc
	s_cbranch_execz .LBB22_955
; %bb.950:
	s_mov_b32 s22, 0x37ffffff
	v_cmp_lt_u32_e32 vcc, s22, v5
	s_mov_b64 s[22:23], 0
                                        ; implicit-def: $vgpr5
	s_and_saveexec_b64 s[24:25], vcc
	s_xor_b64 s[24:25], exec, s[24:25]
	s_cbranch_execz .LBB22_1166
; %bb.951:
	v_bfe_u32 v5, v2, 21, 1
	s_mov_b32 s26, 0x88fffff
	v_add3_u32 v5, v2, v5, s26
	s_mov_b64 s[22:23], exec
	v_lshrrev_b32_e32 v5, 21, v5
	s_or_saveexec_b64 s[24:25], s[24:25]
                                        ; implicit-def: $sgpr26
	s_xor_b64 exec, exec, s[24:25]
	s_cbranch_execnz .LBB22_1167
.LBB22_952:
	s_or_b64 exec, exec, s[24:25]
	v_mov_b32_e32 v6, s26
	s_and_saveexec_b64 s[24:25], s[22:23]
.LBB22_953:
	v_lshrrev_b32_e32 v2, 24, v2
	s_movk_i32 s22, 0x80
	v_and_or_b32 v6, v2, s22, v5
.LBB22_954:
	s_or_b64 exec, exec, s[24:25]
.LBB22_955:
	s_or_b64 exec, exec, s[20:21]
	s_mov_b64 s[20:21], 0
	global_store_byte v[0:1], v6, off
.LBB22_956:
	s_and_b64 vcc, exec, s[20:21]
	s_cbranch_vccz .LBB22_966
; %bb.957:
	v_cvt_f32_f16_e32 v2, v3
	s_mov_b32 s20, 0x43f00000
                                        ; implicit-def: $vgpr5
	v_and_b32_e32 v6, 0x7fffffff, v2
	v_cmp_gt_u32_e32 vcc, s20, v6
	s_and_saveexec_b64 s[20:21], vcc
	s_xor_b64 s[20:21], exec, s[20:21]
	s_cbranch_execz .LBB22_963
; %bb.958:
	s_mov_b32 s22, 0x3c7fffff
	v_cmp_lt_u32_e32 vcc, s22, v6
                                        ; implicit-def: $vgpr5
	s_and_saveexec_b64 s[22:23], vcc
	s_xor_b64 s[22:23], exec, s[22:23]
; %bb.959:
	v_bfe_u32 v5, v2, 20, 1
	s_mov_b32 s24, 0x407ffff
	v_add3_u32 v5, v2, v5, s24
	v_lshrrev_b32_e32 v6, 20, v5
	v_and_b32_e32 v5, 0xff00000, v5
	s_mov_b32 s24, 0x7f00000
	v_mov_b32_e32 v7, 0x7e
	v_cmp_ne_u32_e32 vcc, s24, v5
	v_cndmask_b32_e32 v5, v7, v6, vcc
; %bb.960:
	s_andn2_saveexec_b64 s[22:23], s[22:23]
; %bb.961:
	s_mov_b32 s24, 0x46800000
	v_add_f32_e64 v5, |v2|, s24
; %bb.962:
	s_or_b64 exec, exec, s[22:23]
                                        ; implicit-def: $vgpr6
.LBB22_963:
	s_andn2_saveexec_b64 s[20:21], s[20:21]
; %bb.964:
	s_mov_b32 s22, 0x7f800000
	v_mov_b32_e32 v5, 0x7e
	v_mov_b32_e32 v7, 0x7f
	v_cmp_lt_u32_e32 vcc, s22, v6
	v_cndmask_b32_e32 v5, v5, v7, vcc
; %bb.965:
	s_or_b64 exec, exec, s[20:21]
	v_lshrrev_b32_e32 v2, 24, v2
	s_movk_i32 s20, 0x80
	v_and_or_b32 v2, v2, s20, v5
	global_store_byte v[0:1], v2, off
.LBB22_966:
	s_mov_b64 s[20:21], 0
.LBB22_967:
	s_andn2_b64 vcc, exec, s[20:21]
	s_cbranch_vccnz .LBB22_977
; %bb.968:
	v_cvt_f32_f16_e32 v2, v3
	s_mov_b32 s20, 0x47800000
                                        ; implicit-def: $vgpr5
	v_and_b32_e32 v6, 0x7fffffff, v2
	v_cmp_gt_u32_e32 vcc, s20, v6
	s_and_saveexec_b64 s[20:21], vcc
	s_xor_b64 s[20:21], exec, s[20:21]
	s_cbranch_execz .LBB22_974
; %bb.969:
	s_mov_b32 s22, 0x387fffff
	v_cmp_lt_u32_e32 vcc, s22, v6
                                        ; implicit-def: $vgpr5
	s_and_saveexec_b64 s[22:23], vcc
	s_xor_b64 s[22:23], exec, s[22:23]
; %bb.970:
	v_bfe_u32 v5, v2, 21, 1
	s_mov_b32 s24, 0x80fffff
	v_add3_u32 v5, v2, v5, s24
	v_lshrrev_b32_e32 v5, 21, v5
; %bb.971:
	s_andn2_saveexec_b64 s[22:23], s[22:23]
; %bb.972:
	s_mov_b32 s24, 0x43000000
	v_add_f32_e64 v5, |v2|, s24
; %bb.973:
	s_or_b64 exec, exec, s[22:23]
                                        ; implicit-def: $vgpr6
.LBB22_974:
	s_andn2_saveexec_b64 s[20:21], s[20:21]
; %bb.975:
	s_mov_b32 s22, 0x7f800000
	v_mov_b32_e32 v5, 0x7c
	v_mov_b32_e32 v7, 0x7f
	v_cmp_lt_u32_e32 vcc, s22, v6
	v_cndmask_b32_e32 v5, v5, v7, vcc
; %bb.976:
	s_or_b64 exec, exec, s[20:21]
	v_lshrrev_b32_e32 v2, 24, v2
	s_movk_i32 s20, 0x80
	v_and_or_b32 v2, v2, s20, v5
	global_store_byte v[0:1], v2, off
.LBB22_977:
	s_mov_b64 s[20:21], 0
.LBB22_978:
	s_andn2_b64 vcc, exec, s[20:21]
	s_mov_b64 s[20:21], 0
	s_cbranch_vccnz .LBB22_986
; %bb.979:
	v_cmp_lt_i16_e32 vcc, 14, v4
	s_mov_b64 s[22:23], -1
	s_cbranch_vccz .LBB22_983
; %bb.980:
	v_cmp_eq_u16_e32 vcc, 15, v4
	s_mov_b64 s[0:1], -1
	s_cbranch_vccz .LBB22_982
; %bb.981:
	v_cvt_f32_f16_e32 v2, v3
	s_movk_i32 s0, 0x7fff
	v_mov_b32_e32 v5, 0x7fc0
	v_cmp_o_f16_e32 vcc, v3, v3
	v_bfe_u32 v6, v2, 16, 1
	v_add3_u32 v2, v2, v6, s0
	v_lshrrev_b32_e32 v2, 16, v2
	v_cndmask_b32_e32 v2, v5, v2, vcc
	global_store_short v[0:1], v2, off
	s_mov_b64 s[0:1], 0
.LBB22_982:
	s_mov_b64 s[22:23], 0
.LBB22_983:
	s_and_b64 vcc, exec, s[22:23]
	s_cbranch_vccz .LBB22_986
; %bb.984:
	v_cmp_ne_u16_e32 vcc, 11, v4
	s_andn2_b64 s[0:1], s[0:1], exec
	s_and_b64 s[22:23], vcc, exec
	s_mov_b64 s[20:21], -1
	s_or_b64 s[0:1], s[0:1], s[22:23]
	s_branch .LBB22_986
.LBB22_985:
	s_mov_b64 s[20:21], 0
.LBB22_986:
	s_andn2_b64 s[12:13], s[12:13], exec
	s_and_b64 s[0:1], s[0:1], exec
	s_and_b64 s[18:19], s[18:19], exec
	;; [unrolled: 1-line block ×3, first 2 shown]
	s_or_b64 s[12:13], s[12:13], s[0:1]
	s_or_b64 exec, exec, s[14:15]
	s_and_saveexec_b64 s[0:1], s[12:13]
	s_cbranch_execz .LBB22_925
.LBB22_987:
	s_or_b64 s[16:17], s[16:17], exec
	s_andn2_b64 s[20:21], s[20:21], exec
	s_trap 2
	s_or_b64 exec, exec, s[0:1]
	s_and_saveexec_b64 s[0:1], s[20:21]
	s_xor_b64 s[0:1], exec, s[0:1]
	s_cbranch_execnz .LBB22_926
.LBB22_988:
	s_or_b64 exec, exec, s[0:1]
	s_and_saveexec_b64 s[0:1], s[18:19]
	s_xor_b64 s[0:1], exec, s[0:1]
	s_cbranch_execz .LBB22_1026
.LBB22_989:
	v_cmp_gt_i16_e32 vcc, 5, v4
	s_mov_b64 s[12:13], -1
	s_cbranch_vccnz .LBB22_1010
; %bb.990:
	v_cmp_gt_i16_e32 vcc, 8, v4
	s_cbranch_vccnz .LBB22_1000
; %bb.991:
	v_cmp_gt_i16_e32 vcc, 9, v4
	s_cbranch_vccnz .LBB22_997
; %bb.992:
	v_cmp_lt_i16_e32 vcc, 9, v4
	s_cbranch_vccz .LBB22_994
; %bb.993:
	s_waitcnt vmcnt(0)
	v_cvt_f32_f16_e32 v2, v3
	v_mov_b32_e32 v8, 0
	v_mov_b32_e32 v9, v8
	s_mov_b64 s[12:13], 0
	v_cvt_f64_f32_e32 v[6:7], v2
	global_store_dwordx4 v[0:1], v[6:9], off
.LBB22_994:
	s_andn2_b64 vcc, exec, s[12:13]
	s_cbranch_vccnz .LBB22_996
; %bb.995:
	s_waitcnt vmcnt(0)
	v_cvt_f32_f16_e32 v6, v3
	v_mov_b32_e32 v7, 0
	global_store_dwordx2 v[0:1], v[6:7], off
.LBB22_996:
	s_mov_b64 s[12:13], 0
.LBB22_997:
	s_andn2_b64 vcc, exec, s[12:13]
	s_cbranch_vccnz .LBB22_999
; %bb.998:
	s_waitcnt vmcnt(0)
	v_and_b32_e32 v2, 0xffff, v3
	global_store_dword v[0:1], v2, off
.LBB22_999:
	s_mov_b64 s[12:13], 0
.LBB22_1000:
	s_andn2_b64 vcc, exec, s[12:13]
	s_cbranch_vccnz .LBB22_1009
; %bb.1001:
	v_cmp_gt_i16_e32 vcc, 6, v4
	s_mov_b64 s[12:13], -1
	s_cbranch_vccnz .LBB22_1007
; %bb.1002:
	v_cmp_lt_i16_e32 vcc, 6, v4
	s_cbranch_vccz .LBB22_1004
; %bb.1003:
	s_waitcnt vmcnt(0)
	v_cvt_f32_f16_e32 v2, v3
	s_mov_b64 s[12:13], 0
	v_cvt_f64_f32_e32 v[6:7], v2
	global_store_dwordx2 v[0:1], v[6:7], off
.LBB22_1004:
	s_andn2_b64 vcc, exec, s[12:13]
	s_cbranch_vccnz .LBB22_1006
; %bb.1005:
	s_waitcnt vmcnt(0)
	v_cvt_f32_f16_e32 v2, v3
	global_store_dword v[0:1], v2, off
.LBB22_1006:
	s_mov_b64 s[12:13], 0
.LBB22_1007:
	s_andn2_b64 vcc, exec, s[12:13]
	s_cbranch_vccnz .LBB22_1009
; %bb.1008:
	s_waitcnt vmcnt(0)
	global_store_short v[0:1], v3, off
.LBB22_1009:
	s_mov_b64 s[12:13], 0
.LBB22_1010:
	s_andn2_b64 vcc, exec, s[12:13]
	s_cbranch_vccnz .LBB22_1026
; %bb.1011:
	v_cmp_gt_i16_e32 vcc, 2, v4
	s_mov_b64 s[12:13], -1
	s_cbranch_vccnz .LBB22_1021
; %bb.1012:
	v_cmp_gt_i16_e32 vcc, 3, v4
	s_cbranch_vccnz .LBB22_1018
; %bb.1013:
	v_cmp_lt_i16_e32 vcc, 3, v4
	s_cbranch_vccz .LBB22_1015
; %bb.1014:
	s_waitcnt vmcnt(0)
	v_cvt_f32_f16_e32 v2, v3
	s_mov_b64 s[12:13], 0
	v_cvt_i32_f32_e32 v6, v2
	v_ashrrev_i32_e32 v7, 31, v6
	global_store_dwordx2 v[0:1], v[6:7], off
.LBB22_1015:
	s_andn2_b64 vcc, exec, s[12:13]
	s_cbranch_vccnz .LBB22_1017
; %bb.1016:
	s_waitcnt vmcnt(0)
	v_cvt_f32_f16_e32 v2, v3
	v_cvt_i32_f32_e32 v2, v2
	global_store_dword v[0:1], v2, off
.LBB22_1017:
	s_mov_b64 s[12:13], 0
.LBB22_1018:
	s_andn2_b64 vcc, exec, s[12:13]
	s_cbranch_vccnz .LBB22_1020
; %bb.1019:
	s_waitcnt vmcnt(0)
	v_cvt_i16_f16_e32 v2, v3
	global_store_short v[0:1], v2, off
.LBB22_1020:
	s_mov_b64 s[12:13], 0
.LBB22_1021:
	s_andn2_b64 vcc, exec, s[12:13]
	s_cbranch_vccnz .LBB22_1026
; %bb.1022:
	v_cmp_lt_i16_e32 vcc, 0, v4
	s_mov_b64 s[12:13], -1
	s_cbranch_vccz .LBB22_1024
; %bb.1023:
	s_waitcnt vmcnt(0)
	v_cvt_i16_f16_e32 v2, v3
	s_mov_b64 s[12:13], 0
	global_store_byte v[0:1], v2, off
.LBB22_1024:
	s_andn2_b64 vcc, exec, s[12:13]
	s_cbranch_vccnz .LBB22_1026
; %bb.1025:
	s_waitcnt vmcnt(0)
	v_cvt_f32_f16_e32 v2, v3
	v_cvt_i32_f32_e32 v2, v2
	global_store_byte v[0:1], v2, off
.LBB22_1026:
	s_or_b64 exec, exec, s[0:1]
	s_and_b64 s[12:13], s[16:17], exec
                                        ; implicit-def: $vgpr2
.LBB22_1027:
	s_or_saveexec_b64 s[6:7], s[6:7]
	s_mov_b64 s[0:1], 0
                                        ; implicit-def: $vgpr4
                                        ; implicit-def: $vgpr0_vgpr1
                                        ; implicit-def: $vgpr3
	s_xor_b64 exec, exec, s[6:7]
	s_cbranch_execz .LBB22_1995
; %bb.1028:
	v_mul_lo_u32 v4, s3, v2
	v_ashrrev_i32_e32 v1, 31, v4
	s_waitcnt vmcnt(0)
	v_mov_b32_e32 v3, s11
	v_add_co_u32_e32 v0, vcc, s10, v4
	v_addc_co_u32_e32 v1, vcc, v3, v1, vcc
	v_cmp_lt_i16_e64 s[0:1], s43, 11
	s_and_b64 vcc, exec, s[0:1]
	s_cbranch_vccnz .LBB22_1035
; %bb.1029:
	v_cmp_gt_i16_e64 s[4:5], s43, 25
	s_mov_b64 s[16:17], 0
	s_and_b64 vcc, exec, s[4:5]
	s_cbranch_vccz .LBB22_1037
; %bb.1030:
	v_cmp_gt_i16_e64 s[4:5], s43, 28
	s_and_b64 vcc, exec, s[4:5]
	s_cbranch_vccz .LBB22_1038
; %bb.1031:
	v_cmp_gt_i16_e64 s[4:5], s43, 43
	;; [unrolled: 4-line block ×3, first 2 shown]
	s_and_b64 vcc, exec, s[4:5]
	s_cbranch_vccz .LBB22_1040
; %bb.1033:
	v_cmp_eq_u16_e64 s[4:5], s43, 46
	s_mov_b64 s[14:15], 0
	s_and_b64 vcc, exec, s[4:5]
	s_cbranch_vccz .LBB22_1043
; %bb.1034:
	global_load_dword v3, v[0:1], off
	s_mov_b64 s[4:5], 0
	s_mov_b64 s[18:19], -1
	s_waitcnt vmcnt(0)
	v_lshlrev_b32_e32 v3, 16, v3
	v_cvt_f16_f32_e32 v3, v3
	s_branch .LBB22_1044
.LBB22_1035:
	s_mov_b64 s[18:19], 0
                                        ; implicit-def: $vgpr3
	s_mov_b64 s[14:15], s[12:13]
	s_cbranch_execnz .LBB22_1107
.LBB22_1036:
	s_andn2_b64 vcc, exec, s[18:19]
	s_cbranch_vccz .LBB22_1152
	s_branch .LBB22_1993
.LBB22_1037:
	s_mov_b64 s[18:19], 0
	s_mov_b64 s[4:5], 0
                                        ; implicit-def: $vgpr3
	s_cbranch_execnz .LBB22_1072
	s_branch .LBB22_1103
.LBB22_1038:
	s_mov_b64 s[14:15], -1
	s_mov_b64 s[18:19], 0
	s_mov_b64 s[4:5], 0
                                        ; implicit-def: $vgpr3
	s_branch .LBB22_1053
.LBB22_1039:
	s_mov_b64 s[18:19], 0
	s_mov_b64 s[4:5], 0
                                        ; implicit-def: $vgpr3
	s_cbranch_execnz .LBB22_1049
	s_branch .LBB22_1052
.LBB22_1040:
	s_mov_b64 s[14:15], -1
	s_mov_b64 s[18:19], 0
	s_mov_b64 s[4:5], 0
                                        ; implicit-def: $vgpr3
	s_branch .LBB22_1044
.LBB22_1041:
	s_or_saveexec_b64 s[22:23], s[22:23]
                                        ; implicit-def: $sgpr24
	s_xor_b64 exec, exec, s[22:23]
	s_cbranch_execz .LBB22_940
.LBB22_1042:
	s_mov_b32 s24, 0x46000000
	v_add_f32_e64 v5, |v2|, s24
	v_and_b32_e32 v5, 0xff, v5
	v_cmp_ne_u32_e32 vcc, 0, v5
	s_andn2_b64 s[20:21], s[20:21], exec
	s_and_b64 s[26:27], vcc, exec
	s_mov_b32 s24, 0
	s_or_b64 s[20:21], s[20:21], s[26:27]
	s_or_b64 exec, exec, s[22:23]
	v_mov_b32_e32 v6, s24
	s_and_saveexec_b64 s[22:23], s[20:21]
	s_cbranch_execnz .LBB22_941
	s_branch .LBB22_942
.LBB22_1043:
	s_mov_b64 s[4:5], -1
                                        ; implicit-def: $vgpr3
	s_mov_b64 s[18:19], 0
.LBB22_1044:
	s_and_b64 vcc, exec, s[14:15]
	s_cbranch_vccz .LBB22_1047
; %bb.1045:
	v_cmp_eq_u16_e64 s[4:5], s43, 44
	s_and_b64 vcc, exec, s[4:5]
	s_cbranch_vccz .LBB22_1048
; %bb.1046:
	global_load_ubyte v3, v[0:1], off
	s_movk_i32 s14, 0xff
	v_mov_b32_e32 v6, 0x7e00
	s_mov_b64 s[4:5], 0
	s_mov_b64 s[18:19], -1
	s_waitcnt vmcnt(0)
	v_lshlrev_b32_e32 v5, 23, v3
	v_cvt_f16_f32_e32 v5, v5
	v_cmp_ne_u32_e32 vcc, s14, v3
	v_cndmask_b32_e32 v5, v6, v5, vcc
	v_cmp_ne_u32_e32 vcc, 0, v3
	v_cndmask_b32_e32 v3, 0, v5, vcc
.LBB22_1047:
	s_branch .LBB22_1052
.LBB22_1048:
	s_mov_b64 s[4:5], -1
                                        ; implicit-def: $vgpr3
	s_branch .LBB22_1052
.LBB22_1049:
	v_cmp_eq_u16_e64 s[4:5], s43, 29
	s_and_b64 vcc, exec, s[4:5]
	s_cbranch_vccz .LBB22_1051
; %bb.1050:
	global_load_dwordx2 v[6:7], v[0:1], off
	s_mov_b64 s[4:5], 0
	s_mov_b64 s[18:19], -1
	s_mov_b64 s[14:15], 0
	s_waitcnt vmcnt(0)
	v_ffbh_u32_e32 v3, v7
	v_min_u32_e32 v3, 32, v3
	v_lshlrev_b64 v[6:7], v3, v[6:7]
	v_min_u32_e32 v5, 1, v6
	v_or_b32_e32 v5, v7, v5
	v_cvt_f32_u32_e32 v5, v5
	v_sub_u32_e32 v3, 32, v3
	v_ldexp_f32 v3, v5, v3
	v_cvt_f16_f32_e32 v3, v3
	s_branch .LBB22_1053
.LBB22_1051:
	s_mov_b64 s[4:5], -1
                                        ; implicit-def: $vgpr3
.LBB22_1052:
	s_mov_b64 s[14:15], 0
.LBB22_1053:
	s_and_b64 vcc, exec, s[14:15]
	s_cbranch_vccz .LBB22_1071
; %bb.1054:
	v_cmp_lt_i16_e64 s[14:15], s43, 27
	s_and_b64 vcc, exec, s[14:15]
	s_cbranch_vccnz .LBB22_1057
; %bb.1055:
	v_cmp_gt_i16_e64 s[14:15], s43, 27
	s_and_b64 vcc, exec, s[14:15]
	s_cbranch_vccz .LBB22_1058
; %bb.1056:
	global_load_dword v3, v[0:1], off
	s_mov_b64 s[14:15], 0
	s_waitcnt vmcnt(0)
	v_cvt_f32_u32_e32 v3, v3
	v_cvt_f16_f32_e32 v3, v3
	s_branch .LBB22_1059
.LBB22_1057:
	s_mov_b64 s[14:15], -1
                                        ; implicit-def: $vgpr3
	s_branch .LBB22_1062
.LBB22_1058:
	s_mov_b64 s[14:15], -1
                                        ; implicit-def: $vgpr3
.LBB22_1059:
	s_andn2_b64 vcc, exec, s[14:15]
	s_cbranch_vccnz .LBB22_1061
; %bb.1060:
	global_load_ushort v3, v[0:1], off
	s_waitcnt vmcnt(0)
	v_cvt_f16_u16_e32 v3, v3
.LBB22_1061:
	s_mov_b64 s[14:15], 0
.LBB22_1062:
	s_andn2_b64 vcc, exec, s[14:15]
	s_cbranch_vccnz .LBB22_1070
; %bb.1063:
	global_load_ubyte v5, v[0:1], off
	s_movk_i32 s14, 0x7f
                                        ; implicit-def: $sgpr22
	s_waitcnt vmcnt(0)
	v_cmp_lt_i16_e32 vcc, s14, v5
	s_mov_b64 s[14:15], 0
	s_and_saveexec_b64 s[18:19], vcc
	s_xor_b64 s[18:19], exec, s[18:19]
	s_cbranch_execz .LBB22_1083
; %bb.1064:
	s_movk_i32 s14, 0x80
	v_cmp_eq_u16_e32 vcc, s14, v5
	s_mov_b64 s[14:15], -1
                                        ; implicit-def: $sgpr22
	s_and_saveexec_b64 s[20:21], vcc
; %bb.1065:
	s_movk_i32 s22, 0x7e00
	s_xor_b64 s[14:15], exec, -1
; %bb.1066:
	s_or_b64 exec, exec, s[20:21]
	s_and_b64 s[14:15], s[14:15], exec
	s_or_saveexec_b64 s[18:19], s[18:19]
	v_mov_b32_e32 v3, s22
	s_xor_b64 exec, exec, s[18:19]
	s_cbranch_execnz .LBB22_1084
.LBB22_1067:
	s_or_b64 exec, exec, s[18:19]
	s_and_saveexec_b64 s[18:19], s[14:15]
	s_cbranch_execz .LBB22_1069
.LBB22_1068:
	v_lshlrev_b32_e32 v3, 24, v5
	v_and_b32_e32 v5, 0xffff, v5
	v_and_b32_e32 v6, 7, v5
	v_ffbh_u32_e32 v8, v6
	v_min_u32_e32 v8, 32, v8
	v_subrev_u32_e32 v9, 28, v8
	v_bfe_u32 v7, v5, 3, 4
	v_lshlrev_b32_e32 v5, v9, v5
	v_sub_u32_e32 v8, 29, v8
	v_and_b32_e32 v5, 7, v5
	v_cmp_eq_u32_e32 vcc, 0, v7
	v_cndmask_b32_e32 v7, v7, v8, vcc
	v_cndmask_b32_e32 v5, v6, v5, vcc
	v_mov_b32_e32 v6, 0x3b800000
	v_lshlrev_b32_e32 v5, 20, v5
	v_and_b32_e32 v3, 0x80000000, v3
	v_lshl_add_u32 v6, v7, 23, v6
	v_or3_b32 v3, v3, v6, v5
	v_cvt_f16_f32_e32 v3, v3
.LBB22_1069:
	s_or_b64 exec, exec, s[18:19]
.LBB22_1070:
	s_mov_b64 s[18:19], -1
.LBB22_1071:
	s_branch .LBB22_1103
.LBB22_1072:
	v_cmp_gt_i16_e64 s[14:15], s43, 22
	s_and_b64 vcc, exec, s[14:15]
	s_cbranch_vccz .LBB22_1082
; %bb.1073:
	v_cmp_lt_i16_e64 s[14:15], s43, 24
	s_and_b64 vcc, exec, s[14:15]
	s_cbranch_vccnz .LBB22_1085
; %bb.1074:
	v_cmp_gt_i16_e64 s[14:15], s43, 24
	s_and_b64 vcc, exec, s[14:15]
	s_cbranch_vccz .LBB22_1086
; %bb.1075:
	global_load_ubyte v5, v[0:1], off
	s_movk_i32 s14, 0x7f
                                        ; implicit-def: $sgpr20
	s_waitcnt vmcnt(0)
	v_cmp_lt_i16_e32 vcc, s14, v5
	s_mov_b64 s[14:15], 0
	s_and_saveexec_b64 s[16:17], vcc
	s_xor_b64 s[16:17], exec, s[16:17]
	s_cbranch_execz .LBB22_1097
; %bb.1076:
	s_movk_i32 s14, 0x80
	v_cmp_eq_u16_e32 vcc, s14, v5
	s_mov_b64 s[14:15], -1
                                        ; implicit-def: $sgpr20
	s_and_saveexec_b64 s[18:19], vcc
; %bb.1077:
	s_movk_i32 s20, 0x7e00
	s_xor_b64 s[14:15], exec, -1
; %bb.1078:
	s_or_b64 exec, exec, s[18:19]
	s_and_b64 s[14:15], s[14:15], exec
	s_or_saveexec_b64 s[16:17], s[16:17]
	v_mov_b32_e32 v3, s20
	s_xor_b64 exec, exec, s[16:17]
	s_cbranch_execnz .LBB22_1098
.LBB22_1079:
	s_or_b64 exec, exec, s[16:17]
	s_and_saveexec_b64 s[16:17], s[14:15]
	s_cbranch_execz .LBB22_1081
.LBB22_1080:
	v_lshlrev_b32_e32 v3, 24, v5
	v_and_b32_e32 v5, 0xffff, v5
	v_and_b32_e32 v6, 3, v5
	v_ffbh_u32_e32 v8, v6
	v_min_u32_e32 v8, 32, v8
	v_subrev_u32_e32 v9, 29, v8
	v_bfe_u32 v7, v5, 2, 5
	v_lshlrev_b32_e32 v5, v9, v5
	v_sub_u32_e32 v8, 30, v8
	v_and_b32_e32 v5, 3, v5
	v_cmp_eq_u32_e32 vcc, 0, v7
	v_cndmask_b32_e32 v7, v7, v8, vcc
	v_cndmask_b32_e32 v5, v6, v5, vcc
	v_mov_b32_e32 v6, 0x37800000
	v_lshlrev_b32_e32 v5, 21, v5
	v_and_b32_e32 v3, 0x80000000, v3
	v_lshl_add_u32 v6, v7, 23, v6
	v_or3_b32 v3, v3, v6, v5
	v_cvt_f16_f32_e32 v3, v3
.LBB22_1081:
	s_or_b64 exec, exec, s[16:17]
	s_mov_b64 s[14:15], 0
	s_branch .LBB22_1087
.LBB22_1082:
                                        ; implicit-def: $vgpr3
	s_mov_b64 s[16:17], 0
	s_branch .LBB22_1093
.LBB22_1083:
	s_or_saveexec_b64 s[18:19], s[18:19]
	v_mov_b32_e32 v3, s22
	s_xor_b64 exec, exec, s[18:19]
	s_cbranch_execz .LBB22_1067
.LBB22_1084:
	v_cmp_ne_u16_e32 vcc, 0, v5
	s_andn2_b64 s[14:15], s[14:15], exec
	s_and_b64 s[20:21], vcc, exec
	s_or_b64 s[14:15], s[14:15], s[20:21]
	v_mov_b32_e32 v3, v5
	s_or_b64 exec, exec, s[18:19]
	s_and_saveexec_b64 s[18:19], s[14:15]
	s_cbranch_execnz .LBB22_1068
	s_branch .LBB22_1069
.LBB22_1085:
	s_mov_b64 s[14:15], -1
                                        ; implicit-def: $vgpr3
	s_branch .LBB22_1090
.LBB22_1086:
	s_mov_b64 s[14:15], -1
                                        ; implicit-def: $vgpr3
.LBB22_1087:
	s_and_b64 vcc, exec, s[14:15]
	s_cbranch_vccz .LBB22_1089
; %bb.1088:
	global_load_ubyte v3, v[0:1], off
	s_mov_b32 s14, 0x7f800000
	s_waitcnt vmcnt(0)
	v_lshlrev_b32_e32 v3, 24, v3
	v_and_b32_e32 v5, 0x7f000000, v3
	v_ffbh_u32_e32 v6, v5
	v_min_u32_e32 v6, 32, v6
	v_sub_u32_e64 v6, v6, 4 clamp
	v_lshlrev_b32_e32 v8, v6, v5
	v_lshlrev_b32_e32 v6, 23, v6
	v_lshrrev_b32_e32 v8, 4, v8
	v_add_u32_e32 v7, 0x1000000, v5
	v_sub_u32_e32 v6, v8, v6
	v_ashrrev_i32_e32 v7, 8, v7
	v_add_u32_e32 v6, 0x3c000000, v6
	v_and_or_b32 v6, v7, s14, v6
	v_cmp_ne_u32_e32 vcc, 0, v5
	v_cndmask_b32_e32 v5, 0, v6, vcc
	s_brev_b32 s14, 1
	v_and_or_b32 v3, v3, s14, v5
	v_cvt_f16_f32_e32 v3, v3
.LBB22_1089:
	s_mov_b64 s[14:15], 0
.LBB22_1090:
	s_andn2_b64 vcc, exec, s[14:15]
	s_cbranch_vccnz .LBB22_1092
; %bb.1091:
	global_load_ubyte v3, v[0:1], off
	s_movk_i32 s14, 0x7f00
	s_brev_b32 s15, 16
	s_waitcnt vmcnt(0)
	v_lshlrev_b16_e32 v5, 8, v3
	v_lshlrev_b32_e32 v3, 25, v3
	v_lshrrev_b32_e32 v6, 4, v3
	v_and_or_b32 v7, v5, s14, 0.5
	v_or_b32_e32 v6, 0x70000000, v6
	v_add_f32_e32 v7, -0.5, v7
	v_mul_f32_e32 v6, 0x7800000, v6
	v_cmp_gt_u32_e32 vcc, s15, v3
	v_bfe_i32 v5, v5, 0, 16
	v_cndmask_b32_e32 v3, v6, v7, vcc
	s_brev_b32 s14, 1
	v_and_or_b32 v3, v5, s14, v3
	v_cvt_f16_f32_e32 v3, v3
.LBB22_1092:
	s_mov_b64 s[18:19], -1
	s_mov_b64 s[16:17], 0
	s_cbranch_execnz .LBB22_1103
.LBB22_1093:
	v_cmp_gt_i16_e64 s[14:15], s43, 14
	s_and_b64 vcc, exec, s[14:15]
	s_cbranch_vccz .LBB22_1096
; %bb.1094:
	v_cmp_eq_u16_e64 s[4:5], s43, 15
	s_and_b64 vcc, exec, s[4:5]
	s_cbranch_vccz .LBB22_1099
; %bb.1095:
	global_load_ushort v3, v[0:1], off
	s_mov_b64 s[4:5], 0
	s_mov_b64 s[18:19], -1
	s_waitcnt vmcnt(0)
	v_lshlrev_b32_e32 v3, 16, v3
	v_cvt_f16_f32_e32 v3, v3
	s_branch .LBB22_1100
.LBB22_1096:
	s_mov_b64 s[14:15], -1
                                        ; implicit-def: $vgpr3
	s_branch .LBB22_1101
.LBB22_1097:
	s_or_saveexec_b64 s[16:17], s[16:17]
	v_mov_b32_e32 v3, s20
	s_xor_b64 exec, exec, s[16:17]
	s_cbranch_execz .LBB22_1079
.LBB22_1098:
	v_cmp_ne_u16_e32 vcc, 0, v5
	s_andn2_b64 s[14:15], s[14:15], exec
	s_and_b64 s[18:19], vcc, exec
	s_or_b64 s[14:15], s[14:15], s[18:19]
	v_mov_b32_e32 v3, v5
	s_or_b64 exec, exec, s[16:17]
	s_and_saveexec_b64 s[16:17], s[14:15]
	s_cbranch_execnz .LBB22_1080
	s_branch .LBB22_1081
.LBB22_1099:
	s_mov_b64 s[4:5], -1
                                        ; implicit-def: $vgpr3
.LBB22_1100:
	s_mov_b64 s[14:15], 0
.LBB22_1101:
	s_and_b64 vcc, exec, s[14:15]
	s_cbranch_vccz .LBB22_1103
; %bb.1102:
	v_cmp_ne_u16_e64 s[4:5], s43, 11
	s_mov_b64 s[16:17], -1
                                        ; implicit-def: $vgpr3
.LBB22_1103:
	s_and_b64 vcc, exec, s[4:5]
	s_mov_b64 s[14:15], s[12:13]
	s_cbranch_vccnz .LBB22_1164
; %bb.1104:
	s_andn2_b64 vcc, exec, s[16:17]
	s_cbranch_vccnz .LBB22_1106
.LBB22_1105:
	global_load_ubyte v3, v[0:1], off
	v_mov_b32_e32 v5, 0x3c00
	s_mov_b64 s[18:19], -1
	s_waitcnt vmcnt(0)
	v_cmp_ne_u16_e32 vcc, 0, v3
	v_cndmask_b32_e32 v3, 0, v5, vcc
.LBB22_1106:
	s_branch .LBB22_1036
.LBB22_1107:
	v_cmp_lt_i16_e64 s[4:5], s43, 5
	s_and_b64 vcc, exec, s[4:5]
	s_cbranch_vccnz .LBB22_1112
; %bb.1108:
	v_cmp_lt_i16_e64 s[4:5], s43, 8
	s_and_b64 vcc, exec, s[4:5]
	s_cbranch_vccnz .LBB22_1113
; %bb.1109:
	;; [unrolled: 4-line block ×3, first 2 shown]
	v_cmp_gt_i16_e64 s[4:5], s43, 9
	s_and_b64 vcc, exec, s[4:5]
	s_cbranch_vccz .LBB22_1115
; %bb.1111:
	global_load_dwordx2 v[6:7], v[0:1], off
	s_mov_b64 s[4:5], 0
	s_waitcnt vmcnt(0)
	v_cvt_f32_f64_e32 v3, v[6:7]
	v_cvt_f16_f32_e32 v3, v3
	s_branch .LBB22_1116
.LBB22_1112:
                                        ; implicit-def: $vgpr3
	s_branch .LBB22_1133
.LBB22_1113:
                                        ; implicit-def: $vgpr3
	s_branch .LBB22_1122
.LBB22_1114:
	s_mov_b64 s[4:5], -1
                                        ; implicit-def: $vgpr3
	s_branch .LBB22_1119
.LBB22_1115:
	s_mov_b64 s[4:5], -1
                                        ; implicit-def: $vgpr3
.LBB22_1116:
	s_andn2_b64 vcc, exec, s[4:5]
	s_cbranch_vccnz .LBB22_1118
; %bb.1117:
	global_load_dword v3, v[0:1], off
	s_waitcnt vmcnt(0)
	v_cvt_f16_f32_e32 v3, v3
.LBB22_1118:
	s_mov_b64 s[4:5], 0
.LBB22_1119:
	s_andn2_b64 vcc, exec, s[4:5]
	s_cbranch_vccnz .LBB22_1121
; %bb.1120:
	global_load_dword v3, v[0:1], off
.LBB22_1121:
	s_cbranch_execnz .LBB22_1132
.LBB22_1122:
	v_cmp_lt_i16_e64 s[4:5], s43, 6
	s_and_b64 vcc, exec, s[4:5]
	s_cbranch_vccnz .LBB22_1125
; %bb.1123:
	v_cmp_gt_i16_e64 s[4:5], s43, 6
	s_and_b64 vcc, exec, s[4:5]
	s_cbranch_vccz .LBB22_1126
; %bb.1124:
	global_load_dwordx2 v[6:7], v[0:1], off
	s_mov_b64 s[4:5], 0
	s_waitcnt vmcnt(0)
	v_cvt_f32_f64_e32 v3, v[6:7]
	v_cvt_f16_f32_e32 v3, v3
	s_branch .LBB22_1127
.LBB22_1125:
	s_mov_b64 s[4:5], -1
                                        ; implicit-def: $vgpr3
	s_branch .LBB22_1130
.LBB22_1126:
	s_mov_b64 s[4:5], -1
                                        ; implicit-def: $vgpr3
.LBB22_1127:
	s_andn2_b64 vcc, exec, s[4:5]
	s_cbranch_vccnz .LBB22_1129
; %bb.1128:
	global_load_dword v3, v[0:1], off
	s_waitcnt vmcnt(0)
	v_cvt_f16_f32_e32 v3, v3
.LBB22_1129:
	s_mov_b64 s[4:5], 0
.LBB22_1130:
	s_andn2_b64 vcc, exec, s[4:5]
	s_cbranch_vccnz .LBB22_1132
; %bb.1131:
	global_load_ushort v3, v[0:1], off
.LBB22_1132:
	s_cbranch_execnz .LBB22_1151
.LBB22_1133:
	v_cmp_lt_i16_e64 s[4:5], s43, 2
	s_and_b64 vcc, exec, s[4:5]
	s_cbranch_vccnz .LBB22_1137
; %bb.1134:
	v_cmp_lt_i16_e64 s[4:5], s43, 3
	s_and_b64 vcc, exec, s[4:5]
	s_cbranch_vccnz .LBB22_1138
; %bb.1135:
	v_cmp_gt_i16_e64 s[4:5], s43, 3
	s_and_b64 vcc, exec, s[4:5]
	s_cbranch_vccz .LBB22_1139
; %bb.1136:
	global_load_dwordx2 v[6:7], v[0:1], off
	s_mov_b64 s[4:5], 0
	s_waitcnt vmcnt(0)
	v_xor_b32_e32 v5, v6, v7
	v_ffbh_i32_e32 v3, v7
	v_ashrrev_i32_e32 v5, 31, v5
	v_add_u32_e32 v3, -1, v3
	v_add_u32_e32 v5, 32, v5
	v_min_u32_e32 v3, v3, v5
	v_lshlrev_b64 v[6:7], v3, v[6:7]
	v_min_u32_e32 v5, 1, v6
	v_or_b32_e32 v5, v7, v5
	v_cvt_f32_i32_e32 v5, v5
	v_sub_u32_e32 v3, 32, v3
	v_ldexp_f32 v3, v5, v3
	v_cvt_f16_f32_e32 v3, v3
	s_branch .LBB22_1140
.LBB22_1137:
                                        ; implicit-def: $vgpr3
	s_branch .LBB22_1146
.LBB22_1138:
	s_mov_b64 s[4:5], -1
                                        ; implicit-def: $vgpr3
	s_branch .LBB22_1143
.LBB22_1139:
	s_mov_b64 s[4:5], -1
                                        ; implicit-def: $vgpr3
.LBB22_1140:
	s_andn2_b64 vcc, exec, s[4:5]
	s_cbranch_vccnz .LBB22_1142
; %bb.1141:
	global_load_dword v3, v[0:1], off
	s_waitcnt vmcnt(0)
	v_cvt_f32_i32_e32 v3, v3
	v_cvt_f16_f32_e32 v3, v3
.LBB22_1142:
	s_mov_b64 s[4:5], 0
.LBB22_1143:
	s_andn2_b64 vcc, exec, s[4:5]
	s_cbranch_vccnz .LBB22_1145
; %bb.1144:
	global_load_ushort v3, v[0:1], off
	s_waitcnt vmcnt(0)
	v_cvt_f16_i16_e32 v3, v3
.LBB22_1145:
	s_cbranch_execnz .LBB22_1151
.LBB22_1146:
	v_cmp_gt_i16_e64 s[4:5], s43, 0
	s_and_b64 vcc, exec, s[4:5]
	s_cbranch_vccz .LBB22_1148
; %bb.1147:
	global_load_sbyte v3, v[0:1], off
	s_mov_b64 s[4:5], 0
	s_waitcnt vmcnt(0)
	v_cvt_f16_i16_e32 v3, v3
	s_branch .LBB22_1149
.LBB22_1148:
	s_mov_b64 s[4:5], -1
                                        ; implicit-def: $vgpr3
.LBB22_1149:
	s_andn2_b64 vcc, exec, s[4:5]
	s_cbranch_vccnz .LBB22_1151
; %bb.1150:
	global_load_ubyte v0, v[0:1], off
	s_waitcnt vmcnt(0)
	v_cvt_f16_u16_e32 v3, v0
.LBB22_1151:
.LBB22_1152:
	s_lshl_b32 s3, s3, 7
	v_add_u32_e32 v5, s3, v4
	v_ashrrev_i32_e32 v1, 31, v5
	v_mov_b32_e32 v4, s11
	v_add_co_u32_e32 v0, vcc, s10, v5
	v_addc_co_u32_e32 v1, vcc, v4, v1, vcc
	s_and_b64 vcc, exec, s[0:1]
	s_cbranch_vccnz .LBB22_1159
; %bb.1153:
	v_cmp_gt_i16_e64 s[4:5], s43, 25
	s_mov_b64 s[16:17], 0
	s_and_b64 vcc, exec, s[4:5]
	s_cbranch_vccz .LBB22_1161
; %bb.1154:
	v_cmp_gt_i16_e64 s[4:5], s43, 28
	s_and_b64 vcc, exec, s[4:5]
	s_cbranch_vccz .LBB22_1162
; %bb.1155:
	v_cmp_gt_i16_e64 s[4:5], s43, 43
	;; [unrolled: 4-line block ×3, first 2 shown]
	s_and_b64 vcc, exec, s[4:5]
	s_cbranch_vccz .LBB22_1165
; %bb.1157:
	v_cmp_eq_u16_e64 s[4:5], s43, 46
	s_mov_b64 s[20:21], 0
	s_and_b64 vcc, exec, s[4:5]
	s_cbranch_vccz .LBB22_1168
; %bb.1158:
	global_load_dword v4, v[0:1], off
	s_mov_b64 s[4:5], 0
	s_mov_b64 s[18:19], -1
	s_waitcnt vmcnt(0)
	v_lshlrev_b32_e32 v4, 16, v4
	v_cvt_f16_f32_e32 v4, v4
	s_branch .LBB22_1169
.LBB22_1159:
	s_mov_b64 s[18:19], 0
                                        ; implicit-def: $vgpr4
	s_cbranch_execnz .LBB22_1234
.LBB22_1160:
	s_andn2_b64 vcc, exec, s[18:19]
	s_cbranch_vccnz .LBB22_1993
	s_branch .LBB22_1281
.LBB22_1161:
	s_mov_b64 s[18:19], 0
	s_mov_b64 s[4:5], 0
                                        ; implicit-def: $vgpr4
	s_cbranch_execnz .LBB22_1198
	s_branch .LBB22_1230
.LBB22_1162:
	s_mov_b64 s[20:21], -1
	s_mov_b64 s[18:19], 0
	s_mov_b64 s[4:5], 0
                                        ; implicit-def: $vgpr4
	s_branch .LBB22_1179
.LBB22_1163:
	s_mov_b64 s[20:21], -1
	s_mov_b64 s[18:19], 0
	s_mov_b64 s[4:5], 0
                                        ; implicit-def: $vgpr4
	s_branch .LBB22_1174
.LBB22_1164:
	s_or_b64 s[14:15], s[12:13], exec
	s_trap 2
                                        ; implicit-def: $vgpr3
	s_cbranch_execz .LBB22_1105
	s_branch .LBB22_1106
.LBB22_1165:
	s_mov_b64 s[20:21], -1
	s_mov_b64 s[18:19], 0
	s_mov_b64 s[4:5], 0
                                        ; implicit-def: $vgpr4
	s_branch .LBB22_1169
.LBB22_1166:
	s_or_saveexec_b64 s[24:25], s[24:25]
                                        ; implicit-def: $sgpr26
	s_xor_b64 exec, exec, s[24:25]
	s_cbranch_execz .LBB22_952
.LBB22_1167:
	s_mov_b32 s26, 0x42800000
	v_add_f32_e64 v5, |v2|, s26
	v_and_b32_e32 v5, 0xff, v5
	v_cmp_ne_u32_e32 vcc, 0, v5
	s_andn2_b64 s[22:23], s[22:23], exec
	s_and_b64 s[28:29], vcc, exec
	s_mov_b32 s26, 0
	s_or_b64 s[22:23], s[22:23], s[28:29]
	s_or_b64 exec, exec, s[24:25]
	v_mov_b32_e32 v6, s26
	s_and_saveexec_b64 s[24:25], s[22:23]
	s_cbranch_execnz .LBB22_953
	s_branch .LBB22_954
.LBB22_1168:
	s_mov_b64 s[4:5], -1
                                        ; implicit-def: $vgpr4
	s_mov_b64 s[18:19], 0
.LBB22_1169:
	s_and_b64 vcc, exec, s[20:21]
	s_cbranch_vccz .LBB22_1173
; %bb.1170:
	v_cmp_eq_u16_e64 s[4:5], s43, 44
	s_and_b64 vcc, exec, s[4:5]
	s_cbranch_vccz .LBB22_1172
; %bb.1171:
	global_load_ubyte v4, v[0:1], off
	s_movk_i32 s18, 0xff
	v_mov_b32_e32 v7, 0x7e00
	s_mov_b64 s[4:5], 0
	s_waitcnt vmcnt(0)
	v_lshlrev_b32_e32 v6, 23, v4
	v_cvt_f16_f32_e32 v6, v6
	v_cmp_ne_u32_e32 vcc, s18, v4
	s_mov_b64 s[18:19], -1
	v_cndmask_b32_e32 v6, v7, v6, vcc
	v_cmp_ne_u32_e32 vcc, 0, v4
	v_cndmask_b32_e32 v4, 0, v6, vcc
	s_branch .LBB22_1173
.LBB22_1172:
	s_mov_b64 s[4:5], -1
                                        ; implicit-def: $vgpr4
.LBB22_1173:
	s_mov_b64 s[20:21], 0
.LBB22_1174:
	s_and_b64 vcc, exec, s[20:21]
	s_cbranch_vccz .LBB22_1178
; %bb.1175:
	v_cmp_eq_u16_e64 s[4:5], s43, 29
	s_and_b64 vcc, exec, s[4:5]
	s_cbranch_vccz .LBB22_1177
; %bb.1176:
	global_load_dwordx2 v[6:7], v[0:1], off
	s_mov_b64 s[4:5], 0
	s_mov_b64 s[18:19], -1
	s_mov_b64 s[20:21], 0
	s_waitcnt vmcnt(0)
	v_ffbh_u32_e32 v4, v7
	v_min_u32_e32 v4, 32, v4
	v_lshlrev_b64 v[6:7], v4, v[6:7]
	v_min_u32_e32 v6, 1, v6
	v_or_b32_e32 v6, v7, v6
	v_cvt_f32_u32_e32 v6, v6
	v_sub_u32_e32 v4, 32, v4
	v_ldexp_f32 v4, v6, v4
	v_cvt_f16_f32_e32 v4, v4
	s_branch .LBB22_1179
.LBB22_1177:
	s_mov_b64 s[4:5], -1
                                        ; implicit-def: $vgpr4
.LBB22_1178:
	s_mov_b64 s[20:21], 0
.LBB22_1179:
	s_and_b64 vcc, exec, s[20:21]
	s_cbranch_vccz .LBB22_1197
; %bb.1180:
	v_cmp_lt_i16_e64 s[18:19], s43, 27
	s_and_b64 vcc, exec, s[18:19]
	s_cbranch_vccnz .LBB22_1183
; %bb.1181:
	v_cmp_gt_i16_e64 s[18:19], s43, 27
	s_and_b64 vcc, exec, s[18:19]
	s_cbranch_vccz .LBB22_1184
; %bb.1182:
	global_load_dword v4, v[0:1], off
	s_mov_b64 s[18:19], 0
	s_waitcnt vmcnt(0)
	v_cvt_f32_u32_e32 v4, v4
	v_cvt_f16_f32_e32 v4, v4
	s_branch .LBB22_1185
.LBB22_1183:
	s_mov_b64 s[18:19], -1
                                        ; implicit-def: $vgpr4
	s_branch .LBB22_1188
.LBB22_1184:
	s_mov_b64 s[18:19], -1
                                        ; implicit-def: $vgpr4
.LBB22_1185:
	s_andn2_b64 vcc, exec, s[18:19]
	s_cbranch_vccnz .LBB22_1187
; %bb.1186:
	global_load_ushort v4, v[0:1], off
	s_waitcnt vmcnt(0)
	v_cvt_f16_u16_e32 v4, v4
.LBB22_1187:
	s_mov_b64 s[18:19], 0
.LBB22_1188:
	s_andn2_b64 vcc, exec, s[18:19]
	s_cbranch_vccnz .LBB22_1196
; %bb.1189:
	global_load_ubyte v6, v[0:1], off
	s_movk_i32 s18, 0x7f
                                        ; implicit-def: $sgpr24
	s_waitcnt vmcnt(0)
	v_cmp_lt_i16_e32 vcc, s18, v6
	s_mov_b64 s[18:19], 0
	s_and_saveexec_b64 s[20:21], vcc
	s_xor_b64 s[20:21], exec, s[20:21]
	s_cbranch_execz .LBB22_1209
; %bb.1190:
	s_movk_i32 s18, 0x80
	v_cmp_eq_u16_e32 vcc, s18, v6
	s_mov_b64 s[18:19], -1
                                        ; implicit-def: $sgpr24
	s_and_saveexec_b64 s[22:23], vcc
; %bb.1191:
	s_movk_i32 s24, 0x7e00
	s_xor_b64 s[18:19], exec, -1
; %bb.1192:
	s_or_b64 exec, exec, s[22:23]
	s_and_b64 s[18:19], s[18:19], exec
	s_or_saveexec_b64 s[20:21], s[20:21]
	v_mov_b32_e32 v4, s24
	s_xor_b64 exec, exec, s[20:21]
	s_cbranch_execnz .LBB22_1210
.LBB22_1193:
	s_or_b64 exec, exec, s[20:21]
	s_and_saveexec_b64 s[20:21], s[18:19]
	s_cbranch_execz .LBB22_1195
.LBB22_1194:
	v_lshlrev_b32_e32 v4, 24, v6
	v_and_b32_e32 v6, 0xffff, v6
	v_and_b32_e32 v7, 7, v6
	v_ffbh_u32_e32 v9, v7
	v_min_u32_e32 v9, 32, v9
	v_subrev_u32_e32 v10, 28, v9
	v_bfe_u32 v8, v6, 3, 4
	v_lshlrev_b32_e32 v6, v10, v6
	v_sub_u32_e32 v9, 29, v9
	v_and_b32_e32 v6, 7, v6
	v_cmp_eq_u32_e32 vcc, 0, v8
	v_cndmask_b32_e32 v8, v8, v9, vcc
	v_cndmask_b32_e32 v6, v7, v6, vcc
	v_mov_b32_e32 v7, 0x3b800000
	v_lshlrev_b32_e32 v6, 20, v6
	v_and_b32_e32 v4, 0x80000000, v4
	v_lshl_add_u32 v7, v8, 23, v7
	v_or3_b32 v4, v4, v7, v6
	v_cvt_f16_f32_e32 v4, v4
.LBB22_1195:
	s_or_b64 exec, exec, s[20:21]
.LBB22_1196:
	s_mov_b64 s[18:19], -1
.LBB22_1197:
	s_branch .LBB22_1230
.LBB22_1198:
	v_cmp_gt_i16_e64 s[16:17], s43, 22
	s_and_b64 vcc, exec, s[16:17]
	s_cbranch_vccz .LBB22_1208
; %bb.1199:
	v_cmp_lt_i16_e64 s[16:17], s43, 24
	s_and_b64 vcc, exec, s[16:17]
	s_cbranch_vccnz .LBB22_1211
; %bb.1200:
	v_cmp_gt_i16_e64 s[16:17], s43, 24
	s_and_b64 vcc, exec, s[16:17]
	s_cbranch_vccz .LBB22_1212
; %bb.1201:
	global_load_ubyte v6, v[0:1], off
	s_movk_i32 s16, 0x7f
                                        ; implicit-def: $sgpr22
	s_waitcnt vmcnt(0)
	v_cmp_lt_i16_e32 vcc, s16, v6
	s_mov_b64 s[16:17], 0
	s_and_saveexec_b64 s[18:19], vcc
	s_xor_b64 s[18:19], exec, s[18:19]
	s_cbranch_execz .LBB22_1224
; %bb.1202:
	s_movk_i32 s16, 0x80
	v_cmp_eq_u16_e32 vcc, s16, v6
	s_mov_b64 s[16:17], -1
                                        ; implicit-def: $sgpr22
	s_and_saveexec_b64 s[20:21], vcc
; %bb.1203:
	s_movk_i32 s22, 0x7e00
	s_xor_b64 s[16:17], exec, -1
; %bb.1204:
	s_or_b64 exec, exec, s[20:21]
	s_and_b64 s[16:17], s[16:17], exec
	s_or_saveexec_b64 s[18:19], s[18:19]
	v_mov_b32_e32 v4, s22
	s_xor_b64 exec, exec, s[18:19]
	s_cbranch_execnz .LBB22_1225
.LBB22_1205:
	s_or_b64 exec, exec, s[18:19]
	s_and_saveexec_b64 s[18:19], s[16:17]
	s_cbranch_execz .LBB22_1207
.LBB22_1206:
	v_lshlrev_b32_e32 v4, 24, v6
	v_and_b32_e32 v6, 0xffff, v6
	v_and_b32_e32 v7, 3, v6
	v_ffbh_u32_e32 v9, v7
	v_min_u32_e32 v9, 32, v9
	v_subrev_u32_e32 v10, 29, v9
	v_bfe_u32 v8, v6, 2, 5
	v_lshlrev_b32_e32 v6, v10, v6
	v_sub_u32_e32 v9, 30, v9
	v_and_b32_e32 v6, 3, v6
	v_cmp_eq_u32_e32 vcc, 0, v8
	v_cndmask_b32_e32 v8, v8, v9, vcc
	v_cndmask_b32_e32 v6, v7, v6, vcc
	v_mov_b32_e32 v7, 0x37800000
	v_lshlrev_b32_e32 v6, 21, v6
	v_and_b32_e32 v4, 0x80000000, v4
	v_lshl_add_u32 v7, v8, 23, v7
	v_or3_b32 v4, v4, v7, v6
	v_cvt_f16_f32_e32 v4, v4
.LBB22_1207:
	s_or_b64 exec, exec, s[18:19]
	s_mov_b64 s[16:17], 0
	s_branch .LBB22_1213
.LBB22_1208:
	s_mov_b64 s[16:17], -1
                                        ; implicit-def: $vgpr4
	s_branch .LBB22_1219
.LBB22_1209:
	s_or_saveexec_b64 s[20:21], s[20:21]
	v_mov_b32_e32 v4, s24
	s_xor_b64 exec, exec, s[20:21]
	s_cbranch_execz .LBB22_1193
.LBB22_1210:
	v_cmp_ne_u16_e32 vcc, 0, v6
	s_andn2_b64 s[18:19], s[18:19], exec
	s_and_b64 s[22:23], vcc, exec
	s_or_b64 s[18:19], s[18:19], s[22:23]
	v_mov_b32_e32 v4, v6
	s_or_b64 exec, exec, s[20:21]
	s_and_saveexec_b64 s[20:21], s[18:19]
	s_cbranch_execnz .LBB22_1194
	s_branch .LBB22_1195
.LBB22_1211:
	s_mov_b64 s[16:17], -1
                                        ; implicit-def: $vgpr4
	s_branch .LBB22_1216
.LBB22_1212:
	s_mov_b64 s[16:17], -1
                                        ; implicit-def: $vgpr4
.LBB22_1213:
	s_and_b64 vcc, exec, s[16:17]
	s_cbranch_vccz .LBB22_1215
; %bb.1214:
	global_load_ubyte v4, v[0:1], off
	s_mov_b32 s16, 0x7f800000
	s_waitcnt vmcnt(0)
	v_lshlrev_b32_e32 v4, 24, v4
	v_and_b32_e32 v6, 0x7f000000, v4
	v_ffbh_u32_e32 v7, v6
	v_min_u32_e32 v7, 32, v7
	v_sub_u32_e64 v7, v7, 4 clamp
	v_lshlrev_b32_e32 v9, v7, v6
	v_lshlrev_b32_e32 v7, 23, v7
	v_lshrrev_b32_e32 v9, 4, v9
	v_add_u32_e32 v8, 0x1000000, v6
	v_sub_u32_e32 v7, v9, v7
	v_ashrrev_i32_e32 v8, 8, v8
	v_add_u32_e32 v7, 0x3c000000, v7
	v_and_or_b32 v7, v8, s16, v7
	v_cmp_ne_u32_e32 vcc, 0, v6
	v_cndmask_b32_e32 v6, 0, v7, vcc
	s_brev_b32 s16, 1
	v_and_or_b32 v4, v4, s16, v6
	v_cvt_f16_f32_e32 v4, v4
.LBB22_1215:
	s_mov_b64 s[16:17], 0
.LBB22_1216:
	s_andn2_b64 vcc, exec, s[16:17]
	s_cbranch_vccnz .LBB22_1218
; %bb.1217:
	global_load_ubyte v4, v[0:1], off
	s_movk_i32 s16, 0x7f00
	s_brev_b32 s17, 16
	s_waitcnt vmcnt(0)
	v_lshlrev_b16_e32 v6, 8, v4
	v_lshlrev_b32_e32 v4, 25, v4
	v_lshrrev_b32_e32 v7, 4, v4
	v_and_or_b32 v8, v6, s16, 0.5
	v_or_b32_e32 v7, 0x70000000, v7
	v_add_f32_e32 v8, -0.5, v8
	v_mul_f32_e32 v7, 0x7800000, v7
	v_cmp_gt_u32_e32 vcc, s17, v4
	v_bfe_i32 v6, v6, 0, 16
	v_cndmask_b32_e32 v4, v7, v8, vcc
	s_brev_b32 s16, 1
	v_and_or_b32 v4, v6, s16, v4
	v_cvt_f16_f32_e32 v4, v4
.LBB22_1218:
	s_mov_b64 s[16:17], 0
	s_mov_b64 s[18:19], -1
.LBB22_1219:
	s_andn2_b64 vcc, exec, s[16:17]
	s_mov_b64 s[16:17], 0
	s_cbranch_vccnz .LBB22_1230
; %bb.1220:
	v_cmp_gt_i16_e64 s[16:17], s43, 14
	s_and_b64 vcc, exec, s[16:17]
	s_cbranch_vccz .LBB22_1223
; %bb.1221:
	v_cmp_eq_u16_e64 s[4:5], s43, 15
	s_and_b64 vcc, exec, s[4:5]
	s_cbranch_vccz .LBB22_1226
; %bb.1222:
	global_load_ushort v4, v[0:1], off
	s_mov_b64 s[4:5], 0
	s_mov_b64 s[18:19], -1
	s_waitcnt vmcnt(0)
	v_lshlrev_b32_e32 v4, 16, v4
	v_cvt_f16_f32_e32 v4, v4
	s_branch .LBB22_1227
.LBB22_1223:
	s_mov_b64 s[20:21], -1
                                        ; implicit-def: $vgpr4
	s_branch .LBB22_1228
.LBB22_1224:
	s_or_saveexec_b64 s[18:19], s[18:19]
	v_mov_b32_e32 v4, s22
	s_xor_b64 exec, exec, s[18:19]
	s_cbranch_execz .LBB22_1205
.LBB22_1225:
	v_cmp_ne_u16_e32 vcc, 0, v6
	s_andn2_b64 s[16:17], s[16:17], exec
	s_and_b64 s[20:21], vcc, exec
	s_or_b64 s[16:17], s[16:17], s[20:21]
	v_mov_b32_e32 v4, v6
	s_or_b64 exec, exec, s[18:19]
	s_and_saveexec_b64 s[18:19], s[16:17]
	s_cbranch_execnz .LBB22_1206
	s_branch .LBB22_1207
.LBB22_1226:
	s_mov_b64 s[4:5], -1
                                        ; implicit-def: $vgpr4
.LBB22_1227:
	s_mov_b64 s[20:21], 0
.LBB22_1228:
	s_mov_b64 s[16:17], 0
	s_and_b64 vcc, exec, s[20:21]
	s_cbranch_vccz .LBB22_1230
; %bb.1229:
	v_cmp_ne_u16_e64 s[4:5], s43, 11
	s_mov_b64 s[16:17], -1
                                        ; implicit-def: $vgpr4
.LBB22_1230:
	s_and_b64 vcc, exec, s[4:5]
	s_cbranch_vccnz .LBB22_1293
; %bb.1231:
	s_andn2_b64 vcc, exec, s[16:17]
	s_cbranch_vccnz .LBB22_1233
.LBB22_1232:
	global_load_ubyte v4, v[0:1], off
	v_mov_b32_e32 v6, 0x3c00
	s_mov_b64 s[18:19], -1
	s_waitcnt vmcnt(0)
	v_cmp_ne_u16_e32 vcc, 0, v4
	v_cndmask_b32_e32 v4, 0, v6, vcc
.LBB22_1233:
	s_branch .LBB22_1160
.LBB22_1234:
	v_cmp_lt_i16_e64 s[4:5], s43, 5
	s_and_b64 vcc, exec, s[4:5]
	s_cbranch_vccnz .LBB22_1239
; %bb.1235:
	v_cmp_lt_i16_e64 s[4:5], s43, 8
	s_and_b64 vcc, exec, s[4:5]
	s_cbranch_vccnz .LBB22_1240
; %bb.1236:
	;; [unrolled: 4-line block ×3, first 2 shown]
	v_cmp_gt_i16_e64 s[4:5], s43, 9
	s_and_b64 vcc, exec, s[4:5]
	s_cbranch_vccz .LBB22_1242
; %bb.1238:
	global_load_dwordx2 v[6:7], v[0:1], off
	s_mov_b64 s[4:5], 0
	s_waitcnt vmcnt(0)
	v_cvt_f32_f64_e32 v4, v[6:7]
	v_cvt_f16_f32_e32 v4, v4
	s_branch .LBB22_1243
.LBB22_1239:
                                        ; implicit-def: $vgpr4
	s_branch .LBB22_1261
.LBB22_1240:
	s_mov_b64 s[4:5], -1
                                        ; implicit-def: $vgpr4
	s_branch .LBB22_1249
.LBB22_1241:
	s_mov_b64 s[4:5], -1
                                        ; implicit-def: $vgpr4
	s_branch .LBB22_1246
.LBB22_1242:
	s_mov_b64 s[4:5], -1
                                        ; implicit-def: $vgpr4
.LBB22_1243:
	s_andn2_b64 vcc, exec, s[4:5]
	s_cbranch_vccnz .LBB22_1245
; %bb.1244:
	global_load_dword v4, v[0:1], off
	s_waitcnt vmcnt(0)
	v_cvt_f16_f32_e32 v4, v4
.LBB22_1245:
	s_mov_b64 s[4:5], 0
.LBB22_1246:
	s_andn2_b64 vcc, exec, s[4:5]
	s_cbranch_vccnz .LBB22_1248
; %bb.1247:
	global_load_dword v4, v[0:1], off
.LBB22_1248:
	s_mov_b64 s[4:5], 0
.LBB22_1249:
	s_andn2_b64 vcc, exec, s[4:5]
	s_cbranch_vccnz .LBB22_1260
; %bb.1250:
	v_cmp_lt_i16_e64 s[4:5], s43, 6
	s_and_b64 vcc, exec, s[4:5]
	s_cbranch_vccnz .LBB22_1253
; %bb.1251:
	v_cmp_gt_i16_e64 s[4:5], s43, 6
	s_and_b64 vcc, exec, s[4:5]
	s_cbranch_vccz .LBB22_1254
; %bb.1252:
	global_load_dwordx2 v[6:7], v[0:1], off
	s_mov_b64 s[4:5], 0
	s_waitcnt vmcnt(0)
	v_cvt_f32_f64_e32 v4, v[6:7]
	v_cvt_f16_f32_e32 v4, v4
	s_branch .LBB22_1255
.LBB22_1253:
	s_mov_b64 s[4:5], -1
                                        ; implicit-def: $vgpr4
	s_branch .LBB22_1258
.LBB22_1254:
	s_mov_b64 s[4:5], -1
                                        ; implicit-def: $vgpr4
.LBB22_1255:
	s_andn2_b64 vcc, exec, s[4:5]
	s_cbranch_vccnz .LBB22_1257
; %bb.1256:
	global_load_dword v4, v[0:1], off
	s_waitcnt vmcnt(0)
	v_cvt_f16_f32_e32 v4, v4
.LBB22_1257:
	s_mov_b64 s[4:5], 0
.LBB22_1258:
	s_andn2_b64 vcc, exec, s[4:5]
	s_cbranch_vccnz .LBB22_1260
; %bb.1259:
	global_load_ushort v4, v[0:1], off
.LBB22_1260:
	s_cbranch_execnz .LBB22_1280
.LBB22_1261:
	v_cmp_lt_i16_e64 s[4:5], s43, 2
	s_and_b64 vcc, exec, s[4:5]
	s_cbranch_vccnz .LBB22_1265
; %bb.1262:
	v_cmp_lt_i16_e64 s[4:5], s43, 3
	s_and_b64 vcc, exec, s[4:5]
	s_cbranch_vccnz .LBB22_1266
; %bb.1263:
	v_cmp_gt_i16_e64 s[4:5], s43, 3
	s_and_b64 vcc, exec, s[4:5]
	s_cbranch_vccz .LBB22_1267
; %bb.1264:
	global_load_dwordx2 v[6:7], v[0:1], off
	s_mov_b64 s[4:5], 0
	s_waitcnt vmcnt(0)
	v_xor_b32_e32 v8, v6, v7
	v_ffbh_i32_e32 v4, v7
	v_ashrrev_i32_e32 v8, 31, v8
	v_add_u32_e32 v4, -1, v4
	v_add_u32_e32 v8, 32, v8
	v_min_u32_e32 v4, v4, v8
	v_lshlrev_b64 v[6:7], v4, v[6:7]
	v_min_u32_e32 v6, 1, v6
	v_or_b32_e32 v6, v7, v6
	v_cvt_f32_i32_e32 v6, v6
	v_sub_u32_e32 v4, 32, v4
	v_ldexp_f32 v4, v6, v4
	v_cvt_f16_f32_e32 v4, v4
	s_branch .LBB22_1268
.LBB22_1265:
	s_mov_b64 s[4:5], -1
                                        ; implicit-def: $vgpr4
	s_branch .LBB22_1274
.LBB22_1266:
	s_mov_b64 s[4:5], -1
                                        ; implicit-def: $vgpr4
	s_branch .LBB22_1271
.LBB22_1267:
	s_mov_b64 s[4:5], -1
                                        ; implicit-def: $vgpr4
.LBB22_1268:
	s_andn2_b64 vcc, exec, s[4:5]
	s_cbranch_vccnz .LBB22_1270
; %bb.1269:
	global_load_dword v4, v[0:1], off
	s_waitcnt vmcnt(0)
	v_cvt_f32_i32_e32 v4, v4
	v_cvt_f16_f32_e32 v4, v4
.LBB22_1270:
	s_mov_b64 s[4:5], 0
.LBB22_1271:
	s_andn2_b64 vcc, exec, s[4:5]
	s_cbranch_vccnz .LBB22_1273
; %bb.1272:
	global_load_ushort v4, v[0:1], off
	s_waitcnt vmcnt(0)
	v_cvt_f16_i16_e32 v4, v4
.LBB22_1273:
	s_mov_b64 s[4:5], 0
.LBB22_1274:
	s_andn2_b64 vcc, exec, s[4:5]
	s_cbranch_vccnz .LBB22_1280
; %bb.1275:
	v_cmp_gt_i16_e64 s[4:5], s43, 0
	s_and_b64 vcc, exec, s[4:5]
	s_cbranch_vccz .LBB22_1277
; %bb.1276:
	global_load_sbyte v4, v[0:1], off
	s_mov_b64 s[4:5], 0
	s_waitcnt vmcnt(0)
	v_cvt_f16_i16_e32 v4, v4
	s_branch .LBB22_1278
.LBB22_1277:
	s_mov_b64 s[4:5], -1
                                        ; implicit-def: $vgpr4
.LBB22_1278:
	s_andn2_b64 vcc, exec, s[4:5]
	s_cbranch_vccnz .LBB22_1280
; %bb.1279:
	global_load_ubyte v0, v[0:1], off
	s_waitcnt vmcnt(0)
	v_cvt_f16_u16_e32 v4, v0
.LBB22_1280:
.LBB22_1281:
	v_add_u32_e32 v6, s3, v5
	v_ashrrev_i32_e32 v1, 31, v6
	v_mov_b32_e32 v5, s11
	v_add_co_u32_e32 v0, vcc, s10, v6
	v_addc_co_u32_e32 v1, vcc, v5, v1, vcc
	s_and_b64 vcc, exec, s[0:1]
	s_cbranch_vccnz .LBB22_1288
; %bb.1282:
	v_cmp_gt_i16_e64 s[4:5], s43, 25
	s_mov_b64 s[16:17], 0
	s_and_b64 vcc, exec, s[4:5]
	s_cbranch_vccz .LBB22_1290
; %bb.1283:
	v_cmp_gt_i16_e64 s[4:5], s43, 28
	s_and_b64 vcc, exec, s[4:5]
	s_cbranch_vccz .LBB22_1291
; %bb.1284:
	v_cmp_gt_i16_e64 s[4:5], s43, 43
	;; [unrolled: 4-line block ×3, first 2 shown]
	s_and_b64 vcc, exec, s[4:5]
	s_cbranch_vccz .LBB22_1294
; %bb.1286:
	v_cmp_eq_u16_e64 s[4:5], s43, 46
	s_mov_b64 s[20:21], 0
	s_and_b64 vcc, exec, s[4:5]
	s_cbranch_vccz .LBB22_1295
; %bb.1287:
	global_load_dword v5, v[0:1], off
	s_mov_b64 s[4:5], 0
	s_mov_b64 s[18:19], -1
	s_waitcnt vmcnt(0)
	v_lshlrev_b32_e32 v5, 16, v5
	v_cvt_f16_f32_e32 v5, v5
	s_branch .LBB22_1296
.LBB22_1288:
	s_mov_b64 s[18:19], 0
                                        ; implicit-def: $vgpr5
	s_cbranch_execnz .LBB22_1362
.LBB22_1289:
	s_andn2_b64 vcc, exec, s[18:19]
	s_cbranch_vccnz .LBB22_1993
	s_branch .LBB22_1410
.LBB22_1290:
	s_mov_b64 s[20:21], -1
	s_mov_b64 s[18:19], 0
	s_mov_b64 s[4:5], 0
                                        ; implicit-def: $vgpr5
	s_branch .LBB22_1325
.LBB22_1291:
	s_mov_b64 s[20:21], -1
	s_mov_b64 s[18:19], 0
	s_mov_b64 s[4:5], 0
                                        ; implicit-def: $vgpr5
	s_branch .LBB22_1306
.LBB22_1292:
	s_mov_b64 s[20:21], -1
	s_mov_b64 s[18:19], 0
	s_mov_b64 s[4:5], 0
                                        ; implicit-def: $vgpr5
	s_branch .LBB22_1301
.LBB22_1293:
	s_trap 2
	s_or_b64 s[14:15], s[14:15], exec
                                        ; implicit-def: $vgpr4
	s_cbranch_execz .LBB22_1232
	s_branch .LBB22_1233
.LBB22_1294:
	s_mov_b64 s[20:21], -1
	s_mov_b64 s[18:19], 0
	s_mov_b64 s[4:5], 0
                                        ; implicit-def: $vgpr5
	s_branch .LBB22_1296
.LBB22_1295:
	s_mov_b64 s[4:5], -1
                                        ; implicit-def: $vgpr5
	s_mov_b64 s[18:19], 0
.LBB22_1296:
	s_and_b64 vcc, exec, s[20:21]
	s_cbranch_vccz .LBB22_1300
; %bb.1297:
	v_cmp_eq_u16_e64 s[4:5], s43, 44
	s_and_b64 vcc, exec, s[4:5]
	s_cbranch_vccz .LBB22_1299
; %bb.1298:
	global_load_ubyte v5, v[0:1], off
	s_movk_i32 s18, 0xff
	v_mov_b32_e32 v8, 0x7e00
	s_mov_b64 s[4:5], 0
	s_waitcnt vmcnt(0)
	v_lshlrev_b32_e32 v7, 23, v5
	v_cvt_f16_f32_e32 v7, v7
	v_cmp_ne_u32_e32 vcc, s18, v5
	s_mov_b64 s[18:19], -1
	v_cndmask_b32_e32 v7, v8, v7, vcc
	v_cmp_ne_u32_e32 vcc, 0, v5
	v_cndmask_b32_e32 v5, 0, v7, vcc
	s_branch .LBB22_1300
.LBB22_1299:
	s_mov_b64 s[4:5], -1
                                        ; implicit-def: $vgpr5
.LBB22_1300:
	s_mov_b64 s[20:21], 0
.LBB22_1301:
	s_and_b64 vcc, exec, s[20:21]
	s_cbranch_vccz .LBB22_1305
; %bb.1302:
	v_cmp_eq_u16_e64 s[4:5], s43, 29
	s_and_b64 vcc, exec, s[4:5]
	s_cbranch_vccz .LBB22_1304
; %bb.1303:
	global_load_dwordx2 v[8:9], v[0:1], off
	s_mov_b64 s[4:5], 0
	s_mov_b64 s[18:19], -1
	s_mov_b64 s[20:21], 0
	s_waitcnt vmcnt(0)
	v_ffbh_u32_e32 v5, v9
	v_min_u32_e32 v5, 32, v5
	v_lshlrev_b64 v[8:9], v5, v[8:9]
	v_min_u32_e32 v7, 1, v8
	v_or_b32_e32 v7, v9, v7
	v_cvt_f32_u32_e32 v7, v7
	v_sub_u32_e32 v5, 32, v5
	v_ldexp_f32 v5, v7, v5
	v_cvt_f16_f32_e32 v5, v5
	s_branch .LBB22_1306
.LBB22_1304:
	s_mov_b64 s[4:5], -1
                                        ; implicit-def: $vgpr5
.LBB22_1305:
	s_mov_b64 s[20:21], 0
.LBB22_1306:
	s_and_b64 vcc, exec, s[20:21]
	s_cbranch_vccz .LBB22_1324
; %bb.1307:
	v_cmp_lt_i16_e64 s[18:19], s43, 27
	s_and_b64 vcc, exec, s[18:19]
	s_cbranch_vccnz .LBB22_1310
; %bb.1308:
	v_cmp_gt_i16_e64 s[18:19], s43, 27
	s_and_b64 vcc, exec, s[18:19]
	s_cbranch_vccz .LBB22_1311
; %bb.1309:
	global_load_dword v5, v[0:1], off
	s_mov_b64 s[18:19], 0
	s_waitcnt vmcnt(0)
	v_cvt_f32_u32_e32 v5, v5
	v_cvt_f16_f32_e32 v5, v5
	s_branch .LBB22_1312
.LBB22_1310:
	s_mov_b64 s[18:19], -1
                                        ; implicit-def: $vgpr5
	s_branch .LBB22_1315
.LBB22_1311:
	s_mov_b64 s[18:19], -1
                                        ; implicit-def: $vgpr5
.LBB22_1312:
	s_andn2_b64 vcc, exec, s[18:19]
	s_cbranch_vccnz .LBB22_1314
; %bb.1313:
	global_load_ushort v5, v[0:1], off
	s_waitcnt vmcnt(0)
	v_cvt_f16_u16_e32 v5, v5
.LBB22_1314:
	s_mov_b64 s[18:19], 0
.LBB22_1315:
	s_andn2_b64 vcc, exec, s[18:19]
	s_cbranch_vccnz .LBB22_1323
; %bb.1316:
	global_load_ubyte v7, v[0:1], off
	s_movk_i32 s18, 0x7f
                                        ; implicit-def: $sgpr24
	s_waitcnt vmcnt(0)
	v_cmp_lt_i16_e32 vcc, s18, v7
	s_mov_b64 s[18:19], 0
	s_and_saveexec_b64 s[20:21], vcc
	s_xor_b64 s[20:21], exec, s[20:21]
	s_cbranch_execz .LBB22_1337
; %bb.1317:
	s_movk_i32 s18, 0x80
	v_cmp_eq_u16_e32 vcc, s18, v7
	s_mov_b64 s[18:19], -1
                                        ; implicit-def: $sgpr24
	s_and_saveexec_b64 s[22:23], vcc
; %bb.1318:
	s_movk_i32 s24, 0x7e00
	s_xor_b64 s[18:19], exec, -1
; %bb.1319:
	s_or_b64 exec, exec, s[22:23]
	s_and_b64 s[18:19], s[18:19], exec
	s_or_saveexec_b64 s[20:21], s[20:21]
	v_mov_b32_e32 v5, s24
	s_xor_b64 exec, exec, s[20:21]
	s_cbranch_execnz .LBB22_1338
.LBB22_1320:
	s_or_b64 exec, exec, s[20:21]
	s_and_saveexec_b64 s[20:21], s[18:19]
	s_cbranch_execz .LBB22_1322
.LBB22_1321:
	v_lshlrev_b32_e32 v5, 24, v7
	v_and_b32_e32 v7, 0xffff, v7
	v_and_b32_e32 v8, 7, v7
	v_ffbh_u32_e32 v10, v8
	v_min_u32_e32 v10, 32, v10
	v_subrev_u32_e32 v11, 28, v10
	v_bfe_u32 v9, v7, 3, 4
	v_lshlrev_b32_e32 v7, v11, v7
	v_sub_u32_e32 v10, 29, v10
	v_and_b32_e32 v7, 7, v7
	v_cmp_eq_u32_e32 vcc, 0, v9
	v_cndmask_b32_e32 v9, v9, v10, vcc
	v_cndmask_b32_e32 v7, v8, v7, vcc
	v_mov_b32_e32 v8, 0x3b800000
	v_lshlrev_b32_e32 v7, 20, v7
	v_and_b32_e32 v5, 0x80000000, v5
	v_lshl_add_u32 v8, v9, 23, v8
	v_or3_b32 v5, v5, v8, v7
	v_cvt_f16_f32_e32 v5, v5
.LBB22_1322:
	s_or_b64 exec, exec, s[20:21]
.LBB22_1323:
	s_mov_b64 s[18:19], -1
.LBB22_1324:
	s_mov_b64 s[20:21], 0
.LBB22_1325:
	s_and_b64 vcc, exec, s[20:21]
	s_cbranch_vccz .LBB22_1358
; %bb.1326:
	v_cmp_gt_i16_e64 s[16:17], s43, 22
	s_and_b64 vcc, exec, s[16:17]
	s_cbranch_vccz .LBB22_1336
; %bb.1327:
	v_cmp_lt_i16_e64 s[16:17], s43, 24
	s_and_b64 vcc, exec, s[16:17]
	s_cbranch_vccnz .LBB22_1339
; %bb.1328:
	v_cmp_gt_i16_e64 s[16:17], s43, 24
	s_and_b64 vcc, exec, s[16:17]
	s_cbranch_vccz .LBB22_1340
; %bb.1329:
	global_load_ubyte v7, v[0:1], off
	s_movk_i32 s16, 0x7f
                                        ; implicit-def: $sgpr22
	s_waitcnt vmcnt(0)
	v_cmp_lt_i16_e32 vcc, s16, v7
	s_mov_b64 s[16:17], 0
	s_and_saveexec_b64 s[18:19], vcc
	s_xor_b64 s[18:19], exec, s[18:19]
	s_cbranch_execz .LBB22_1352
; %bb.1330:
	s_movk_i32 s16, 0x80
	v_cmp_eq_u16_e32 vcc, s16, v7
	s_mov_b64 s[16:17], -1
                                        ; implicit-def: $sgpr22
	s_and_saveexec_b64 s[20:21], vcc
; %bb.1331:
	s_movk_i32 s22, 0x7e00
	s_xor_b64 s[16:17], exec, -1
; %bb.1332:
	s_or_b64 exec, exec, s[20:21]
	s_and_b64 s[16:17], s[16:17], exec
	s_or_saveexec_b64 s[18:19], s[18:19]
	v_mov_b32_e32 v5, s22
	s_xor_b64 exec, exec, s[18:19]
	s_cbranch_execnz .LBB22_1353
.LBB22_1333:
	s_or_b64 exec, exec, s[18:19]
	s_and_saveexec_b64 s[18:19], s[16:17]
	s_cbranch_execz .LBB22_1335
.LBB22_1334:
	v_lshlrev_b32_e32 v5, 24, v7
	v_and_b32_e32 v7, 0xffff, v7
	v_and_b32_e32 v8, 3, v7
	v_ffbh_u32_e32 v10, v8
	v_min_u32_e32 v10, 32, v10
	v_subrev_u32_e32 v11, 29, v10
	v_bfe_u32 v9, v7, 2, 5
	v_lshlrev_b32_e32 v7, v11, v7
	v_sub_u32_e32 v10, 30, v10
	v_and_b32_e32 v7, 3, v7
	v_cmp_eq_u32_e32 vcc, 0, v9
	v_cndmask_b32_e32 v9, v9, v10, vcc
	v_cndmask_b32_e32 v7, v8, v7, vcc
	v_mov_b32_e32 v8, 0x37800000
	v_lshlrev_b32_e32 v7, 21, v7
	v_and_b32_e32 v5, 0x80000000, v5
	v_lshl_add_u32 v8, v9, 23, v8
	v_or3_b32 v5, v5, v8, v7
	v_cvt_f16_f32_e32 v5, v5
.LBB22_1335:
	s_or_b64 exec, exec, s[18:19]
	s_mov_b64 s[16:17], 0
	s_branch .LBB22_1341
.LBB22_1336:
	s_mov_b64 s[16:17], -1
                                        ; implicit-def: $vgpr5
	s_branch .LBB22_1347
.LBB22_1337:
	s_or_saveexec_b64 s[20:21], s[20:21]
	v_mov_b32_e32 v5, s24
	s_xor_b64 exec, exec, s[20:21]
	s_cbranch_execz .LBB22_1320
.LBB22_1338:
	v_cmp_ne_u16_e32 vcc, 0, v7
	s_andn2_b64 s[18:19], s[18:19], exec
	s_and_b64 s[22:23], vcc, exec
	s_or_b64 s[18:19], s[18:19], s[22:23]
	v_mov_b32_e32 v5, v7
	s_or_b64 exec, exec, s[20:21]
	s_and_saveexec_b64 s[20:21], s[18:19]
	s_cbranch_execnz .LBB22_1321
	s_branch .LBB22_1322
.LBB22_1339:
	s_mov_b64 s[16:17], -1
                                        ; implicit-def: $vgpr5
	s_branch .LBB22_1344
.LBB22_1340:
	s_mov_b64 s[16:17], -1
                                        ; implicit-def: $vgpr5
.LBB22_1341:
	s_and_b64 vcc, exec, s[16:17]
	s_cbranch_vccz .LBB22_1343
; %bb.1342:
	global_load_ubyte v5, v[0:1], off
	s_mov_b32 s16, 0x7f800000
	s_waitcnt vmcnt(0)
	v_lshlrev_b32_e32 v5, 24, v5
	v_and_b32_e32 v7, 0x7f000000, v5
	v_ffbh_u32_e32 v8, v7
	v_min_u32_e32 v8, 32, v8
	v_sub_u32_e64 v8, v8, 4 clamp
	v_lshlrev_b32_e32 v10, v8, v7
	v_lshlrev_b32_e32 v8, 23, v8
	v_lshrrev_b32_e32 v10, 4, v10
	v_add_u32_e32 v9, 0x1000000, v7
	v_sub_u32_e32 v8, v10, v8
	v_ashrrev_i32_e32 v9, 8, v9
	v_add_u32_e32 v8, 0x3c000000, v8
	v_and_or_b32 v8, v9, s16, v8
	v_cmp_ne_u32_e32 vcc, 0, v7
	v_cndmask_b32_e32 v7, 0, v8, vcc
	s_brev_b32 s16, 1
	v_and_or_b32 v5, v5, s16, v7
	v_cvt_f16_f32_e32 v5, v5
.LBB22_1343:
	s_mov_b64 s[16:17], 0
.LBB22_1344:
	s_andn2_b64 vcc, exec, s[16:17]
	s_cbranch_vccnz .LBB22_1346
; %bb.1345:
	global_load_ubyte v5, v[0:1], off
	s_movk_i32 s16, 0x7f00
	s_brev_b32 s17, 16
	s_waitcnt vmcnt(0)
	v_lshlrev_b16_e32 v7, 8, v5
	v_lshlrev_b32_e32 v5, 25, v5
	v_lshrrev_b32_e32 v8, 4, v5
	v_and_or_b32 v9, v7, s16, 0.5
	v_or_b32_e32 v8, 0x70000000, v8
	v_add_f32_e32 v9, -0.5, v9
	v_mul_f32_e32 v8, 0x7800000, v8
	v_cmp_gt_u32_e32 vcc, s17, v5
	v_bfe_i32 v7, v7, 0, 16
	v_cndmask_b32_e32 v5, v8, v9, vcc
	s_brev_b32 s16, 1
	v_and_or_b32 v5, v7, s16, v5
	v_cvt_f16_f32_e32 v5, v5
.LBB22_1346:
	s_mov_b64 s[16:17], 0
	s_mov_b64 s[18:19], -1
.LBB22_1347:
	s_andn2_b64 vcc, exec, s[16:17]
	s_mov_b64 s[16:17], 0
	s_cbranch_vccnz .LBB22_1358
; %bb.1348:
	v_cmp_gt_i16_e64 s[16:17], s43, 14
	s_and_b64 vcc, exec, s[16:17]
	s_cbranch_vccz .LBB22_1351
; %bb.1349:
	v_cmp_eq_u16_e64 s[4:5], s43, 15
	s_and_b64 vcc, exec, s[4:5]
	s_cbranch_vccz .LBB22_1354
; %bb.1350:
	global_load_ushort v5, v[0:1], off
	s_mov_b64 s[4:5], 0
	s_mov_b64 s[18:19], -1
	s_waitcnt vmcnt(0)
	v_lshlrev_b32_e32 v5, 16, v5
	v_cvt_f16_f32_e32 v5, v5
	s_branch .LBB22_1355
.LBB22_1351:
	s_mov_b64 s[20:21], -1
                                        ; implicit-def: $vgpr5
	s_branch .LBB22_1356
.LBB22_1352:
	s_or_saveexec_b64 s[18:19], s[18:19]
	v_mov_b32_e32 v5, s22
	s_xor_b64 exec, exec, s[18:19]
	s_cbranch_execz .LBB22_1333
.LBB22_1353:
	v_cmp_ne_u16_e32 vcc, 0, v7
	s_andn2_b64 s[16:17], s[16:17], exec
	s_and_b64 s[20:21], vcc, exec
	s_or_b64 s[16:17], s[16:17], s[20:21]
	v_mov_b32_e32 v5, v7
	s_or_b64 exec, exec, s[18:19]
	s_and_saveexec_b64 s[18:19], s[16:17]
	s_cbranch_execnz .LBB22_1334
	s_branch .LBB22_1335
.LBB22_1354:
	s_mov_b64 s[4:5], -1
                                        ; implicit-def: $vgpr5
.LBB22_1355:
	s_mov_b64 s[20:21], 0
.LBB22_1356:
	s_mov_b64 s[16:17], 0
	s_and_b64 vcc, exec, s[20:21]
	s_cbranch_vccz .LBB22_1358
; %bb.1357:
	v_cmp_ne_u16_e64 s[4:5], s43, 11
	s_mov_b64 s[16:17], -1
                                        ; implicit-def: $vgpr5
.LBB22_1358:
	s_and_b64 vcc, exec, s[4:5]
	s_cbranch_vccnz .LBB22_1421
; %bb.1359:
	s_andn2_b64 vcc, exec, s[16:17]
	s_cbranch_vccnz .LBB22_1361
.LBB22_1360:
	global_load_ubyte v5, v[0:1], off
	v_mov_b32_e32 v7, 0x3c00
	s_mov_b64 s[18:19], -1
	s_waitcnt vmcnt(0)
	v_cmp_ne_u16_e32 vcc, 0, v5
	v_cndmask_b32_e32 v5, 0, v7, vcc
.LBB22_1361:
	s_branch .LBB22_1289
.LBB22_1362:
	v_cmp_lt_i16_e64 s[4:5], s43, 5
	s_and_b64 vcc, exec, s[4:5]
	s_cbranch_vccnz .LBB22_1367
; %bb.1363:
	v_cmp_lt_i16_e64 s[4:5], s43, 8
	s_and_b64 vcc, exec, s[4:5]
	s_cbranch_vccnz .LBB22_1368
; %bb.1364:
	;; [unrolled: 4-line block ×3, first 2 shown]
	v_cmp_gt_i16_e64 s[4:5], s43, 9
	s_and_b64 vcc, exec, s[4:5]
	s_cbranch_vccz .LBB22_1370
; %bb.1366:
	global_load_dwordx2 v[8:9], v[0:1], off
	s_mov_b64 s[4:5], 0
	s_waitcnt vmcnt(0)
	v_cvt_f32_f64_e32 v5, v[8:9]
	v_cvt_f16_f32_e32 v5, v5
	s_branch .LBB22_1371
.LBB22_1367:
	s_mov_b64 s[4:5], -1
                                        ; implicit-def: $vgpr5
	s_branch .LBB22_1389
.LBB22_1368:
	s_mov_b64 s[4:5], -1
                                        ; implicit-def: $vgpr5
	s_branch .LBB22_1377
.LBB22_1369:
	s_mov_b64 s[4:5], -1
                                        ; implicit-def: $vgpr5
	s_branch .LBB22_1374
.LBB22_1370:
	s_mov_b64 s[4:5], -1
                                        ; implicit-def: $vgpr5
.LBB22_1371:
	s_andn2_b64 vcc, exec, s[4:5]
	s_cbranch_vccnz .LBB22_1373
; %bb.1372:
	global_load_dword v5, v[0:1], off
	s_waitcnt vmcnt(0)
	v_cvt_f16_f32_e32 v5, v5
.LBB22_1373:
	s_mov_b64 s[4:5], 0
.LBB22_1374:
	s_andn2_b64 vcc, exec, s[4:5]
	s_cbranch_vccnz .LBB22_1376
; %bb.1375:
	global_load_dword v5, v[0:1], off
.LBB22_1376:
	s_mov_b64 s[4:5], 0
.LBB22_1377:
	s_andn2_b64 vcc, exec, s[4:5]
	s_cbranch_vccnz .LBB22_1388
; %bb.1378:
	v_cmp_lt_i16_e64 s[4:5], s43, 6
	s_and_b64 vcc, exec, s[4:5]
	s_cbranch_vccnz .LBB22_1381
; %bb.1379:
	v_cmp_gt_i16_e64 s[4:5], s43, 6
	s_and_b64 vcc, exec, s[4:5]
	s_cbranch_vccz .LBB22_1382
; %bb.1380:
	global_load_dwordx2 v[8:9], v[0:1], off
	s_mov_b64 s[4:5], 0
	s_waitcnt vmcnt(0)
	v_cvt_f32_f64_e32 v5, v[8:9]
	v_cvt_f16_f32_e32 v5, v5
	s_branch .LBB22_1383
.LBB22_1381:
	s_mov_b64 s[4:5], -1
                                        ; implicit-def: $vgpr5
	s_branch .LBB22_1386
.LBB22_1382:
	s_mov_b64 s[4:5], -1
                                        ; implicit-def: $vgpr5
.LBB22_1383:
	s_andn2_b64 vcc, exec, s[4:5]
	s_cbranch_vccnz .LBB22_1385
; %bb.1384:
	global_load_dword v5, v[0:1], off
	s_waitcnt vmcnt(0)
	v_cvt_f16_f32_e32 v5, v5
.LBB22_1385:
	s_mov_b64 s[4:5], 0
.LBB22_1386:
	s_andn2_b64 vcc, exec, s[4:5]
	s_cbranch_vccnz .LBB22_1388
; %bb.1387:
	global_load_ushort v5, v[0:1], off
.LBB22_1388:
	s_mov_b64 s[4:5], 0
.LBB22_1389:
	s_andn2_b64 vcc, exec, s[4:5]
	s_cbranch_vccnz .LBB22_1409
; %bb.1390:
	v_cmp_lt_i16_e64 s[4:5], s43, 2
	s_and_b64 vcc, exec, s[4:5]
	s_cbranch_vccnz .LBB22_1394
; %bb.1391:
	v_cmp_lt_i16_e64 s[4:5], s43, 3
	s_and_b64 vcc, exec, s[4:5]
	s_cbranch_vccnz .LBB22_1395
; %bb.1392:
	v_cmp_gt_i16_e64 s[4:5], s43, 3
	s_and_b64 vcc, exec, s[4:5]
	s_cbranch_vccz .LBB22_1396
; %bb.1393:
	global_load_dwordx2 v[8:9], v[0:1], off
	s_mov_b64 s[4:5], 0
	s_waitcnt vmcnt(0)
	v_xor_b32_e32 v7, v8, v9
	v_ffbh_i32_e32 v5, v9
	v_ashrrev_i32_e32 v7, 31, v7
	v_add_u32_e32 v5, -1, v5
	v_add_u32_e32 v7, 32, v7
	v_min_u32_e32 v5, v5, v7
	v_lshlrev_b64 v[8:9], v5, v[8:9]
	v_min_u32_e32 v7, 1, v8
	v_or_b32_e32 v7, v9, v7
	v_cvt_f32_i32_e32 v7, v7
	v_sub_u32_e32 v5, 32, v5
	v_ldexp_f32 v5, v7, v5
	v_cvt_f16_f32_e32 v5, v5
	s_branch .LBB22_1397
.LBB22_1394:
	s_mov_b64 s[4:5], -1
                                        ; implicit-def: $vgpr5
	s_branch .LBB22_1403
.LBB22_1395:
	s_mov_b64 s[4:5], -1
                                        ; implicit-def: $vgpr5
	s_branch .LBB22_1400
.LBB22_1396:
	s_mov_b64 s[4:5], -1
                                        ; implicit-def: $vgpr5
.LBB22_1397:
	s_andn2_b64 vcc, exec, s[4:5]
	s_cbranch_vccnz .LBB22_1399
; %bb.1398:
	global_load_dword v5, v[0:1], off
	s_waitcnt vmcnt(0)
	v_cvt_f32_i32_e32 v5, v5
	v_cvt_f16_f32_e32 v5, v5
.LBB22_1399:
	s_mov_b64 s[4:5], 0
.LBB22_1400:
	s_andn2_b64 vcc, exec, s[4:5]
	s_cbranch_vccnz .LBB22_1402
; %bb.1401:
	global_load_ushort v5, v[0:1], off
	s_waitcnt vmcnt(0)
	v_cvt_f16_i16_e32 v5, v5
.LBB22_1402:
	s_mov_b64 s[4:5], 0
.LBB22_1403:
	s_andn2_b64 vcc, exec, s[4:5]
	s_cbranch_vccnz .LBB22_1409
; %bb.1404:
	v_cmp_gt_i16_e64 s[4:5], s43, 0
	s_and_b64 vcc, exec, s[4:5]
	s_cbranch_vccz .LBB22_1406
; %bb.1405:
	global_load_sbyte v5, v[0:1], off
	s_mov_b64 s[4:5], 0
	s_waitcnt vmcnt(0)
	v_cvt_f16_i16_e32 v5, v5
	s_branch .LBB22_1407
.LBB22_1406:
	s_mov_b64 s[4:5], -1
                                        ; implicit-def: $vgpr5
.LBB22_1407:
	s_andn2_b64 vcc, exec, s[4:5]
	s_cbranch_vccnz .LBB22_1409
; %bb.1408:
	global_load_ubyte v0, v[0:1], off
	s_waitcnt vmcnt(0)
	v_cvt_f16_u16_e32 v5, v0
.LBB22_1409:
.LBB22_1410:
	v_add_u32_e32 v0, s3, v6
	v_ashrrev_i32_e32 v1, 31, v0
	v_mov_b32_e32 v6, s11
	v_add_co_u32_e32 v0, vcc, s10, v0
	v_addc_co_u32_e32 v1, vcc, v6, v1, vcc
	s_and_b64 vcc, exec, s[0:1]
	s_cbranch_vccnz .LBB22_1417
; %bb.1411:
	v_cmp_gt_i16_e64 s[0:1], s43, 25
	s_mov_b64 s[4:5], 0
	s_and_b64 vcc, exec, s[0:1]
	s_cbranch_vccz .LBB22_1418
; %bb.1412:
	v_cmp_gt_i16_e64 s[0:1], s43, 28
	s_and_b64 vcc, exec, s[0:1]
	s_cbranch_vccz .LBB22_1419
; %bb.1413:
	v_cmp_gt_i16_e64 s[0:1], s43, 43
	;; [unrolled: 4-line block ×3, first 2 shown]
	s_and_b64 vcc, exec, s[0:1]
	s_cbranch_vccz .LBB22_1422
; %bb.1415:
	v_cmp_eq_u16_e64 s[0:1], s43, 46
	s_mov_b64 s[16:17], 0
	s_and_b64 vcc, exec, s[0:1]
	s_cbranch_vccz .LBB22_1423
; %bb.1416:
	global_load_dword v6, v[0:1], off
	s_mov_b64 s[0:1], 0
	s_mov_b64 s[10:11], -1
	s_waitcnt vmcnt(0)
	v_lshlrev_b32_e32 v6, 16, v6
	v_cvt_f16_f32_e32 v6, v6
	s_branch .LBB22_1424
.LBB22_1417:
	s_mov_b64 s[0:1], -1
	s_mov_b64 s[10:11], 0
                                        ; implicit-def: $vgpr6
	s_branch .LBB22_1490
.LBB22_1418:
	s_mov_b64 s[16:17], -1
	s_mov_b64 s[10:11], 0
	s_mov_b64 s[0:1], 0
                                        ; implicit-def: $vgpr6
	s_branch .LBB22_1453
.LBB22_1419:
	s_mov_b64 s[16:17], -1
	s_mov_b64 s[10:11], 0
	s_mov_b64 s[0:1], 0
                                        ; implicit-def: $vgpr6
	s_branch .LBB22_1434
.LBB22_1420:
	s_mov_b64 s[16:17], -1
	s_mov_b64 s[10:11], 0
	s_mov_b64 s[0:1], 0
                                        ; implicit-def: $vgpr6
	s_branch .LBB22_1429
.LBB22_1421:
	s_trap 2
	s_or_b64 s[14:15], s[14:15], exec
                                        ; implicit-def: $vgpr5
	s_cbranch_execz .LBB22_1360
	s_branch .LBB22_1361
.LBB22_1422:
	s_mov_b64 s[16:17], -1
	s_mov_b64 s[10:11], 0
	s_mov_b64 s[0:1], 0
                                        ; implicit-def: $vgpr6
	s_branch .LBB22_1424
.LBB22_1423:
	s_mov_b64 s[0:1], -1
                                        ; implicit-def: $vgpr6
	s_mov_b64 s[10:11], 0
.LBB22_1424:
	s_and_b64 vcc, exec, s[16:17]
	s_cbranch_vccz .LBB22_1428
; %bb.1425:
	v_cmp_eq_u16_e64 s[0:1], s43, 44
	s_and_b64 vcc, exec, s[0:1]
	s_cbranch_vccz .LBB22_1427
; %bb.1426:
	global_load_ubyte v6, v[0:1], off
	s_movk_i32 s3, 0xff
	v_mov_b32_e32 v8, 0x7e00
	s_mov_b64 s[0:1], 0
	s_mov_b64 s[10:11], -1
	s_waitcnt vmcnt(0)
	v_lshlrev_b32_e32 v7, 23, v6
	v_cvt_f16_f32_e32 v7, v7
	v_cmp_ne_u32_e32 vcc, s3, v6
	v_cndmask_b32_e32 v7, v8, v7, vcc
	v_cmp_ne_u32_e32 vcc, 0, v6
	v_cndmask_b32_e32 v6, 0, v7, vcc
	s_branch .LBB22_1428
.LBB22_1427:
	s_mov_b64 s[0:1], -1
                                        ; implicit-def: $vgpr6
.LBB22_1428:
	s_mov_b64 s[16:17], 0
.LBB22_1429:
	s_and_b64 vcc, exec, s[16:17]
	s_cbranch_vccz .LBB22_1433
; %bb.1430:
	v_cmp_eq_u16_e64 s[0:1], s43, 29
	s_and_b64 vcc, exec, s[0:1]
	s_cbranch_vccz .LBB22_1432
; %bb.1431:
	global_load_dwordx2 v[6:7], v[0:1], off
	s_mov_b64 s[0:1], 0
	s_mov_b64 s[10:11], -1
	s_mov_b64 s[16:17], 0
	s_waitcnt vmcnt(0)
	v_ffbh_u32_e32 v8, v7
	v_min_u32_e32 v8, 32, v8
	v_lshlrev_b64 v[6:7], v8, v[6:7]
	v_min_u32_e32 v6, 1, v6
	v_or_b32_e32 v6, v7, v6
	v_cvt_f32_u32_e32 v6, v6
	v_sub_u32_e32 v7, 32, v8
	v_ldexp_f32 v6, v6, v7
	v_cvt_f16_f32_e32 v6, v6
	s_branch .LBB22_1434
.LBB22_1432:
	s_mov_b64 s[0:1], -1
                                        ; implicit-def: $vgpr6
.LBB22_1433:
	s_mov_b64 s[16:17], 0
.LBB22_1434:
	s_and_b64 vcc, exec, s[16:17]
	s_cbranch_vccz .LBB22_1452
; %bb.1435:
	v_cmp_lt_i16_e64 s[10:11], s43, 27
	s_and_b64 vcc, exec, s[10:11]
	s_cbranch_vccnz .LBB22_1438
; %bb.1436:
	v_cmp_gt_i16_e64 s[10:11], s43, 27
	s_and_b64 vcc, exec, s[10:11]
	s_cbranch_vccz .LBB22_1439
; %bb.1437:
	global_load_dword v6, v[0:1], off
	s_mov_b64 s[10:11], 0
	s_waitcnt vmcnt(0)
	v_cvt_f32_u32_e32 v6, v6
	v_cvt_f16_f32_e32 v6, v6
	s_branch .LBB22_1440
.LBB22_1438:
	s_mov_b64 s[10:11], -1
                                        ; implicit-def: $vgpr6
	s_branch .LBB22_1443
.LBB22_1439:
	s_mov_b64 s[10:11], -1
                                        ; implicit-def: $vgpr6
.LBB22_1440:
	s_andn2_b64 vcc, exec, s[10:11]
	s_cbranch_vccnz .LBB22_1442
; %bb.1441:
	global_load_ushort v6, v[0:1], off
	s_waitcnt vmcnt(0)
	v_cvt_f16_u16_e32 v6, v6
.LBB22_1442:
	s_mov_b64 s[10:11], 0
.LBB22_1443:
	s_andn2_b64 vcc, exec, s[10:11]
	s_cbranch_vccnz .LBB22_1451
; %bb.1444:
	global_load_ubyte v7, v[0:1], off
	s_movk_i32 s3, 0x7f
	s_mov_b64 s[10:11], 0
	s_waitcnt vmcnt(0)
	v_cmp_lt_i16_e32 vcc, s3, v7
                                        ; implicit-def: $sgpr3
	s_and_saveexec_b64 s[16:17], vcc
	s_xor_b64 s[16:17], exec, s[16:17]
	s_cbranch_execz .LBB22_1465
; %bb.1445:
	s_movk_i32 s3, 0x80
	v_cmp_eq_u16_e32 vcc, s3, v7
	s_mov_b64 s[10:11], -1
                                        ; implicit-def: $sgpr3
	s_and_saveexec_b64 s[18:19], vcc
; %bb.1446:
	s_movk_i32 s3, 0x7e00
	s_xor_b64 s[10:11], exec, -1
; %bb.1447:
	s_or_b64 exec, exec, s[18:19]
	s_and_b64 s[10:11], s[10:11], exec
	s_or_saveexec_b64 s[16:17], s[16:17]
	v_mov_b32_e32 v6, s3
	s_xor_b64 exec, exec, s[16:17]
	s_cbranch_execnz .LBB22_1466
.LBB22_1448:
	s_or_b64 exec, exec, s[16:17]
	s_and_saveexec_b64 s[16:17], s[10:11]
	s_cbranch_execz .LBB22_1450
.LBB22_1449:
	v_lshlrev_b32_e32 v6, 24, v7
	v_and_b32_e32 v7, 0xffff, v7
	v_and_b32_e32 v8, 7, v7
	v_ffbh_u32_e32 v10, v8
	v_min_u32_e32 v10, 32, v10
	v_subrev_u32_e32 v11, 28, v10
	v_bfe_u32 v9, v7, 3, 4
	v_lshlrev_b32_e32 v7, v11, v7
	v_sub_u32_e32 v10, 29, v10
	v_and_b32_e32 v7, 7, v7
	v_cmp_eq_u32_e32 vcc, 0, v9
	v_cndmask_b32_e32 v9, v9, v10, vcc
	v_cndmask_b32_e32 v7, v8, v7, vcc
	v_mov_b32_e32 v8, 0x3b800000
	v_lshlrev_b32_e32 v7, 20, v7
	v_and_b32_e32 v6, 0x80000000, v6
	v_lshl_add_u32 v8, v9, 23, v8
	v_or3_b32 v6, v6, v8, v7
	v_cvt_f16_f32_e32 v6, v6
.LBB22_1450:
	s_or_b64 exec, exec, s[16:17]
.LBB22_1451:
	s_mov_b64 s[10:11], -1
.LBB22_1452:
	s_mov_b64 s[16:17], 0
.LBB22_1453:
	s_and_b64 vcc, exec, s[16:17]
	s_cbranch_vccz .LBB22_1486
; %bb.1454:
	v_cmp_gt_i16_e64 s[4:5], s43, 22
	s_and_b64 vcc, exec, s[4:5]
	s_cbranch_vccz .LBB22_1464
; %bb.1455:
	v_cmp_lt_i16_e64 s[4:5], s43, 24
	s_and_b64 vcc, exec, s[4:5]
	s_cbranch_vccnz .LBB22_1467
; %bb.1456:
	v_cmp_gt_i16_e64 s[4:5], s43, 24
	s_and_b64 vcc, exec, s[4:5]
	s_cbranch_vccz .LBB22_1468
; %bb.1457:
	global_load_ubyte v7, v[0:1], off
	s_movk_i32 s3, 0x7f
	s_mov_b64 s[4:5], 0
	s_waitcnt vmcnt(0)
	v_cmp_lt_i16_e32 vcc, s3, v7
                                        ; implicit-def: $sgpr3
	s_and_saveexec_b64 s[10:11], vcc
	s_xor_b64 s[10:11], exec, s[10:11]
	s_cbranch_execz .LBB22_1480
; %bb.1458:
	s_movk_i32 s3, 0x80
	v_cmp_eq_u16_e32 vcc, s3, v7
	s_mov_b64 s[4:5], -1
                                        ; implicit-def: $sgpr3
	s_and_saveexec_b64 s[16:17], vcc
; %bb.1459:
	s_movk_i32 s3, 0x7e00
	s_xor_b64 s[4:5], exec, -1
; %bb.1460:
	s_or_b64 exec, exec, s[16:17]
	s_and_b64 s[4:5], s[4:5], exec
	s_or_saveexec_b64 s[10:11], s[10:11]
	v_mov_b32_e32 v6, s3
	s_xor_b64 exec, exec, s[10:11]
	s_cbranch_execnz .LBB22_1481
.LBB22_1461:
	s_or_b64 exec, exec, s[10:11]
	s_and_saveexec_b64 s[10:11], s[4:5]
	s_cbranch_execz .LBB22_1463
.LBB22_1462:
	v_lshlrev_b32_e32 v6, 24, v7
	v_and_b32_e32 v7, 0xffff, v7
	v_and_b32_e32 v8, 3, v7
	v_ffbh_u32_e32 v10, v8
	v_min_u32_e32 v10, 32, v10
	v_subrev_u32_e32 v11, 29, v10
	v_bfe_u32 v9, v7, 2, 5
	v_lshlrev_b32_e32 v7, v11, v7
	v_sub_u32_e32 v10, 30, v10
	v_and_b32_e32 v7, 3, v7
	v_cmp_eq_u32_e32 vcc, 0, v9
	v_cndmask_b32_e32 v9, v9, v10, vcc
	v_cndmask_b32_e32 v7, v8, v7, vcc
	v_mov_b32_e32 v8, 0x37800000
	v_lshlrev_b32_e32 v7, 21, v7
	v_and_b32_e32 v6, 0x80000000, v6
	v_lshl_add_u32 v8, v9, 23, v8
	v_or3_b32 v6, v6, v8, v7
	v_cvt_f16_f32_e32 v6, v6
.LBB22_1463:
	s_or_b64 exec, exec, s[10:11]
	s_mov_b64 s[4:5], 0
	s_branch .LBB22_1469
.LBB22_1464:
	s_mov_b64 s[4:5], -1
                                        ; implicit-def: $vgpr6
	s_branch .LBB22_1475
.LBB22_1465:
	s_or_saveexec_b64 s[16:17], s[16:17]
	v_mov_b32_e32 v6, s3
	s_xor_b64 exec, exec, s[16:17]
	s_cbranch_execz .LBB22_1448
.LBB22_1466:
	v_cmp_ne_u16_e32 vcc, 0, v7
	s_andn2_b64 s[10:11], s[10:11], exec
	s_and_b64 s[18:19], vcc, exec
	s_or_b64 s[10:11], s[10:11], s[18:19]
	v_mov_b32_e32 v6, v7
	s_or_b64 exec, exec, s[16:17]
	s_and_saveexec_b64 s[16:17], s[10:11]
	s_cbranch_execnz .LBB22_1449
	s_branch .LBB22_1450
.LBB22_1467:
	s_mov_b64 s[4:5], -1
                                        ; implicit-def: $vgpr6
	s_branch .LBB22_1472
.LBB22_1468:
	s_mov_b64 s[4:5], -1
                                        ; implicit-def: $vgpr6
.LBB22_1469:
	s_and_b64 vcc, exec, s[4:5]
	s_cbranch_vccz .LBB22_1471
; %bb.1470:
	global_load_ubyte v6, v[0:1], off
	s_mov_b32 s3, 0x7f800000
	s_waitcnt vmcnt(0)
	v_lshlrev_b32_e32 v6, 24, v6
	v_and_b32_e32 v7, 0x7f000000, v6
	v_ffbh_u32_e32 v8, v7
	v_min_u32_e32 v8, 32, v8
	v_sub_u32_e64 v8, v8, 4 clamp
	v_lshlrev_b32_e32 v10, v8, v7
	v_lshlrev_b32_e32 v8, 23, v8
	v_lshrrev_b32_e32 v10, 4, v10
	v_add_u32_e32 v9, 0x1000000, v7
	v_sub_u32_e32 v8, v10, v8
	v_ashrrev_i32_e32 v9, 8, v9
	v_add_u32_e32 v8, 0x3c000000, v8
	v_and_or_b32 v8, v9, s3, v8
	v_cmp_ne_u32_e32 vcc, 0, v7
	v_cndmask_b32_e32 v7, 0, v8, vcc
	s_brev_b32 s3, 1
	v_and_or_b32 v6, v6, s3, v7
	v_cvt_f16_f32_e32 v6, v6
.LBB22_1471:
	s_mov_b64 s[4:5], 0
.LBB22_1472:
	s_andn2_b64 vcc, exec, s[4:5]
	s_cbranch_vccnz .LBB22_1474
; %bb.1473:
	global_load_ubyte v6, v[0:1], off
	s_movk_i32 s3, 0x7f00
	s_brev_b32 s4, 16
	s_waitcnt vmcnt(0)
	v_lshlrev_b16_e32 v7, 8, v6
	v_lshlrev_b32_e32 v6, 25, v6
	v_lshrrev_b32_e32 v8, 4, v6
	v_and_or_b32 v9, v7, s3, 0.5
	v_or_b32_e32 v8, 0x70000000, v8
	v_add_f32_e32 v9, -0.5, v9
	v_mul_f32_e32 v8, 0x7800000, v8
	v_cmp_gt_u32_e32 vcc, s4, v6
	v_bfe_i32 v7, v7, 0, 16
	v_cndmask_b32_e32 v6, v8, v9, vcc
	s_brev_b32 s3, 1
	v_and_or_b32 v6, v7, s3, v6
	v_cvt_f16_f32_e32 v6, v6
.LBB22_1474:
	s_mov_b64 s[4:5], 0
	s_mov_b64 s[10:11], -1
.LBB22_1475:
	s_andn2_b64 vcc, exec, s[4:5]
	s_mov_b64 s[4:5], 0
	s_cbranch_vccnz .LBB22_1486
; %bb.1476:
	v_cmp_gt_i16_e64 s[4:5], s43, 14
	s_and_b64 vcc, exec, s[4:5]
	s_cbranch_vccz .LBB22_1479
; %bb.1477:
	v_cmp_eq_u16_e64 s[0:1], s43, 15
	s_and_b64 vcc, exec, s[0:1]
	s_cbranch_vccz .LBB22_1482
; %bb.1478:
	global_load_ushort v6, v[0:1], off
	s_mov_b64 s[0:1], 0
	s_mov_b64 s[10:11], -1
	s_waitcnt vmcnt(0)
	v_lshlrev_b32_e32 v6, 16, v6
	v_cvt_f16_f32_e32 v6, v6
	s_branch .LBB22_1483
.LBB22_1479:
	s_mov_b64 s[16:17], -1
                                        ; implicit-def: $vgpr6
	s_branch .LBB22_1484
.LBB22_1480:
	s_or_saveexec_b64 s[10:11], s[10:11]
	v_mov_b32_e32 v6, s3
	s_xor_b64 exec, exec, s[10:11]
	s_cbranch_execz .LBB22_1461
.LBB22_1481:
	v_cmp_ne_u16_e32 vcc, 0, v7
	s_andn2_b64 s[4:5], s[4:5], exec
	s_and_b64 s[16:17], vcc, exec
	s_or_b64 s[4:5], s[4:5], s[16:17]
	v_mov_b32_e32 v6, v7
	s_or_b64 exec, exec, s[10:11]
	s_and_saveexec_b64 s[10:11], s[4:5]
	s_cbranch_execnz .LBB22_1462
	s_branch .LBB22_1463
.LBB22_1482:
	s_mov_b64 s[0:1], -1
                                        ; implicit-def: $vgpr6
.LBB22_1483:
	s_mov_b64 s[16:17], 0
.LBB22_1484:
	s_mov_b64 s[4:5], 0
	s_and_b64 vcc, exec, s[16:17]
	s_cbranch_vccz .LBB22_1486
; %bb.1485:
	v_cmp_ne_u16_e64 s[0:1], s43, 11
	s_mov_b64 s[4:5], -1
                                        ; implicit-def: $vgpr6
.LBB22_1486:
	s_and_b64 vcc, exec, s[0:1]
	s_cbranch_vccnz .LBB22_1550
; %bb.1487:
	s_andn2_b64 vcc, exec, s[4:5]
	s_cbranch_vccnz .LBB22_1489
.LBB22_1488:
	global_load_ubyte v6, v[0:1], off
	v_mov_b32_e32 v7, 0x3c00
	s_mov_b64 s[10:11], -1
	s_waitcnt vmcnt(0)
	v_cmp_ne_u16_e32 vcc, 0, v6
	v_cndmask_b32_e32 v6, 0, v7, vcc
.LBB22_1489:
	s_mov_b64 s[0:1], 0
.LBB22_1490:
	s_and_b64 vcc, exec, s[0:1]
	s_cbranch_vccz .LBB22_1539
; %bb.1491:
	v_cmp_lt_i16_e64 s[0:1], s43, 5
	s_and_b64 vcc, exec, s[0:1]
	s_cbranch_vccnz .LBB22_1496
; %bb.1492:
	v_cmp_lt_i16_e64 s[0:1], s43, 8
	s_and_b64 vcc, exec, s[0:1]
	s_cbranch_vccnz .LBB22_1497
	;; [unrolled: 4-line block ×3, first 2 shown]
; %bb.1494:
	v_cmp_gt_i16_e64 s[0:1], s43, 9
	s_and_b64 vcc, exec, s[0:1]
	s_cbranch_vccz .LBB22_1499
; %bb.1495:
	global_load_dwordx2 v[6:7], v[0:1], off
	s_mov_b64 s[0:1], 0
	s_waitcnt vmcnt(0)
	v_cvt_f32_f64_e32 v6, v[6:7]
	v_cvt_f16_f32_e32 v6, v6
	s_branch .LBB22_1500
.LBB22_1496:
	s_mov_b64 s[0:1], -1
                                        ; implicit-def: $vgpr6
	s_branch .LBB22_1518
.LBB22_1497:
	s_mov_b64 s[0:1], -1
                                        ; implicit-def: $vgpr6
	s_branch .LBB22_1506
.LBB22_1498:
	s_mov_b64 s[0:1], -1
                                        ; implicit-def: $vgpr6
	s_branch .LBB22_1503
.LBB22_1499:
	s_mov_b64 s[0:1], -1
                                        ; implicit-def: $vgpr6
.LBB22_1500:
	s_andn2_b64 vcc, exec, s[0:1]
	s_cbranch_vccnz .LBB22_1502
; %bb.1501:
	global_load_dword v6, v[0:1], off
	s_waitcnt vmcnt(0)
	v_cvt_f16_f32_e32 v6, v6
.LBB22_1502:
	s_mov_b64 s[0:1], 0
.LBB22_1503:
	s_andn2_b64 vcc, exec, s[0:1]
	s_cbranch_vccnz .LBB22_1505
; %bb.1504:
	global_load_dword v6, v[0:1], off
.LBB22_1505:
	s_mov_b64 s[0:1], 0
.LBB22_1506:
	s_andn2_b64 vcc, exec, s[0:1]
	s_cbranch_vccnz .LBB22_1517
; %bb.1507:
	v_cmp_lt_i16_e64 s[0:1], s43, 6
	s_and_b64 vcc, exec, s[0:1]
	s_cbranch_vccnz .LBB22_1510
; %bb.1508:
	v_cmp_gt_i16_e64 s[0:1], s43, 6
	s_and_b64 vcc, exec, s[0:1]
	s_cbranch_vccz .LBB22_1511
; %bb.1509:
	global_load_dwordx2 v[6:7], v[0:1], off
	s_mov_b64 s[0:1], 0
	s_waitcnt vmcnt(0)
	v_cvt_f32_f64_e32 v6, v[6:7]
	v_cvt_f16_f32_e32 v6, v6
	s_branch .LBB22_1512
.LBB22_1510:
	s_mov_b64 s[0:1], -1
                                        ; implicit-def: $vgpr6
	s_branch .LBB22_1515
.LBB22_1511:
	s_mov_b64 s[0:1], -1
                                        ; implicit-def: $vgpr6
.LBB22_1512:
	s_andn2_b64 vcc, exec, s[0:1]
	s_cbranch_vccnz .LBB22_1514
; %bb.1513:
	global_load_dword v6, v[0:1], off
	s_waitcnt vmcnt(0)
	v_cvt_f16_f32_e32 v6, v6
.LBB22_1514:
	s_mov_b64 s[0:1], 0
.LBB22_1515:
	s_andn2_b64 vcc, exec, s[0:1]
	s_cbranch_vccnz .LBB22_1517
; %bb.1516:
	global_load_ushort v6, v[0:1], off
.LBB22_1517:
	s_mov_b64 s[0:1], 0
.LBB22_1518:
	s_andn2_b64 vcc, exec, s[0:1]
	s_cbranch_vccnz .LBB22_1538
; %bb.1519:
	v_cmp_lt_i16_e64 s[0:1], s43, 2
	s_and_b64 vcc, exec, s[0:1]
	s_cbranch_vccnz .LBB22_1523
; %bb.1520:
	v_cmp_lt_i16_e64 s[0:1], s43, 3
	s_and_b64 vcc, exec, s[0:1]
	s_cbranch_vccnz .LBB22_1524
; %bb.1521:
	v_cmp_gt_i16_e64 s[0:1], s43, 3
	s_and_b64 vcc, exec, s[0:1]
	s_cbranch_vccz .LBB22_1525
; %bb.1522:
	global_load_dwordx2 v[6:7], v[0:1], off
	s_mov_b64 s[0:1], 0
	s_waitcnt vmcnt(0)
	v_xor_b32_e32 v9, v6, v7
	v_ffbh_i32_e32 v8, v7
	v_ashrrev_i32_e32 v9, 31, v9
	v_add_u32_e32 v8, -1, v8
	v_add_u32_e32 v9, 32, v9
	v_min_u32_e32 v8, v8, v9
	v_lshlrev_b64 v[6:7], v8, v[6:7]
	v_min_u32_e32 v6, 1, v6
	v_or_b32_e32 v6, v7, v6
	v_cvt_f32_i32_e32 v6, v6
	v_sub_u32_e32 v7, 32, v8
	v_ldexp_f32 v6, v6, v7
	v_cvt_f16_f32_e32 v6, v6
	s_branch .LBB22_1526
.LBB22_1523:
	s_mov_b64 s[0:1], -1
                                        ; implicit-def: $vgpr6
	s_branch .LBB22_1532
.LBB22_1524:
	s_mov_b64 s[0:1], -1
                                        ; implicit-def: $vgpr6
	s_branch .LBB22_1529
.LBB22_1525:
	s_mov_b64 s[0:1], -1
                                        ; implicit-def: $vgpr6
.LBB22_1526:
	s_andn2_b64 vcc, exec, s[0:1]
	s_cbranch_vccnz .LBB22_1528
; %bb.1527:
	global_load_dword v6, v[0:1], off
	s_waitcnt vmcnt(0)
	v_cvt_f32_i32_e32 v6, v6
	v_cvt_f16_f32_e32 v6, v6
.LBB22_1528:
	s_mov_b64 s[0:1], 0
.LBB22_1529:
	s_andn2_b64 vcc, exec, s[0:1]
	s_cbranch_vccnz .LBB22_1531
; %bb.1530:
	global_load_ushort v6, v[0:1], off
	s_waitcnt vmcnt(0)
	v_cvt_f16_i16_e32 v6, v6
.LBB22_1531:
	s_mov_b64 s[0:1], 0
.LBB22_1532:
	s_andn2_b64 vcc, exec, s[0:1]
	s_cbranch_vccnz .LBB22_1538
; %bb.1533:
	v_cmp_gt_i16_e64 s[0:1], s43, 0
	s_and_b64 vcc, exec, s[0:1]
	s_cbranch_vccz .LBB22_1535
; %bb.1534:
	global_load_sbyte v6, v[0:1], off
	s_mov_b64 s[0:1], 0
	s_waitcnt vmcnt(0)
	v_cvt_f16_i16_e32 v6, v6
	s_branch .LBB22_1536
.LBB22_1535:
	s_mov_b64 s[0:1], -1
                                        ; implicit-def: $vgpr6
.LBB22_1536:
	s_andn2_b64 vcc, exec, s[0:1]
	s_cbranch_vccnz .LBB22_1538
; %bb.1537:
	global_load_ubyte v0, v[0:1], off
	s_waitcnt vmcnt(0)
	v_cvt_f16_u16_e32 v6, v0
.LBB22_1538:
	s_mov_b64 s[10:11], -1
.LBB22_1539:
	s_andn2_b64 vcc, exec, s[10:11]
	s_cbranch_vccnz .LBB22_1993
; %bb.1540:
	s_waitcnt vmcnt(0)
	v_cmp_nge_f16_e64 s[0:1], v3, -s42
	v_cmp_nge_f16_e32 vcc, s42, v3
	s_or_b64 vcc, s[0:1], vcc
	v_mul_lo_u32 v2, s2, v2
	v_cndmask_b32_e32 v3, 0, v3, vcc
	v_ashrrev_i32_e32 v1, 31, v2
	v_mov_b32_e32 v7, s9
	v_add_co_u32_e32 v0, vcc, s8, v2
	v_addc_co_u32_e32 v1, vcc, v7, v1, vcc
	v_mov_b32_e32 v7, 11
	v_cmp_lt_i16_sdwa s[0:1], s33, v7 src0_sel:BYTE_0 src1_sel:DWORD
	s_and_b64 vcc, exec, s[0:1]
	s_cbranch_vccnz .LBB22_1547
; %bb.1541:
	v_mov_b32_e32 v7, 25
	v_cmp_gt_i16_sdwa s[0:1], s33, v7 src0_sel:BYTE_0 src1_sel:DWORD
	s_mov_b64 s[16:17], -1
	s_mov_b64 s[4:5], 0
	s_and_b64 vcc, exec, s[0:1]
	s_mov_b64 s[10:11], 0
	s_mov_b64 s[0:1], 0
	s_cbranch_vccz .LBB22_1579
; %bb.1542:
	v_mov_b32_e32 v7, 28
	v_cmp_gt_i16_sdwa s[0:1], s33, v7 src0_sel:BYTE_0 src1_sel:DWORD
	s_and_b64 vcc, exec, s[0:1]
	s_cbranch_vccz .LBB22_1548
; %bb.1543:
	v_mov_b32_e32 v7, 43
	v_cmp_gt_i16_sdwa s[0:1], s33, v7 src0_sel:BYTE_0 src1_sel:DWORD
	s_and_b64 vcc, exec, s[0:1]
	;; [unrolled: 5-line block ×3, first 2 shown]
	s_cbranch_vccz .LBB22_1551
; %bb.1545:
	v_mov_b32_e32 v7, 46
	v_cmp_eq_u16_sdwa s[10:11], s33, v7 src0_sel:BYTE_0 src1_sel:DWORD
	s_mov_b64 s[0:1], -1
	s_mov_b64 s[16:17], 0
	s_and_b64 vcc, exec, s[10:11]
	s_mov_b64 s[10:11], 0
	s_cbranch_vccz .LBB22_1552
; %bb.1546:
	v_cvt_f32_f16_e32 v7, v3
	s_movk_i32 s0, 0x7fff
	v_mov_b32_e32 v8, 0x7fc0
	v_cmp_o_f16_e32 vcc, v3, v3
	v_bfe_u32 v9, v7, 16, 1
	v_add3_u32 v7, v7, v9, s0
	v_lshrrev_b32_e32 v7, 16, v7
	v_cndmask_b32_e32 v7, v8, v7, vcc
	global_store_dword v[0:1], v7, off
	s_mov_b64 s[0:1], 0
	s_mov_b64 s[10:11], -1
	s_branch .LBB22_1552
.LBB22_1547:
	s_mov_b64 s[0:1], -1
	s_mov_b64 s[10:11], 0
	s_branch .LBB22_1623
.LBB22_1548:
	s_mov_b64 s[0:1], 0
	s_branch .LBB22_1562
.LBB22_1549:
	s_mov_b64 s[0:1], 0
	s_branch .LBB22_1558
.LBB22_1550:
	s_trap 2
	s_or_b64 s[14:15], s[14:15], exec
                                        ; implicit-def: $vgpr6
	s_cbranch_execz .LBB22_1488
	s_branch .LBB22_1489
.LBB22_1551:
	s_mov_b64 s[0:1], 0
.LBB22_1552:
	s_and_b64 vcc, exec, s[16:17]
	s_cbranch_vccz .LBB22_1557
; %bb.1553:
	v_mov_b32_e32 v7, 44
	v_cmp_eq_u16_sdwa s[16:17], s33, v7 src0_sel:BYTE_0 src1_sel:DWORD
	s_mov_b64 s[0:1], -1
	s_and_b64 vcc, exec, s[16:17]
	s_cbranch_vccz .LBB22_1557
; %bb.1554:
	v_cvt_f32_f16_e32 v7, v3
	s_movk_i32 s0, 0xff
	v_mov_b32_e32 v9, 0xff
	v_bfe_u32 v8, v7, 23, 8
	v_cmp_ne_u32_e32 vcc, s0, v8
	s_and_saveexec_b64 s[10:11], vcc
; %bb.1555:
	s_mov_b32 s0, 0x3fffff
	v_lshrrev_b32_e32 v9, 23, v7
	v_and_b32_e32 v10, 0x400000, v7
	v_and_or_b32 v7, v7, s0, v8
	v_cmp_ne_u32_e32 vcc, 0, v10
	v_cmp_ne_u32_e64 s[0:1], 0, v7
	s_and_b64 s[0:1], vcc, s[0:1]
	v_cndmask_b32_e64 v7, 0, 1, s[0:1]
	v_add_u32_e32 v9, v9, v7
; %bb.1556:
	s_or_b64 exec, exec, s[10:11]
	s_mov_b64 s[0:1], 0
	s_mov_b64 s[10:11], -1
	global_store_byte v[0:1], v9, off
.LBB22_1557:
	s_mov_b64 s[16:17], 0
.LBB22_1558:
	s_and_b64 vcc, exec, s[16:17]
	s_cbranch_vccz .LBB22_1561
; %bb.1559:
	v_mov_b32_e32 v7, 29
	v_cmp_eq_u16_sdwa s[16:17], s33, v7 src0_sel:BYTE_0 src1_sel:DWORD
	s_mov_b64 s[0:1], -1
	s_and_b64 vcc, exec, s[16:17]
	s_cbranch_vccz .LBB22_1561
; %bb.1560:
	v_cvt_f32_f16_e32 v7, v3
	v_mov_b32_e32 v9, 0
	s_mov_b64 s[0:1], 0
	s_mov_b64 s[10:11], -1
	v_cvt_u32_f32_e32 v8, v7
	s_mov_b64 s[16:17], 0
	global_store_dwordx2 v[0:1], v[8:9], off
	s_branch .LBB22_1562
.LBB22_1561:
	s_mov_b64 s[16:17], 0
.LBB22_1562:
	s_and_b64 vcc, exec, s[16:17]
	s_cbranch_vccz .LBB22_1578
; %bb.1563:
	v_mov_b32_e32 v7, 27
	v_cmp_lt_i16_sdwa s[16:17], s33, v7 src0_sel:BYTE_0 src1_sel:DWORD
	s_mov_b64 s[10:11], -1
	s_and_b64 vcc, exec, s[16:17]
	s_cbranch_vccnz .LBB22_1569
; %bb.1564:
	v_cmp_gt_i16_sdwa s[16:17], s33, v7 src0_sel:BYTE_0 src1_sel:DWORD
	s_and_b64 vcc, exec, s[16:17]
	s_cbranch_vccz .LBB22_1566
; %bb.1565:
	v_cvt_f32_f16_e32 v7, v3
	s_mov_b64 s[10:11], 0
	v_cvt_u32_f32_e32 v7, v7
	global_store_dword v[0:1], v7, off
.LBB22_1566:
	s_andn2_b64 vcc, exec, s[10:11]
	s_cbranch_vccnz .LBB22_1568
; %bb.1567:
	v_cvt_u16_f16_e32 v7, v3
	global_store_short v[0:1], v7, off
.LBB22_1568:
	s_mov_b64 s[10:11], 0
.LBB22_1569:
	s_andn2_b64 vcc, exec, s[10:11]
	s_cbranch_vccnz .LBB22_1577
; %bb.1570:
	v_cvt_f32_f16_e32 v7, v3
	s_mov_b32 s3, 0x43800000
	v_mov_b32_e32 v9, 0x80
	v_and_b32_e32 v8, 0x7fffffff, v7
	v_cmp_gt_u32_e32 vcc, s3, v8
	s_and_saveexec_b64 s[10:11], vcc
	s_cbranch_execz .LBB22_1576
; %bb.1571:
	s_mov_b32 s3, 0x3bffffff
	v_cmp_lt_u32_e32 vcc, s3, v8
	s_mov_b64 s[16:17], 0
                                        ; implicit-def: $vgpr8
	s_and_saveexec_b64 s[18:19], vcc
	s_xor_b64 s[18:19], exec, s[18:19]
	s_cbranch_execz .LBB22_1672
; %bb.1572:
	v_bfe_u32 v8, v7, 20, 1
	s_mov_b32 s3, 0x487ffff
	v_add3_u32 v8, v7, v8, s3
	s_mov_b64 s[16:17], exec
	v_lshrrev_b32_e32 v8, 20, v8
	s_or_saveexec_b64 s[18:19], s[18:19]
                                        ; implicit-def: $sgpr3
	s_xor_b64 exec, exec, s[18:19]
	s_cbranch_execnz .LBB22_1673
.LBB22_1573:
	s_or_b64 exec, exec, s[18:19]
	v_mov_b32_e32 v9, s3
	s_and_saveexec_b64 s[18:19], s[16:17]
.LBB22_1574:
	v_lshrrev_b32_e32 v7, 24, v7
	s_movk_i32 s3, 0x80
	v_and_or_b32 v9, v7, s3, v8
.LBB22_1575:
	s_or_b64 exec, exec, s[18:19]
.LBB22_1576:
	s_or_b64 exec, exec, s[10:11]
	global_store_byte v[0:1], v9, off
.LBB22_1577:
	s_mov_b64 s[10:11], -1
.LBB22_1578:
	s_mov_b64 s[16:17], 0
.LBB22_1579:
	s_and_b64 vcc, exec, s[16:17]
	s_cbranch_vccz .LBB22_1619
; %bb.1580:
	v_mov_b32_e32 v7, 22
	v_cmp_gt_i16_sdwa s[16:17], s33, v7 src0_sel:BYTE_0 src1_sel:DWORD
	s_mov_b64 s[4:5], -1
	s_and_b64 vcc, exec, s[16:17]
	s_cbranch_vccz .LBB22_1612
; %bb.1581:
	v_mov_b32_e32 v7, 24
	v_cmp_lt_i16_sdwa s[10:11], s33, v7 src0_sel:BYTE_0 src1_sel:DWORD
	s_and_b64 vcc, exec, s[10:11]
	s_cbranch_vccnz .LBB22_1601
; %bb.1582:
	v_cmp_gt_i16_sdwa s[10:11], s33, v7 src0_sel:BYTE_0 src1_sel:DWORD
	s_and_b64 vcc, exec, s[10:11]
	s_cbranch_vccz .LBB22_1590
; %bb.1583:
	v_cvt_f32_f16_e32 v7, v3
	s_mov_b32 s3, 0x47800000
	v_mov_b32_e32 v9, 0x80
	v_and_b32_e32 v8, 0x7fffffff, v7
	v_cmp_gt_u32_e32 vcc, s3, v8
	s_and_saveexec_b64 s[4:5], vcc
	s_cbranch_execz .LBB22_1589
; %bb.1584:
	s_mov_b32 s3, 0x37ffffff
	v_cmp_lt_u32_e32 vcc, s3, v8
	s_mov_b64 s[10:11], 0
                                        ; implicit-def: $vgpr8
	s_and_saveexec_b64 s[16:17], vcc
	s_xor_b64 s[16:17], exec, s[16:17]
	s_cbranch_execz .LBB22_1676
; %bb.1585:
	v_bfe_u32 v8, v7, 21, 1
	s_mov_b32 s3, 0x88fffff
	v_add3_u32 v8, v7, v8, s3
	s_mov_b64 s[10:11], exec
	v_lshrrev_b32_e32 v8, 21, v8
	s_or_saveexec_b64 s[16:17], s[16:17]
                                        ; implicit-def: $sgpr3
	s_xor_b64 exec, exec, s[16:17]
	s_cbranch_execnz .LBB22_1677
.LBB22_1586:
	s_or_b64 exec, exec, s[16:17]
	v_mov_b32_e32 v9, s3
	s_and_saveexec_b64 s[16:17], s[10:11]
.LBB22_1587:
	v_lshrrev_b32_e32 v7, 24, v7
	s_movk_i32 s3, 0x80
	v_and_or_b32 v9, v7, s3, v8
.LBB22_1588:
	s_or_b64 exec, exec, s[16:17]
.LBB22_1589:
	s_or_b64 exec, exec, s[4:5]
	s_mov_b64 s[4:5], 0
	global_store_byte v[0:1], v9, off
.LBB22_1590:
	s_and_b64 vcc, exec, s[4:5]
	s_cbranch_vccz .LBB22_1600
; %bb.1591:
	v_cvt_f32_f16_e32 v7, v3
	s_mov_b32 s3, 0x43f00000
                                        ; implicit-def: $vgpr8
	v_and_b32_e32 v9, 0x7fffffff, v7
	v_cmp_gt_u32_e32 vcc, s3, v9
	s_and_saveexec_b64 s[4:5], vcc
	s_xor_b64 s[4:5], exec, s[4:5]
	s_cbranch_execz .LBB22_1597
; %bb.1592:
	s_mov_b32 s3, 0x3c7fffff
	v_cmp_lt_u32_e32 vcc, s3, v9
                                        ; implicit-def: $vgpr8
	s_and_saveexec_b64 s[10:11], vcc
	s_xor_b64 s[10:11], exec, s[10:11]
; %bb.1593:
	v_bfe_u32 v8, v7, 20, 1
	s_mov_b32 s3, 0x407ffff
	v_add3_u32 v8, v7, v8, s3
	v_lshrrev_b32_e32 v9, 20, v8
	v_and_b32_e32 v8, 0xff00000, v8
	s_mov_b32 s3, 0x7f00000
	v_mov_b32_e32 v10, 0x7e
	v_cmp_ne_u32_e32 vcc, s3, v8
	v_cndmask_b32_e32 v8, v10, v9, vcc
; %bb.1594:
	s_andn2_saveexec_b64 s[10:11], s[10:11]
; %bb.1595:
	s_mov_b32 s3, 0x46800000
	v_add_f32_e64 v8, |v7|, s3
; %bb.1596:
	s_or_b64 exec, exec, s[10:11]
                                        ; implicit-def: $vgpr9
.LBB22_1597:
	s_andn2_saveexec_b64 s[4:5], s[4:5]
; %bb.1598:
	s_mov_b32 s3, 0x7f800000
	v_mov_b32_e32 v8, 0x7e
	v_mov_b32_e32 v10, 0x7f
	v_cmp_lt_u32_e32 vcc, s3, v9
	v_cndmask_b32_e32 v8, v8, v10, vcc
; %bb.1599:
	s_or_b64 exec, exec, s[4:5]
	v_lshrrev_b32_e32 v7, 24, v7
	s_movk_i32 s3, 0x80
	v_and_or_b32 v7, v7, s3, v8
	global_store_byte v[0:1], v7, off
.LBB22_1600:
	s_mov_b64 s[4:5], 0
.LBB22_1601:
	s_andn2_b64 vcc, exec, s[4:5]
	s_cbranch_vccnz .LBB22_1611
; %bb.1602:
	v_cvt_f32_f16_e32 v7, v3
	s_mov_b32 s3, 0x47800000
                                        ; implicit-def: $vgpr8
	v_and_b32_e32 v9, 0x7fffffff, v7
	v_cmp_gt_u32_e32 vcc, s3, v9
	s_and_saveexec_b64 s[4:5], vcc
	s_xor_b64 s[4:5], exec, s[4:5]
	s_cbranch_execz .LBB22_1608
; %bb.1603:
	s_mov_b32 s3, 0x387fffff
	v_cmp_lt_u32_e32 vcc, s3, v9
                                        ; implicit-def: $vgpr8
	s_and_saveexec_b64 s[10:11], vcc
	s_xor_b64 s[10:11], exec, s[10:11]
; %bb.1604:
	v_bfe_u32 v8, v7, 21, 1
	s_mov_b32 s3, 0x80fffff
	v_add3_u32 v8, v7, v8, s3
	v_lshrrev_b32_e32 v8, 21, v8
; %bb.1605:
	s_andn2_saveexec_b64 s[10:11], s[10:11]
; %bb.1606:
	s_mov_b32 s3, 0x43000000
	v_add_f32_e64 v8, |v7|, s3
; %bb.1607:
	s_or_b64 exec, exec, s[10:11]
                                        ; implicit-def: $vgpr9
.LBB22_1608:
	s_andn2_saveexec_b64 s[4:5], s[4:5]
; %bb.1609:
	s_mov_b32 s3, 0x7f800000
	v_mov_b32_e32 v8, 0x7c
	v_mov_b32_e32 v10, 0x7f
	v_cmp_lt_u32_e32 vcc, s3, v9
	v_cndmask_b32_e32 v8, v8, v10, vcc
; %bb.1610:
	s_or_b64 exec, exec, s[4:5]
	v_lshrrev_b32_e32 v7, 24, v7
	s_movk_i32 s3, 0x80
	v_and_or_b32 v7, v7, s3, v8
	global_store_byte v[0:1], v7, off
.LBB22_1611:
	s_mov_b64 s[4:5], 0
	s_mov_b64 s[10:11], -1
.LBB22_1612:
	s_andn2_b64 vcc, exec, s[4:5]
	s_mov_b64 s[4:5], 0
	s_cbranch_vccnz .LBB22_1619
; %bb.1613:
	v_mov_b32_e32 v7, 14
	v_cmp_gt_i16_sdwa s[4:5], s33, v7 src0_sel:BYTE_0 src1_sel:DWORD
	s_mov_b64 s[16:17], -1
	s_and_b64 vcc, exec, s[4:5]
	s_cbranch_vccz .LBB22_1617
; %bb.1614:
	v_mov_b32_e32 v7, 15
	v_cmp_eq_u16_sdwa s[4:5], s33, v7 src0_sel:BYTE_0 src1_sel:DWORD
	s_mov_b64 s[0:1], -1
	s_and_b64 vcc, exec, s[4:5]
	s_cbranch_vccz .LBB22_1616
; %bb.1615:
	v_cvt_f32_f16_e32 v7, v3
	s_movk_i32 s0, 0x7fff
	v_mov_b32_e32 v8, 0x7fc0
	v_cmp_o_f16_e32 vcc, v3, v3
	v_bfe_u32 v9, v7, 16, 1
	v_add3_u32 v7, v7, v9, s0
	v_lshrrev_b32_e32 v7, 16, v7
	v_cndmask_b32_e32 v7, v8, v7, vcc
	global_store_short v[0:1], v7, off
	s_mov_b64 s[0:1], 0
	s_mov_b64 s[10:11], -1
.LBB22_1616:
	s_mov_b64 s[16:17], 0
.LBB22_1617:
	s_mov_b64 s[4:5], 0
	s_and_b64 vcc, exec, s[16:17]
	s_cbranch_vccz .LBB22_1619
; %bb.1618:
	v_mov_b32_e32 v7, 11
	v_cmp_ne_u16_sdwa s[0:1], s33, v7 src0_sel:BYTE_0 src1_sel:DWORD
	s_mov_b64 s[4:5], -1
.LBB22_1619:
	s_and_b64 vcc, exec, s[0:1]
	s_cbranch_vccnz .LBB22_1675
; %bb.1620:
	s_andn2_b64 vcc, exec, s[4:5]
	s_cbranch_vccnz .LBB22_1622
.LBB22_1621:
	v_and_b32_e32 v7, 0x7fff, v3
	v_cmp_ne_u16_e32 vcc, 0, v7
	v_cndmask_b32_e64 v7, 0, 1, vcc
	s_mov_b64 s[10:11], -1
	global_store_byte v[0:1], v7, off
.LBB22_1622:
	s_mov_b64 s[0:1], 0
.LBB22_1623:
	s_and_b64 vcc, exec, s[0:1]
	s_cbranch_vccz .LBB22_1662
; %bb.1624:
	v_mov_b32_e32 v7, 5
	v_cmp_lt_i16_sdwa s[4:5], s33, v7 src0_sel:BYTE_0 src1_sel:DWORD
	s_mov_b64 s[0:1], -1
	s_and_b64 vcc, exec, s[4:5]
	s_cbranch_vccnz .LBB22_1645
; %bb.1625:
	v_mov_b32_e32 v7, 8
	v_cmp_lt_i16_sdwa s[4:5], s33, v7 src0_sel:BYTE_0 src1_sel:DWORD
	s_and_b64 vcc, exec, s[4:5]
	s_cbranch_vccnz .LBB22_1635
; %bb.1626:
	v_mov_b32_e32 v7, 9
	v_cmp_lt_i16_sdwa s[4:5], s33, v7 src0_sel:BYTE_0 src1_sel:DWORD
	s_and_b64 vcc, exec, s[4:5]
	s_cbranch_vccnz .LBB22_1632
; %bb.1627:
	v_cmp_gt_i16_sdwa s[4:5], s33, v7 src0_sel:BYTE_0 src1_sel:DWORD
	s_and_b64 vcc, exec, s[4:5]
	s_cbranch_vccz .LBB22_1629
; %bb.1628:
	v_cvt_f32_f16_e32 v7, v3
	v_mov_b32_e32 v10, 0
	v_mov_b32_e32 v11, v10
	s_mov_b64 s[0:1], 0
	v_cvt_f64_f32_e32 v[8:9], v7
	global_store_dwordx4 v[0:1], v[8:11], off
.LBB22_1629:
	s_andn2_b64 vcc, exec, s[0:1]
	s_cbranch_vccnz .LBB22_1631
; %bb.1630:
	v_cvt_f32_f16_e32 v8, v3
	v_mov_b32_e32 v9, 0
	global_store_dwordx2 v[0:1], v[8:9], off
.LBB22_1631:
	s_mov_b64 s[0:1], 0
.LBB22_1632:
	s_andn2_b64 vcc, exec, s[0:1]
	s_cbranch_vccnz .LBB22_1634
; %bb.1633:
	v_and_b32_e32 v7, 0xffff, v3
	global_store_dword v[0:1], v7, off
.LBB22_1634:
	s_mov_b64 s[0:1], 0
.LBB22_1635:
	s_andn2_b64 vcc, exec, s[0:1]
	s_cbranch_vccnz .LBB22_1644
; %bb.1636:
	v_mov_b32_e32 v7, 6
	v_cmp_lt_i16_sdwa s[4:5], s33, v7 src0_sel:BYTE_0 src1_sel:DWORD
	s_mov_b64 s[0:1], -1
	s_and_b64 vcc, exec, s[4:5]
	s_cbranch_vccnz .LBB22_1642
; %bb.1637:
	v_cmp_gt_i16_sdwa s[4:5], s33, v7 src0_sel:BYTE_0 src1_sel:DWORD
	s_and_b64 vcc, exec, s[4:5]
	s_cbranch_vccz .LBB22_1639
; %bb.1638:
	v_cvt_f32_f16_e32 v7, v3
	s_mov_b64 s[0:1], 0
	v_cvt_f64_f32_e32 v[8:9], v7
	global_store_dwordx2 v[0:1], v[8:9], off
.LBB22_1639:
	s_andn2_b64 vcc, exec, s[0:1]
	s_cbranch_vccnz .LBB22_1641
; %bb.1640:
	v_cvt_f32_f16_e32 v7, v3
	global_store_dword v[0:1], v7, off
.LBB22_1641:
	s_mov_b64 s[0:1], 0
.LBB22_1642:
	s_andn2_b64 vcc, exec, s[0:1]
	s_cbranch_vccnz .LBB22_1644
; %bb.1643:
	global_store_short v[0:1], v3, off
.LBB22_1644:
	s_mov_b64 s[0:1], 0
.LBB22_1645:
	s_andn2_b64 vcc, exec, s[0:1]
	s_cbranch_vccnz .LBB22_1661
; %bb.1646:
	v_mov_b32_e32 v7, 2
	v_cmp_lt_i16_sdwa s[4:5], s33, v7 src0_sel:BYTE_0 src1_sel:DWORD
	s_mov_b64 s[0:1], -1
	s_and_b64 vcc, exec, s[4:5]
	s_cbranch_vccnz .LBB22_1656
; %bb.1647:
	v_mov_b32_e32 v7, 3
	v_cmp_lt_i16_sdwa s[4:5], s33, v7 src0_sel:BYTE_0 src1_sel:DWORD
	s_and_b64 vcc, exec, s[4:5]
	s_cbranch_vccnz .LBB22_1653
; %bb.1648:
	v_cmp_gt_i16_sdwa s[4:5], s33, v7 src0_sel:BYTE_0 src1_sel:DWORD
	s_and_b64 vcc, exec, s[4:5]
	s_cbranch_vccz .LBB22_1650
; %bb.1649:
	v_cvt_f32_f16_e32 v7, v3
	s_mov_b64 s[0:1], 0
	v_cvt_i32_f32_e32 v8, v7
	v_ashrrev_i32_e32 v9, 31, v8
	global_store_dwordx2 v[0:1], v[8:9], off
.LBB22_1650:
	s_andn2_b64 vcc, exec, s[0:1]
	s_cbranch_vccnz .LBB22_1652
; %bb.1651:
	v_cvt_f32_f16_e32 v7, v3
	v_cvt_i32_f32_e32 v7, v7
	global_store_dword v[0:1], v7, off
.LBB22_1652:
	s_mov_b64 s[0:1], 0
.LBB22_1653:
	s_andn2_b64 vcc, exec, s[0:1]
	s_cbranch_vccnz .LBB22_1655
; %bb.1654:
	v_cvt_i16_f16_e32 v7, v3
	global_store_short v[0:1], v7, off
.LBB22_1655:
	s_mov_b64 s[0:1], 0
.LBB22_1656:
	s_andn2_b64 vcc, exec, s[0:1]
	s_cbranch_vccnz .LBB22_1661
; %bb.1657:
	v_mov_b32_e32 v7, 0
	v_cmp_gt_i16_sdwa s[4:5], s33, v7 src0_sel:BYTE_0 src1_sel:DWORD
	s_mov_b64 s[0:1], -1
	s_and_b64 vcc, exec, s[4:5]
	s_cbranch_vccz .LBB22_1659
; %bb.1658:
	v_cvt_i16_f16_e32 v7, v3
	global_store_byte v[0:1], v7, off
	s_mov_b64 s[0:1], 0
.LBB22_1659:
	s_andn2_b64 vcc, exec, s[0:1]
	s_cbranch_vccnz .LBB22_1661
; %bb.1660:
	v_cvt_f32_f16_e32 v3, v3
	v_cvt_i32_f32_e32 v3, v3
	global_store_byte v[0:1], v3, off
.LBB22_1661:
	s_mov_b64 s[10:11], -1
.LBB22_1662:
	s_andn2_b64 vcc, exec, s[10:11]
	s_cbranch_vccnz .LBB22_1993
; %bb.1663:
	v_cmp_nge_f16_e64 s[0:1], v4, -s42
	v_cmp_nge_f16_e32 vcc, s42, v4
	s_lshl_b32 s18, s2, 7
	s_or_b64 vcc, s[0:1], vcc
	v_add_u32_e32 v2, s18, v2
	v_cndmask_b32_e32 v3, 0, v4, vcc
	v_ashrrev_i32_e32 v1, 31, v2
	v_mov_b32_e32 v4, s9
	v_add_co_u32_e32 v0, vcc, s8, v2
	v_addc_co_u32_e32 v1, vcc, v4, v1, vcc
	v_mov_b32_e32 v4, 11
	v_cmp_lt_i16_sdwa s[0:1], s33, v4 src0_sel:BYTE_0 src1_sel:DWORD
	s_and_b64 vcc, exec, s[0:1]
	s_cbranch_vccnz .LBB22_1670
; %bb.1664:
	v_mov_b32_e32 v4, 25
	v_cmp_gt_i16_sdwa s[0:1], s33, v4 src0_sel:BYTE_0 src1_sel:DWORD
	s_mov_b64 s[10:11], -1
	s_mov_b64 s[2:3], 0
	s_and_b64 vcc, exec, s[0:1]
	s_mov_b64 s[4:5], 0
	s_mov_b64 s[0:1], 0
	s_cbranch_vccz .LBB22_1706
; %bb.1665:
	v_mov_b32_e32 v4, 28
	v_cmp_gt_i16_sdwa s[0:1], s33, v4 src0_sel:BYTE_0 src1_sel:DWORD
	s_and_b64 vcc, exec, s[0:1]
	s_cbranch_vccz .LBB22_1671
; %bb.1666:
	v_mov_b32_e32 v4, 43
	v_cmp_gt_i16_sdwa s[0:1], s33, v4 src0_sel:BYTE_0 src1_sel:DWORD
	s_and_b64 vcc, exec, s[0:1]
	;; [unrolled: 5-line block ×3, first 2 shown]
	s_cbranch_vccz .LBB22_1678
; %bb.1668:
	v_mov_b32_e32 v4, 46
	v_cmp_eq_u16_sdwa s[4:5], s33, v4 src0_sel:BYTE_0 src1_sel:DWORD
	s_mov_b64 s[0:1], -1
	s_mov_b64 s[10:11], 0
	s_and_b64 vcc, exec, s[4:5]
	s_mov_b64 s[4:5], 0
	s_cbranch_vccz .LBB22_1679
; %bb.1669:
	v_cvt_f32_f16_e32 v4, v3
	s_movk_i32 s0, 0x7fff
	v_mov_b32_e32 v7, 0x7fc0
	v_cmp_o_f16_e32 vcc, v3, v3
	v_bfe_u32 v8, v4, 16, 1
	v_add3_u32 v4, v4, v8, s0
	v_lshrrev_b32_e32 v4, 16, v4
	v_cndmask_b32_e32 v4, v7, v4, vcc
	global_store_dword v[0:1], v4, off
	s_mov_b64 s[0:1], 0
	s_mov_b64 s[4:5], -1
	s_branch .LBB22_1679
.LBB22_1670:
	s_mov_b64 s[0:1], -1
	s_mov_b64 s[4:5], 0
	s_branch .LBB22_1750
.LBB22_1671:
	s_mov_b64 s[0:1], 0
	s_branch .LBB22_1689
.LBB22_1672:
	s_or_saveexec_b64 s[18:19], s[18:19]
                                        ; implicit-def: $sgpr3
	s_xor_b64 exec, exec, s[18:19]
	s_cbranch_execz .LBB22_1573
.LBB22_1673:
	s_mov_b32 s3, 0x46000000
	v_add_f32_e64 v8, |v7|, s3
	v_and_b32_e32 v8, 0xff, v8
	v_cmp_ne_u32_e32 vcc, 0, v8
	s_andn2_b64 s[16:17], s[16:17], exec
	s_and_b64 s[20:21], vcc, exec
	s_mov_b32 s3, 0
	s_or_b64 s[16:17], s[16:17], s[20:21]
	s_or_b64 exec, exec, s[18:19]
	v_mov_b32_e32 v9, s3
	s_and_saveexec_b64 s[18:19], s[16:17]
	s_cbranch_execnz .LBB22_1574
	s_branch .LBB22_1575
.LBB22_1674:
	s_mov_b64 s[0:1], 0
	s_branch .LBB22_1685
.LBB22_1675:
	s_trap 2
	s_or_b64 s[14:15], s[14:15], exec
	s_cbranch_execz .LBB22_1621
	s_branch .LBB22_1622
.LBB22_1676:
	s_or_saveexec_b64 s[16:17], s[16:17]
                                        ; implicit-def: $sgpr3
	s_xor_b64 exec, exec, s[16:17]
	s_cbranch_execz .LBB22_1586
.LBB22_1677:
	s_mov_b32 s3, 0x42800000
	v_add_f32_e64 v8, |v7|, s3
	v_and_b32_e32 v8, 0xff, v8
	v_cmp_ne_u32_e32 vcc, 0, v8
	s_andn2_b64 s[10:11], s[10:11], exec
	s_and_b64 s[18:19], vcc, exec
	s_mov_b32 s3, 0
	s_or_b64 s[10:11], s[10:11], s[18:19]
	s_or_b64 exec, exec, s[16:17]
	v_mov_b32_e32 v9, s3
	s_and_saveexec_b64 s[16:17], s[10:11]
	s_cbranch_execnz .LBB22_1587
	s_branch .LBB22_1588
.LBB22_1678:
	s_mov_b64 s[0:1], 0
.LBB22_1679:
	s_and_b64 vcc, exec, s[10:11]
	s_cbranch_vccz .LBB22_1684
; %bb.1680:
	v_mov_b32_e32 v4, 44
	v_cmp_eq_u16_sdwa s[10:11], s33, v4 src0_sel:BYTE_0 src1_sel:DWORD
	s_mov_b64 s[0:1], -1
	s_and_b64 vcc, exec, s[10:11]
	s_cbranch_vccz .LBB22_1684
; %bb.1681:
	v_cvt_f32_f16_e32 v4, v3
	s_movk_i32 s0, 0xff
	v_mov_b32_e32 v8, 0xff
	v_bfe_u32 v7, v4, 23, 8
	v_cmp_ne_u32_e32 vcc, s0, v7
	s_and_saveexec_b64 s[4:5], vcc
; %bb.1682:
	s_mov_b32 s0, 0x3fffff
	v_lshrrev_b32_e32 v8, 23, v4
	v_and_b32_e32 v9, 0x400000, v4
	v_and_or_b32 v4, v4, s0, v7
	v_cmp_ne_u32_e32 vcc, 0, v9
	v_cmp_ne_u32_e64 s[0:1], 0, v4
	s_and_b64 s[0:1], vcc, s[0:1]
	v_cndmask_b32_e64 v4, 0, 1, s[0:1]
	v_add_u32_e32 v8, v8, v4
; %bb.1683:
	s_or_b64 exec, exec, s[4:5]
	s_mov_b64 s[0:1], 0
	s_mov_b64 s[4:5], -1
	global_store_byte v[0:1], v8, off
.LBB22_1684:
	s_mov_b64 s[10:11], 0
.LBB22_1685:
	s_and_b64 vcc, exec, s[10:11]
	s_cbranch_vccz .LBB22_1688
; %bb.1686:
	v_mov_b32_e32 v4, 29
	v_cmp_eq_u16_sdwa s[10:11], s33, v4 src0_sel:BYTE_0 src1_sel:DWORD
	s_mov_b64 s[0:1], -1
	s_and_b64 vcc, exec, s[10:11]
	s_cbranch_vccz .LBB22_1688
; %bb.1687:
	v_cvt_f32_f16_e32 v4, v3
	v_mov_b32_e32 v9, 0
	s_mov_b64 s[0:1], 0
	s_mov_b64 s[4:5], -1
	v_cvt_u32_f32_e32 v8, v4
	s_mov_b64 s[10:11], 0
	global_store_dwordx2 v[0:1], v[8:9], off
	s_branch .LBB22_1689
.LBB22_1688:
	s_mov_b64 s[10:11], 0
.LBB22_1689:
	s_and_b64 vcc, exec, s[10:11]
	s_cbranch_vccz .LBB22_1705
; %bb.1690:
	v_mov_b32_e32 v4, 27
	v_cmp_lt_i16_sdwa s[10:11], s33, v4 src0_sel:BYTE_0 src1_sel:DWORD
	s_mov_b64 s[4:5], -1
	s_and_b64 vcc, exec, s[10:11]
	s_cbranch_vccnz .LBB22_1696
; %bb.1691:
	v_cmp_gt_i16_sdwa s[10:11], s33, v4 src0_sel:BYTE_0 src1_sel:DWORD
	s_and_b64 vcc, exec, s[10:11]
	s_cbranch_vccz .LBB22_1693
; %bb.1692:
	v_cvt_f32_f16_e32 v4, v3
	s_mov_b64 s[4:5], 0
	v_cvt_u32_f32_e32 v4, v4
	global_store_dword v[0:1], v4, off
.LBB22_1693:
	s_andn2_b64 vcc, exec, s[4:5]
	s_cbranch_vccnz .LBB22_1695
; %bb.1694:
	v_cvt_u16_f16_e32 v4, v3
	global_store_short v[0:1], v4, off
.LBB22_1695:
	s_mov_b64 s[4:5], 0
.LBB22_1696:
	s_andn2_b64 vcc, exec, s[4:5]
	s_cbranch_vccnz .LBB22_1704
; %bb.1697:
	v_cvt_f32_f16_e32 v4, v3
	s_mov_b32 s4, 0x43800000
	v_mov_b32_e32 v8, 0x80
	v_and_b32_e32 v7, 0x7fffffff, v4
	v_cmp_gt_u32_e32 vcc, s4, v7
	s_and_saveexec_b64 s[4:5], vcc
	s_cbranch_execz .LBB22_1703
; %bb.1698:
	s_mov_b32 s10, 0x3bffffff
	v_cmp_lt_u32_e32 vcc, s10, v7
	s_mov_b64 s[10:11], 0
                                        ; implicit-def: $vgpr7
	s_and_saveexec_b64 s[16:17], vcc
	s_xor_b64 s[16:17], exec, s[16:17]
	s_cbranch_execz .LBB22_1799
; %bb.1699:
	v_bfe_u32 v7, v4, 20, 1
	s_mov_b32 s19, 0x487ffff
	v_add3_u32 v7, v4, v7, s19
	s_mov_b64 s[10:11], exec
	v_lshrrev_b32_e32 v7, 20, v7
	s_or_saveexec_b64 s[16:17], s[16:17]
                                        ; implicit-def: $sgpr19
	s_xor_b64 exec, exec, s[16:17]
	s_cbranch_execnz .LBB22_1800
.LBB22_1700:
	s_or_b64 exec, exec, s[16:17]
	v_mov_b32_e32 v8, s19
	s_and_saveexec_b64 s[16:17], s[10:11]
.LBB22_1701:
	v_lshrrev_b32_e32 v4, 24, v4
	s_movk_i32 s10, 0x80
	v_and_or_b32 v8, v4, s10, v7
.LBB22_1702:
	s_or_b64 exec, exec, s[16:17]
.LBB22_1703:
	s_or_b64 exec, exec, s[4:5]
	global_store_byte v[0:1], v8, off
.LBB22_1704:
	s_mov_b64 s[4:5], -1
.LBB22_1705:
	s_mov_b64 s[10:11], 0
.LBB22_1706:
	s_and_b64 vcc, exec, s[10:11]
	s_cbranch_vccz .LBB22_1746
; %bb.1707:
	v_mov_b32_e32 v4, 22
	v_cmp_gt_i16_sdwa s[10:11], s33, v4 src0_sel:BYTE_0 src1_sel:DWORD
	s_mov_b64 s[2:3], -1
	s_and_b64 vcc, exec, s[10:11]
	s_cbranch_vccz .LBB22_1739
; %bb.1708:
	v_mov_b32_e32 v4, 24
	v_cmp_lt_i16_sdwa s[4:5], s33, v4 src0_sel:BYTE_0 src1_sel:DWORD
	s_and_b64 vcc, exec, s[4:5]
	s_cbranch_vccnz .LBB22_1728
; %bb.1709:
	v_cmp_gt_i16_sdwa s[4:5], s33, v4 src0_sel:BYTE_0 src1_sel:DWORD
	s_and_b64 vcc, exec, s[4:5]
	s_cbranch_vccz .LBB22_1717
; %bb.1710:
	v_cvt_f32_f16_e32 v4, v3
	s_mov_b32 s2, 0x47800000
	v_mov_b32_e32 v8, 0x80
	v_and_b32_e32 v7, 0x7fffffff, v4
	v_cmp_gt_u32_e32 vcc, s2, v7
	s_and_saveexec_b64 s[2:3], vcc
	s_cbranch_execz .LBB22_1716
; %bb.1711:
	s_mov_b32 s4, 0x37ffffff
	v_cmp_lt_u32_e32 vcc, s4, v7
	s_mov_b64 s[4:5], 0
                                        ; implicit-def: $vgpr7
	s_and_saveexec_b64 s[10:11], vcc
	s_xor_b64 s[10:11], exec, s[10:11]
	s_cbranch_execz .LBB22_1803
; %bb.1712:
	v_bfe_u32 v7, v4, 21, 1
	s_mov_b32 s16, 0x88fffff
	v_add3_u32 v7, v4, v7, s16
	s_mov_b64 s[4:5], exec
	v_lshrrev_b32_e32 v7, 21, v7
	s_or_saveexec_b64 s[10:11], s[10:11]
                                        ; implicit-def: $sgpr16
	s_xor_b64 exec, exec, s[10:11]
	s_cbranch_execnz .LBB22_1804
.LBB22_1713:
	s_or_b64 exec, exec, s[10:11]
	v_mov_b32_e32 v8, s16
	s_and_saveexec_b64 s[10:11], s[4:5]
.LBB22_1714:
	v_lshrrev_b32_e32 v4, 24, v4
	s_movk_i32 s4, 0x80
	v_and_or_b32 v8, v4, s4, v7
.LBB22_1715:
	s_or_b64 exec, exec, s[10:11]
.LBB22_1716:
	s_or_b64 exec, exec, s[2:3]
	s_mov_b64 s[2:3], 0
	global_store_byte v[0:1], v8, off
.LBB22_1717:
	s_and_b64 vcc, exec, s[2:3]
	s_cbranch_vccz .LBB22_1727
; %bb.1718:
	v_cvt_f32_f16_e32 v4, v3
	s_mov_b32 s2, 0x43f00000
                                        ; implicit-def: $vgpr7
	v_and_b32_e32 v8, 0x7fffffff, v4
	v_cmp_gt_u32_e32 vcc, s2, v8
	s_and_saveexec_b64 s[2:3], vcc
	s_xor_b64 s[2:3], exec, s[2:3]
	s_cbranch_execz .LBB22_1724
; %bb.1719:
	s_mov_b32 s4, 0x3c7fffff
	v_cmp_lt_u32_e32 vcc, s4, v8
                                        ; implicit-def: $vgpr7
	s_and_saveexec_b64 s[4:5], vcc
	s_xor_b64 s[4:5], exec, s[4:5]
; %bb.1720:
	v_bfe_u32 v7, v4, 20, 1
	s_mov_b32 s10, 0x407ffff
	v_add3_u32 v7, v4, v7, s10
	v_lshrrev_b32_e32 v8, 20, v7
	v_and_b32_e32 v7, 0xff00000, v7
	s_mov_b32 s10, 0x7f00000
	v_mov_b32_e32 v9, 0x7e
	v_cmp_ne_u32_e32 vcc, s10, v7
	v_cndmask_b32_e32 v7, v9, v8, vcc
; %bb.1721:
	s_andn2_saveexec_b64 s[4:5], s[4:5]
; %bb.1722:
	s_mov_b32 s10, 0x46800000
	v_add_f32_e64 v7, |v4|, s10
; %bb.1723:
	s_or_b64 exec, exec, s[4:5]
                                        ; implicit-def: $vgpr8
.LBB22_1724:
	s_andn2_saveexec_b64 s[2:3], s[2:3]
; %bb.1725:
	s_mov_b32 s4, 0x7f800000
	v_mov_b32_e32 v7, 0x7e
	v_mov_b32_e32 v9, 0x7f
	v_cmp_lt_u32_e32 vcc, s4, v8
	v_cndmask_b32_e32 v7, v7, v9, vcc
; %bb.1726:
	s_or_b64 exec, exec, s[2:3]
	v_lshrrev_b32_e32 v4, 24, v4
	s_movk_i32 s2, 0x80
	v_and_or_b32 v4, v4, s2, v7
	global_store_byte v[0:1], v4, off
.LBB22_1727:
	s_mov_b64 s[2:3], 0
.LBB22_1728:
	s_andn2_b64 vcc, exec, s[2:3]
	s_cbranch_vccnz .LBB22_1738
; %bb.1729:
	v_cvt_f32_f16_e32 v4, v3
	s_mov_b32 s2, 0x47800000
                                        ; implicit-def: $vgpr7
	v_and_b32_e32 v8, 0x7fffffff, v4
	v_cmp_gt_u32_e32 vcc, s2, v8
	s_and_saveexec_b64 s[2:3], vcc
	s_xor_b64 s[2:3], exec, s[2:3]
	s_cbranch_execz .LBB22_1735
; %bb.1730:
	s_mov_b32 s4, 0x387fffff
	v_cmp_lt_u32_e32 vcc, s4, v8
                                        ; implicit-def: $vgpr7
	s_and_saveexec_b64 s[4:5], vcc
	s_xor_b64 s[4:5], exec, s[4:5]
; %bb.1731:
	v_bfe_u32 v7, v4, 21, 1
	s_mov_b32 s10, 0x80fffff
	v_add3_u32 v7, v4, v7, s10
	v_lshrrev_b32_e32 v7, 21, v7
; %bb.1732:
	s_andn2_saveexec_b64 s[4:5], s[4:5]
; %bb.1733:
	s_mov_b32 s10, 0x43000000
	v_add_f32_e64 v7, |v4|, s10
; %bb.1734:
	s_or_b64 exec, exec, s[4:5]
                                        ; implicit-def: $vgpr8
.LBB22_1735:
	s_andn2_saveexec_b64 s[2:3], s[2:3]
; %bb.1736:
	s_mov_b32 s4, 0x7f800000
	v_mov_b32_e32 v7, 0x7c
	v_mov_b32_e32 v9, 0x7f
	v_cmp_lt_u32_e32 vcc, s4, v8
	v_cndmask_b32_e32 v7, v7, v9, vcc
; %bb.1737:
	s_or_b64 exec, exec, s[2:3]
	v_lshrrev_b32_e32 v4, 24, v4
	s_movk_i32 s2, 0x80
	v_and_or_b32 v4, v4, s2, v7
	global_store_byte v[0:1], v4, off
.LBB22_1738:
	s_mov_b64 s[2:3], 0
	s_mov_b64 s[4:5], -1
.LBB22_1739:
	s_andn2_b64 vcc, exec, s[2:3]
	s_mov_b64 s[2:3], 0
	s_cbranch_vccnz .LBB22_1746
; %bb.1740:
	v_mov_b32_e32 v4, 14
	v_cmp_gt_i16_sdwa s[2:3], s33, v4 src0_sel:BYTE_0 src1_sel:DWORD
	s_mov_b64 s[10:11], -1
	s_and_b64 vcc, exec, s[2:3]
	s_cbranch_vccz .LBB22_1744
; %bb.1741:
	v_mov_b32_e32 v4, 15
	v_cmp_eq_u16_sdwa s[2:3], s33, v4 src0_sel:BYTE_0 src1_sel:DWORD
	s_mov_b64 s[0:1], -1
	s_and_b64 vcc, exec, s[2:3]
	s_cbranch_vccz .LBB22_1743
; %bb.1742:
	v_cvt_f32_f16_e32 v4, v3
	s_movk_i32 s0, 0x7fff
	v_mov_b32_e32 v7, 0x7fc0
	v_cmp_o_f16_e32 vcc, v3, v3
	v_bfe_u32 v8, v4, 16, 1
	v_add3_u32 v4, v4, v8, s0
	v_lshrrev_b32_e32 v4, 16, v4
	v_cndmask_b32_e32 v4, v7, v4, vcc
	global_store_short v[0:1], v4, off
	s_mov_b64 s[0:1], 0
	s_mov_b64 s[4:5], -1
.LBB22_1743:
	s_mov_b64 s[10:11], 0
.LBB22_1744:
	s_mov_b64 s[2:3], 0
	s_and_b64 vcc, exec, s[10:11]
	s_cbranch_vccz .LBB22_1746
; %bb.1745:
	v_mov_b32_e32 v4, 11
	v_cmp_ne_u16_sdwa s[0:1], s33, v4 src0_sel:BYTE_0 src1_sel:DWORD
	s_mov_b64 s[2:3], -1
.LBB22_1746:
	s_and_b64 vcc, exec, s[0:1]
	s_cbranch_vccnz .LBB22_1802
; %bb.1747:
	s_andn2_b64 vcc, exec, s[2:3]
	s_cbranch_vccnz .LBB22_1749
.LBB22_1748:
	v_and_b32_e32 v4, 0x7fff, v3
	v_cmp_ne_u16_e32 vcc, 0, v4
	v_cndmask_b32_e64 v4, 0, 1, vcc
	s_mov_b64 s[4:5], -1
	global_store_byte v[0:1], v4, off
.LBB22_1749:
	s_mov_b64 s[0:1], 0
.LBB22_1750:
	s_and_b64 vcc, exec, s[0:1]
	s_cbranch_vccz .LBB22_1789
; %bb.1751:
	v_mov_b32_e32 v4, 5
	v_cmp_lt_i16_sdwa s[2:3], s33, v4 src0_sel:BYTE_0 src1_sel:DWORD
	s_mov_b64 s[0:1], -1
	s_and_b64 vcc, exec, s[2:3]
	s_cbranch_vccnz .LBB22_1772
; %bb.1752:
	v_mov_b32_e32 v4, 8
	v_cmp_lt_i16_sdwa s[2:3], s33, v4 src0_sel:BYTE_0 src1_sel:DWORD
	s_and_b64 vcc, exec, s[2:3]
	s_cbranch_vccnz .LBB22_1762
; %bb.1753:
	v_mov_b32_e32 v4, 9
	v_cmp_lt_i16_sdwa s[2:3], s33, v4 src0_sel:BYTE_0 src1_sel:DWORD
	s_and_b64 vcc, exec, s[2:3]
	s_cbranch_vccnz .LBB22_1759
; %bb.1754:
	v_cmp_gt_i16_sdwa s[2:3], s33, v4 src0_sel:BYTE_0 src1_sel:DWORD
	s_and_b64 vcc, exec, s[2:3]
	s_cbranch_vccz .LBB22_1756
; %bb.1755:
	v_cvt_f32_f16_e32 v4, v3
	v_mov_b32_e32 v10, 0
	v_mov_b32_e32 v11, v10
	s_mov_b64 s[0:1], 0
	v_cvt_f64_f32_e32 v[8:9], v4
	global_store_dwordx4 v[0:1], v[8:11], off
.LBB22_1756:
	s_andn2_b64 vcc, exec, s[0:1]
	s_cbranch_vccnz .LBB22_1758
; %bb.1757:
	v_cvt_f32_f16_e32 v8, v3
	v_mov_b32_e32 v9, 0
	global_store_dwordx2 v[0:1], v[8:9], off
.LBB22_1758:
	s_mov_b64 s[0:1], 0
.LBB22_1759:
	s_andn2_b64 vcc, exec, s[0:1]
	s_cbranch_vccnz .LBB22_1761
; %bb.1760:
	v_and_b32_e32 v4, 0xffff, v3
	global_store_dword v[0:1], v4, off
.LBB22_1761:
	s_mov_b64 s[0:1], 0
.LBB22_1762:
	s_andn2_b64 vcc, exec, s[0:1]
	s_cbranch_vccnz .LBB22_1771
; %bb.1763:
	v_mov_b32_e32 v4, 6
	v_cmp_lt_i16_sdwa s[2:3], s33, v4 src0_sel:BYTE_0 src1_sel:DWORD
	s_mov_b64 s[0:1], -1
	s_and_b64 vcc, exec, s[2:3]
	s_cbranch_vccnz .LBB22_1769
; %bb.1764:
	v_cmp_gt_i16_sdwa s[2:3], s33, v4 src0_sel:BYTE_0 src1_sel:DWORD
	s_and_b64 vcc, exec, s[2:3]
	s_cbranch_vccz .LBB22_1766
; %bb.1765:
	v_cvt_f32_f16_e32 v4, v3
	s_mov_b64 s[0:1], 0
	v_cvt_f64_f32_e32 v[8:9], v4
	global_store_dwordx2 v[0:1], v[8:9], off
.LBB22_1766:
	s_andn2_b64 vcc, exec, s[0:1]
	s_cbranch_vccnz .LBB22_1768
; %bb.1767:
	v_cvt_f32_f16_e32 v4, v3
	global_store_dword v[0:1], v4, off
.LBB22_1768:
	s_mov_b64 s[0:1], 0
.LBB22_1769:
	s_andn2_b64 vcc, exec, s[0:1]
	s_cbranch_vccnz .LBB22_1771
; %bb.1770:
	global_store_short v[0:1], v3, off
.LBB22_1771:
	s_mov_b64 s[0:1], 0
.LBB22_1772:
	s_andn2_b64 vcc, exec, s[0:1]
	s_cbranch_vccnz .LBB22_1788
; %bb.1773:
	v_mov_b32_e32 v4, 2
	v_cmp_lt_i16_sdwa s[2:3], s33, v4 src0_sel:BYTE_0 src1_sel:DWORD
	s_mov_b64 s[0:1], -1
	s_and_b64 vcc, exec, s[2:3]
	s_cbranch_vccnz .LBB22_1783
; %bb.1774:
	v_mov_b32_e32 v4, 3
	v_cmp_lt_i16_sdwa s[2:3], s33, v4 src0_sel:BYTE_0 src1_sel:DWORD
	s_and_b64 vcc, exec, s[2:3]
	s_cbranch_vccnz .LBB22_1780
; %bb.1775:
	v_cmp_gt_i16_sdwa s[2:3], s33, v4 src0_sel:BYTE_0 src1_sel:DWORD
	s_and_b64 vcc, exec, s[2:3]
	s_cbranch_vccz .LBB22_1777
; %bb.1776:
	v_cvt_f32_f16_e32 v4, v3
	s_mov_b64 s[0:1], 0
	v_cvt_i32_f32_e32 v8, v4
	v_ashrrev_i32_e32 v9, 31, v8
	global_store_dwordx2 v[0:1], v[8:9], off
.LBB22_1777:
	s_andn2_b64 vcc, exec, s[0:1]
	s_cbranch_vccnz .LBB22_1779
; %bb.1778:
	v_cvt_f32_f16_e32 v4, v3
	v_cvt_i32_f32_e32 v4, v4
	global_store_dword v[0:1], v4, off
.LBB22_1779:
	s_mov_b64 s[0:1], 0
.LBB22_1780:
	s_andn2_b64 vcc, exec, s[0:1]
	s_cbranch_vccnz .LBB22_1782
; %bb.1781:
	v_cvt_i16_f16_e32 v4, v3
	global_store_short v[0:1], v4, off
.LBB22_1782:
	s_mov_b64 s[0:1], 0
.LBB22_1783:
	s_andn2_b64 vcc, exec, s[0:1]
	s_cbranch_vccnz .LBB22_1788
; %bb.1784:
	v_mov_b32_e32 v4, 0
	v_cmp_gt_i16_sdwa s[2:3], s33, v4 src0_sel:BYTE_0 src1_sel:DWORD
	s_mov_b64 s[0:1], -1
	s_and_b64 vcc, exec, s[2:3]
	s_cbranch_vccz .LBB22_1786
; %bb.1785:
	v_cvt_i16_f16_e32 v4, v3
	global_store_byte v[0:1], v4, off
	s_mov_b64 s[0:1], 0
.LBB22_1786:
	s_andn2_b64 vcc, exec, s[0:1]
	s_cbranch_vccnz .LBB22_1788
; %bb.1787:
	v_cvt_f32_f16_e32 v3, v3
	v_cvt_i32_f32_e32 v3, v3
	global_store_byte v[0:1], v3, off
.LBB22_1788:
	s_mov_b64 s[4:5], -1
.LBB22_1789:
	s_andn2_b64 vcc, exec, s[4:5]
	s_cbranch_vccnz .LBB22_1993
; %bb.1790:
	v_cmp_nge_f16_e64 s[0:1], v5, -s42
	v_cmp_nge_f16_e32 vcc, s42, v5
	s_or_b64 vcc, s[0:1], vcc
	v_add_u32_e32 v2, s18, v2
	v_cndmask_b32_e32 v3, 0, v5, vcc
	v_ashrrev_i32_e32 v1, 31, v2
	v_mov_b32_e32 v4, s9
	v_add_co_u32_e32 v0, vcc, s8, v2
	v_addc_co_u32_e32 v1, vcc, v4, v1, vcc
	v_mov_b32_e32 v4, 11
	v_cmp_lt_i16_sdwa s[0:1], s33, v4 src0_sel:BYTE_0 src1_sel:DWORD
	s_and_b64 vcc, exec, s[0:1]
	s_cbranch_vccnz .LBB22_1797
; %bb.1791:
	v_mov_b32_e32 v4, 25
	v_cmp_gt_i16_sdwa s[0:1], s33, v4 src0_sel:BYTE_0 src1_sel:DWORD
	s_mov_b64 s[10:11], -1
	s_mov_b64 s[2:3], 0
	s_and_b64 vcc, exec, s[0:1]
	s_mov_b64 s[4:5], 0
	s_mov_b64 s[0:1], 0
	s_cbranch_vccz .LBB22_1833
; %bb.1792:
	v_mov_b32_e32 v4, 28
	v_cmp_gt_i16_sdwa s[0:1], s33, v4 src0_sel:BYTE_0 src1_sel:DWORD
	s_and_b64 vcc, exec, s[0:1]
	s_cbranch_vccz .LBB22_1798
; %bb.1793:
	v_mov_b32_e32 v4, 43
	v_cmp_gt_i16_sdwa s[0:1], s33, v4 src0_sel:BYTE_0 src1_sel:DWORD
	s_and_b64 vcc, exec, s[0:1]
	;; [unrolled: 5-line block ×3, first 2 shown]
	s_cbranch_vccz .LBB22_1805
; %bb.1795:
	v_mov_b32_e32 v4, 46
	v_cmp_eq_u16_sdwa s[4:5], s33, v4 src0_sel:BYTE_0 src1_sel:DWORD
	s_mov_b64 s[0:1], -1
	s_mov_b64 s[10:11], 0
	s_and_b64 vcc, exec, s[4:5]
	s_mov_b64 s[4:5], 0
	s_cbranch_vccz .LBB22_1806
; %bb.1796:
	v_cvt_f32_f16_e32 v4, v3
	s_movk_i32 s0, 0x7fff
	v_mov_b32_e32 v5, 0x7fc0
	v_cmp_o_f16_e32 vcc, v3, v3
	v_bfe_u32 v7, v4, 16, 1
	v_add3_u32 v4, v4, v7, s0
	v_lshrrev_b32_e32 v4, 16, v4
	v_cndmask_b32_e32 v4, v5, v4, vcc
	global_store_dword v[0:1], v4, off
	s_mov_b64 s[0:1], 0
	s_mov_b64 s[4:5], -1
	s_branch .LBB22_1806
.LBB22_1797:
	s_mov_b64 s[0:1], -1
	s_mov_b64 s[4:5], 0
	s_branch .LBB22_1877
.LBB22_1798:
	s_mov_b64 s[0:1], 0
	s_branch .LBB22_1816
.LBB22_1799:
	s_or_saveexec_b64 s[16:17], s[16:17]
                                        ; implicit-def: $sgpr19
	s_xor_b64 exec, exec, s[16:17]
	s_cbranch_execz .LBB22_1700
.LBB22_1800:
	s_mov_b32 s19, 0x46000000
	v_add_f32_e64 v7, |v4|, s19
	v_and_b32_e32 v7, 0xff, v7
	v_cmp_ne_u32_e32 vcc, 0, v7
	s_andn2_b64 s[10:11], s[10:11], exec
	s_and_b64 s[20:21], vcc, exec
	s_mov_b32 s19, 0
	s_or_b64 s[10:11], s[10:11], s[20:21]
	s_or_b64 exec, exec, s[16:17]
	v_mov_b32_e32 v8, s19
	s_and_saveexec_b64 s[16:17], s[10:11]
	s_cbranch_execnz .LBB22_1701
	s_branch .LBB22_1702
.LBB22_1801:
	s_mov_b64 s[0:1], 0
	s_branch .LBB22_1812
.LBB22_1802:
	s_trap 2
	s_or_b64 s[14:15], s[14:15], exec
	s_cbranch_execz .LBB22_1748
	s_branch .LBB22_1749
.LBB22_1803:
	s_or_saveexec_b64 s[10:11], s[10:11]
                                        ; implicit-def: $sgpr16
	s_xor_b64 exec, exec, s[10:11]
	s_cbranch_execz .LBB22_1713
.LBB22_1804:
	s_mov_b32 s16, 0x42800000
	v_add_f32_e64 v7, |v4|, s16
	v_and_b32_e32 v7, 0xff, v7
	v_cmp_ne_u32_e32 vcc, 0, v7
	s_andn2_b64 s[4:5], s[4:5], exec
	s_and_b64 s[20:21], vcc, exec
	s_mov_b32 s16, 0
	s_or_b64 s[4:5], s[4:5], s[20:21]
	s_or_b64 exec, exec, s[10:11]
	v_mov_b32_e32 v8, s16
	s_and_saveexec_b64 s[10:11], s[4:5]
	s_cbranch_execnz .LBB22_1714
	s_branch .LBB22_1715
.LBB22_1805:
	s_mov_b64 s[0:1], 0
.LBB22_1806:
	s_and_b64 vcc, exec, s[10:11]
	s_cbranch_vccz .LBB22_1811
; %bb.1807:
	v_mov_b32_e32 v4, 44
	v_cmp_eq_u16_sdwa s[10:11], s33, v4 src0_sel:BYTE_0 src1_sel:DWORD
	s_mov_b64 s[0:1], -1
	s_and_b64 vcc, exec, s[10:11]
	s_cbranch_vccz .LBB22_1811
; %bb.1808:
	v_cvt_f32_f16_e32 v4, v3
	s_movk_i32 s0, 0xff
	v_mov_b32_e32 v7, 0xff
	v_bfe_u32 v5, v4, 23, 8
	v_cmp_ne_u32_e32 vcc, s0, v5
	s_and_saveexec_b64 s[4:5], vcc
; %bb.1809:
	s_mov_b32 s0, 0x3fffff
	v_lshrrev_b32_e32 v7, 23, v4
	v_and_b32_e32 v8, 0x400000, v4
	v_and_or_b32 v4, v4, s0, v5
	v_cmp_ne_u32_e32 vcc, 0, v8
	v_cmp_ne_u32_e64 s[0:1], 0, v4
	s_and_b64 s[0:1], vcc, s[0:1]
	v_cndmask_b32_e64 v4, 0, 1, s[0:1]
	v_add_u32_e32 v7, v7, v4
; %bb.1810:
	s_or_b64 exec, exec, s[4:5]
	s_mov_b64 s[0:1], 0
	s_mov_b64 s[4:5], -1
	global_store_byte v[0:1], v7, off
.LBB22_1811:
	s_mov_b64 s[10:11], 0
.LBB22_1812:
	s_and_b64 vcc, exec, s[10:11]
	s_cbranch_vccz .LBB22_1815
; %bb.1813:
	v_mov_b32_e32 v4, 29
	v_cmp_eq_u16_sdwa s[10:11], s33, v4 src0_sel:BYTE_0 src1_sel:DWORD
	s_mov_b64 s[0:1], -1
	s_and_b64 vcc, exec, s[10:11]
	s_cbranch_vccz .LBB22_1815
; %bb.1814:
	v_cvt_f32_f16_e32 v4, v3
	v_mov_b32_e32 v5, 0
	s_mov_b64 s[0:1], 0
	s_mov_b64 s[4:5], -1
	v_cvt_u32_f32_e32 v4, v4
	s_mov_b64 s[10:11], 0
	global_store_dwordx2 v[0:1], v[4:5], off
	s_branch .LBB22_1816
.LBB22_1815:
	s_mov_b64 s[10:11], 0
.LBB22_1816:
	s_and_b64 vcc, exec, s[10:11]
	s_cbranch_vccz .LBB22_1832
; %bb.1817:
	v_mov_b32_e32 v4, 27
	v_cmp_lt_i16_sdwa s[10:11], s33, v4 src0_sel:BYTE_0 src1_sel:DWORD
	s_mov_b64 s[4:5], -1
	s_and_b64 vcc, exec, s[10:11]
	s_cbranch_vccnz .LBB22_1823
; %bb.1818:
	v_cmp_gt_i16_sdwa s[10:11], s33, v4 src0_sel:BYTE_0 src1_sel:DWORD
	s_and_b64 vcc, exec, s[10:11]
	s_cbranch_vccz .LBB22_1820
; %bb.1819:
	v_cvt_f32_f16_e32 v4, v3
	s_mov_b64 s[4:5], 0
	v_cvt_u32_f32_e32 v4, v4
	global_store_dword v[0:1], v4, off
.LBB22_1820:
	s_andn2_b64 vcc, exec, s[4:5]
	s_cbranch_vccnz .LBB22_1822
; %bb.1821:
	v_cvt_u16_f16_e32 v4, v3
	global_store_short v[0:1], v4, off
.LBB22_1822:
	s_mov_b64 s[4:5], 0
.LBB22_1823:
	s_andn2_b64 vcc, exec, s[4:5]
	s_cbranch_vccnz .LBB22_1831
; %bb.1824:
	v_cvt_f32_f16_e32 v4, v3
	s_mov_b32 s4, 0x43800000
	v_mov_b32_e32 v7, 0x80
	v_and_b32_e32 v5, 0x7fffffff, v4
	v_cmp_gt_u32_e32 vcc, s4, v5
	s_and_saveexec_b64 s[4:5], vcc
	s_cbranch_execz .LBB22_1830
; %bb.1825:
	s_mov_b32 s10, 0x3bffffff
	v_cmp_lt_u32_e32 vcc, s10, v5
	s_mov_b64 s[10:11], 0
                                        ; implicit-def: $vgpr5
	s_and_saveexec_b64 s[16:17], vcc
	s_xor_b64 s[16:17], exec, s[16:17]
	s_cbranch_execz .LBB22_2039
; %bb.1826:
	v_bfe_u32 v5, v4, 20, 1
	s_mov_b32 s19, 0x487ffff
	v_add3_u32 v5, v4, v5, s19
	s_mov_b64 s[10:11], exec
	v_lshrrev_b32_e32 v5, 20, v5
	s_or_saveexec_b64 s[16:17], s[16:17]
                                        ; implicit-def: $sgpr19
	s_xor_b64 exec, exec, s[16:17]
	s_cbranch_execnz .LBB22_2040
.LBB22_1827:
	s_or_b64 exec, exec, s[16:17]
	v_mov_b32_e32 v7, s19
	s_and_saveexec_b64 s[16:17], s[10:11]
.LBB22_1828:
	v_lshrrev_b32_e32 v4, 24, v4
	s_movk_i32 s10, 0x80
	v_and_or_b32 v7, v4, s10, v5
.LBB22_1829:
	s_or_b64 exec, exec, s[16:17]
.LBB22_1830:
	s_or_b64 exec, exec, s[4:5]
	global_store_byte v[0:1], v7, off
.LBB22_1831:
	s_mov_b64 s[4:5], -1
.LBB22_1832:
	s_mov_b64 s[10:11], 0
.LBB22_1833:
	s_and_b64 vcc, exec, s[10:11]
	s_cbranch_vccz .LBB22_1873
; %bb.1834:
	v_mov_b32_e32 v4, 22
	v_cmp_gt_i16_sdwa s[10:11], s33, v4 src0_sel:BYTE_0 src1_sel:DWORD
	s_mov_b64 s[2:3], -1
	s_and_b64 vcc, exec, s[10:11]
	s_cbranch_vccz .LBB22_1866
; %bb.1835:
	v_mov_b32_e32 v4, 24
	v_cmp_lt_i16_sdwa s[4:5], s33, v4 src0_sel:BYTE_0 src1_sel:DWORD
	s_and_b64 vcc, exec, s[4:5]
	s_cbranch_vccnz .LBB22_1855
; %bb.1836:
	v_cmp_gt_i16_sdwa s[4:5], s33, v4 src0_sel:BYTE_0 src1_sel:DWORD
	s_and_b64 vcc, exec, s[4:5]
	s_cbranch_vccz .LBB22_1844
; %bb.1837:
	v_cvt_f32_f16_e32 v4, v3
	s_mov_b32 s2, 0x47800000
	v_mov_b32_e32 v7, 0x80
	v_and_b32_e32 v5, 0x7fffffff, v4
	v_cmp_gt_u32_e32 vcc, s2, v5
	s_and_saveexec_b64 s[2:3], vcc
	s_cbranch_execz .LBB22_1843
; %bb.1838:
	s_mov_b32 s4, 0x37ffffff
	v_cmp_lt_u32_e32 vcc, s4, v5
	s_mov_b64 s[4:5], 0
                                        ; implicit-def: $vgpr5
	s_and_saveexec_b64 s[10:11], vcc
	s_xor_b64 s[10:11], exec, s[10:11]
	s_cbranch_execz .LBB22_2042
; %bb.1839:
	v_bfe_u32 v5, v4, 21, 1
	s_mov_b32 s16, 0x88fffff
	v_add3_u32 v5, v4, v5, s16
	s_mov_b64 s[4:5], exec
	v_lshrrev_b32_e32 v5, 21, v5
	s_or_saveexec_b64 s[10:11], s[10:11]
                                        ; implicit-def: $sgpr16
	s_xor_b64 exec, exec, s[10:11]
	s_cbranch_execnz .LBB22_2043
.LBB22_1840:
	s_or_b64 exec, exec, s[10:11]
	v_mov_b32_e32 v7, s16
	s_and_saveexec_b64 s[10:11], s[4:5]
.LBB22_1841:
	v_lshrrev_b32_e32 v4, 24, v4
	s_movk_i32 s4, 0x80
	v_and_or_b32 v7, v4, s4, v5
.LBB22_1842:
	s_or_b64 exec, exec, s[10:11]
.LBB22_1843:
	s_or_b64 exec, exec, s[2:3]
	s_mov_b64 s[2:3], 0
	global_store_byte v[0:1], v7, off
.LBB22_1844:
	s_and_b64 vcc, exec, s[2:3]
	s_cbranch_vccz .LBB22_1854
; %bb.1845:
	v_cvt_f32_f16_e32 v4, v3
	s_mov_b32 s2, 0x43f00000
                                        ; implicit-def: $vgpr5
	v_and_b32_e32 v7, 0x7fffffff, v4
	v_cmp_gt_u32_e32 vcc, s2, v7
	s_and_saveexec_b64 s[2:3], vcc
	s_xor_b64 s[2:3], exec, s[2:3]
	s_cbranch_execz .LBB22_1851
; %bb.1846:
	s_mov_b32 s4, 0x3c7fffff
	v_cmp_lt_u32_e32 vcc, s4, v7
                                        ; implicit-def: $vgpr5
	s_and_saveexec_b64 s[4:5], vcc
	s_xor_b64 s[4:5], exec, s[4:5]
; %bb.1847:
	v_bfe_u32 v5, v4, 20, 1
	s_mov_b32 s10, 0x407ffff
	v_add3_u32 v5, v4, v5, s10
	v_lshrrev_b32_e32 v7, 20, v5
	v_and_b32_e32 v5, 0xff00000, v5
	s_mov_b32 s10, 0x7f00000
	v_mov_b32_e32 v8, 0x7e
	v_cmp_ne_u32_e32 vcc, s10, v5
	v_cndmask_b32_e32 v5, v8, v7, vcc
; %bb.1848:
	s_andn2_saveexec_b64 s[4:5], s[4:5]
; %bb.1849:
	s_mov_b32 s10, 0x46800000
	v_add_f32_e64 v5, |v4|, s10
; %bb.1850:
	s_or_b64 exec, exec, s[4:5]
                                        ; implicit-def: $vgpr7
.LBB22_1851:
	s_andn2_saveexec_b64 s[2:3], s[2:3]
; %bb.1852:
	s_mov_b32 s4, 0x7f800000
	v_mov_b32_e32 v5, 0x7e
	v_mov_b32_e32 v8, 0x7f
	v_cmp_lt_u32_e32 vcc, s4, v7
	v_cndmask_b32_e32 v5, v5, v8, vcc
; %bb.1853:
	s_or_b64 exec, exec, s[2:3]
	v_lshrrev_b32_e32 v4, 24, v4
	s_movk_i32 s2, 0x80
	v_and_or_b32 v4, v4, s2, v5
	global_store_byte v[0:1], v4, off
.LBB22_1854:
	s_mov_b64 s[2:3], 0
.LBB22_1855:
	s_andn2_b64 vcc, exec, s[2:3]
	s_cbranch_vccnz .LBB22_1865
; %bb.1856:
	v_cvt_f32_f16_e32 v4, v3
	s_mov_b32 s2, 0x47800000
                                        ; implicit-def: $vgpr5
	v_and_b32_e32 v7, 0x7fffffff, v4
	v_cmp_gt_u32_e32 vcc, s2, v7
	s_and_saveexec_b64 s[2:3], vcc
	s_xor_b64 s[2:3], exec, s[2:3]
	s_cbranch_execz .LBB22_1862
; %bb.1857:
	s_mov_b32 s4, 0x387fffff
	v_cmp_lt_u32_e32 vcc, s4, v7
                                        ; implicit-def: $vgpr5
	s_and_saveexec_b64 s[4:5], vcc
	s_xor_b64 s[4:5], exec, s[4:5]
; %bb.1858:
	v_bfe_u32 v5, v4, 21, 1
	s_mov_b32 s10, 0x80fffff
	v_add3_u32 v5, v4, v5, s10
	v_lshrrev_b32_e32 v5, 21, v5
; %bb.1859:
	s_andn2_saveexec_b64 s[4:5], s[4:5]
; %bb.1860:
	s_mov_b32 s10, 0x43000000
	v_add_f32_e64 v5, |v4|, s10
; %bb.1861:
	s_or_b64 exec, exec, s[4:5]
                                        ; implicit-def: $vgpr7
.LBB22_1862:
	s_andn2_saveexec_b64 s[2:3], s[2:3]
; %bb.1863:
	s_mov_b32 s4, 0x7f800000
	v_mov_b32_e32 v5, 0x7c
	v_mov_b32_e32 v8, 0x7f
	v_cmp_lt_u32_e32 vcc, s4, v7
	v_cndmask_b32_e32 v5, v5, v8, vcc
; %bb.1864:
	s_or_b64 exec, exec, s[2:3]
	v_lshrrev_b32_e32 v4, 24, v4
	s_movk_i32 s2, 0x80
	v_and_or_b32 v4, v4, s2, v5
	global_store_byte v[0:1], v4, off
.LBB22_1865:
	s_mov_b64 s[2:3], 0
	s_mov_b64 s[4:5], -1
.LBB22_1866:
	s_andn2_b64 vcc, exec, s[2:3]
	s_mov_b64 s[2:3], 0
	s_cbranch_vccnz .LBB22_1873
; %bb.1867:
	v_mov_b32_e32 v4, 14
	v_cmp_gt_i16_sdwa s[2:3], s33, v4 src0_sel:BYTE_0 src1_sel:DWORD
	s_mov_b64 s[10:11], -1
	s_and_b64 vcc, exec, s[2:3]
	s_cbranch_vccz .LBB22_1871
; %bb.1868:
	v_mov_b32_e32 v4, 15
	v_cmp_eq_u16_sdwa s[2:3], s33, v4 src0_sel:BYTE_0 src1_sel:DWORD
	s_mov_b64 s[0:1], -1
	s_and_b64 vcc, exec, s[2:3]
	s_cbranch_vccz .LBB22_1870
; %bb.1869:
	v_cvt_f32_f16_e32 v4, v3
	s_movk_i32 s0, 0x7fff
	v_mov_b32_e32 v5, 0x7fc0
	v_cmp_o_f16_e32 vcc, v3, v3
	v_bfe_u32 v7, v4, 16, 1
	v_add3_u32 v4, v4, v7, s0
	v_lshrrev_b32_e32 v4, 16, v4
	v_cndmask_b32_e32 v4, v5, v4, vcc
	global_store_short v[0:1], v4, off
	s_mov_b64 s[0:1], 0
	s_mov_b64 s[4:5], -1
.LBB22_1870:
	s_mov_b64 s[10:11], 0
.LBB22_1871:
	s_mov_b64 s[2:3], 0
	s_and_b64 vcc, exec, s[10:11]
	s_cbranch_vccz .LBB22_1873
; %bb.1872:
	v_mov_b32_e32 v4, 11
	v_cmp_ne_u16_sdwa s[0:1], s33, v4 src0_sel:BYTE_0 src1_sel:DWORD
	s_mov_b64 s[2:3], -1
.LBB22_1873:
	s_and_b64 vcc, exec, s[0:1]
	s_cbranch_vccnz .LBB22_2041
; %bb.1874:
	s_andn2_b64 vcc, exec, s[2:3]
	s_cbranch_vccnz .LBB22_1876
.LBB22_1875:
	v_and_b32_e32 v4, 0x7fff, v3
	v_cmp_ne_u16_e32 vcc, 0, v4
	v_cndmask_b32_e64 v4, 0, 1, vcc
	s_mov_b64 s[4:5], -1
	global_store_byte v[0:1], v4, off
.LBB22_1876:
	s_mov_b64 s[0:1], 0
.LBB22_1877:
	s_and_b64 vcc, exec, s[0:1]
	s_cbranch_vccz .LBB22_1916
; %bb.1878:
	v_mov_b32_e32 v4, 5
	v_cmp_lt_i16_sdwa s[2:3], s33, v4 src0_sel:BYTE_0 src1_sel:DWORD
	s_mov_b64 s[0:1], -1
	s_and_b64 vcc, exec, s[2:3]
	s_cbranch_vccnz .LBB22_1899
; %bb.1879:
	v_mov_b32_e32 v4, 8
	v_cmp_lt_i16_sdwa s[2:3], s33, v4 src0_sel:BYTE_0 src1_sel:DWORD
	s_and_b64 vcc, exec, s[2:3]
	s_cbranch_vccnz .LBB22_1889
; %bb.1880:
	v_mov_b32_e32 v4, 9
	v_cmp_lt_i16_sdwa s[2:3], s33, v4 src0_sel:BYTE_0 src1_sel:DWORD
	s_and_b64 vcc, exec, s[2:3]
	s_cbranch_vccnz .LBB22_1886
; %bb.1881:
	v_cmp_gt_i16_sdwa s[2:3], s33, v4 src0_sel:BYTE_0 src1_sel:DWORD
	s_and_b64 vcc, exec, s[2:3]
	s_cbranch_vccz .LBB22_1883
; %bb.1882:
	v_cvt_f32_f16_e32 v4, v3
	v_mov_b32_e32 v10, 0
	v_mov_b32_e32 v11, v10
	s_mov_b64 s[0:1], 0
	v_cvt_f64_f32_e32 v[8:9], v4
	global_store_dwordx4 v[0:1], v[8:11], off
.LBB22_1883:
	s_andn2_b64 vcc, exec, s[0:1]
	s_cbranch_vccnz .LBB22_1885
; %bb.1884:
	v_cvt_f32_f16_e32 v4, v3
	v_mov_b32_e32 v5, 0
	global_store_dwordx2 v[0:1], v[4:5], off
.LBB22_1885:
	s_mov_b64 s[0:1], 0
.LBB22_1886:
	s_andn2_b64 vcc, exec, s[0:1]
	s_cbranch_vccnz .LBB22_1888
; %bb.1887:
	v_and_b32_e32 v4, 0xffff, v3
	global_store_dword v[0:1], v4, off
.LBB22_1888:
	s_mov_b64 s[0:1], 0
.LBB22_1889:
	s_andn2_b64 vcc, exec, s[0:1]
	s_cbranch_vccnz .LBB22_1898
; %bb.1890:
	v_mov_b32_e32 v4, 6
	v_cmp_lt_i16_sdwa s[2:3], s33, v4 src0_sel:BYTE_0 src1_sel:DWORD
	s_mov_b64 s[0:1], -1
	s_and_b64 vcc, exec, s[2:3]
	s_cbranch_vccnz .LBB22_1896
; %bb.1891:
	v_cmp_gt_i16_sdwa s[2:3], s33, v4 src0_sel:BYTE_0 src1_sel:DWORD
	s_and_b64 vcc, exec, s[2:3]
	s_cbranch_vccz .LBB22_1893
; %bb.1892:
	v_cvt_f32_f16_e32 v4, v3
	s_mov_b64 s[0:1], 0
	v_cvt_f64_f32_e32 v[4:5], v4
	global_store_dwordx2 v[0:1], v[4:5], off
.LBB22_1893:
	s_andn2_b64 vcc, exec, s[0:1]
	s_cbranch_vccnz .LBB22_1895
; %bb.1894:
	v_cvt_f32_f16_e32 v4, v3
	global_store_dword v[0:1], v4, off
.LBB22_1895:
	s_mov_b64 s[0:1], 0
.LBB22_1896:
	s_andn2_b64 vcc, exec, s[0:1]
	s_cbranch_vccnz .LBB22_1898
; %bb.1897:
	global_store_short v[0:1], v3, off
.LBB22_1898:
	s_mov_b64 s[0:1], 0
.LBB22_1899:
	s_andn2_b64 vcc, exec, s[0:1]
	s_cbranch_vccnz .LBB22_1915
; %bb.1900:
	v_mov_b32_e32 v4, 2
	v_cmp_lt_i16_sdwa s[2:3], s33, v4 src0_sel:BYTE_0 src1_sel:DWORD
	s_mov_b64 s[0:1], -1
	s_and_b64 vcc, exec, s[2:3]
	s_cbranch_vccnz .LBB22_1910
; %bb.1901:
	v_mov_b32_e32 v4, 3
	v_cmp_lt_i16_sdwa s[2:3], s33, v4 src0_sel:BYTE_0 src1_sel:DWORD
	s_and_b64 vcc, exec, s[2:3]
	s_cbranch_vccnz .LBB22_1907
; %bb.1902:
	v_cmp_gt_i16_sdwa s[2:3], s33, v4 src0_sel:BYTE_0 src1_sel:DWORD
	s_and_b64 vcc, exec, s[2:3]
	s_cbranch_vccz .LBB22_1904
; %bb.1903:
	v_cvt_f32_f16_e32 v4, v3
	s_mov_b64 s[0:1], 0
	v_cvt_i32_f32_e32 v4, v4
	v_ashrrev_i32_e32 v5, 31, v4
	global_store_dwordx2 v[0:1], v[4:5], off
.LBB22_1904:
	s_andn2_b64 vcc, exec, s[0:1]
	s_cbranch_vccnz .LBB22_1906
; %bb.1905:
	v_cvt_f32_f16_e32 v4, v3
	v_cvt_i32_f32_e32 v4, v4
	global_store_dword v[0:1], v4, off
.LBB22_1906:
	s_mov_b64 s[0:1], 0
.LBB22_1907:
	s_andn2_b64 vcc, exec, s[0:1]
	s_cbranch_vccnz .LBB22_1909
; %bb.1908:
	v_cvt_i16_f16_e32 v4, v3
	global_store_short v[0:1], v4, off
.LBB22_1909:
	s_mov_b64 s[0:1], 0
.LBB22_1910:
	s_andn2_b64 vcc, exec, s[0:1]
	s_cbranch_vccnz .LBB22_1915
; %bb.1911:
	v_mov_b32_e32 v4, 0
	v_cmp_gt_i16_sdwa s[2:3], s33, v4 src0_sel:BYTE_0 src1_sel:DWORD
	s_mov_b64 s[0:1], -1
	s_and_b64 vcc, exec, s[2:3]
	s_cbranch_vccz .LBB22_1913
; %bb.1912:
	v_cvt_i16_f16_e32 v4, v3
	global_store_byte v[0:1], v4, off
	s_mov_b64 s[0:1], 0
.LBB22_1913:
	s_andn2_b64 vcc, exec, s[0:1]
	s_cbranch_vccnz .LBB22_1915
; %bb.1914:
	v_cvt_f32_f16_e32 v3, v3
	v_cvt_i32_f32_e32 v3, v3
	global_store_byte v[0:1], v3, off
.LBB22_1915:
	s_mov_b64 s[4:5], -1
.LBB22_1916:
	s_andn2_b64 vcc, exec, s[4:5]
	s_cbranch_vccnz .LBB22_1993
; %bb.1917:
	v_cmp_nge_f16_e64 s[0:1], v6, -s42
	v_cmp_nge_f16_e32 vcc, s42, v6
	s_or_b64 vcc, s[0:1], vcc
	v_add_u32_e32 v0, s18, v2
	v_cndmask_b32_e32 v3, 0, v6, vcc
	v_ashrrev_i32_e32 v1, 31, v0
	v_mov_b32_e32 v2, s9
	v_add_co_u32_e32 v0, vcc, s8, v0
	v_addc_co_u32_e32 v1, vcc, v2, v1, vcc
	v_mov_b32_e32 v2, 0xff
	v_and_b32_e32 v4, s33, v2
	v_cmp_gt_i16_e32 vcc, 11, v4
	s_cbranch_vccnz .LBB22_2038
; %bb.1918:
	v_cmp_lt_i16_e32 vcc, 25, v4
	s_mov_b64 s[4:5], -1
	s_mov_b64 s[2:3], 0
	s_mov_b64 s[0:1], 0
	s_cbranch_vccz .LBB22_1951
; %bb.1919:
	v_cmp_lt_i16_e32 vcc, 28, v4
	s_cbranch_vccz .LBB22_1935
; %bb.1920:
	v_cmp_lt_i16_e32 vcc, 43, v4
	;; [unrolled: 3-line block ×3, first 2 shown]
	s_cbranch_vccz .LBB22_1925
; %bb.1922:
	v_cmp_eq_u16_e32 vcc, 46, v4
	s_mov_b64 s[0:1], -1
	s_cbranch_vccz .LBB22_1924
; %bb.1923:
	v_cvt_f32_f16_e32 v2, v3
	s_movk_i32 s0, 0x7fff
	v_mov_b32_e32 v5, 0x7fc0
	v_cmp_o_f16_e32 vcc, v3, v3
	v_bfe_u32 v6, v2, 16, 1
	v_add3_u32 v2, v2, v6, s0
	v_lshrrev_b32_e32 v2, 16, v2
	v_cndmask_b32_e32 v2, v5, v2, vcc
	global_store_dword v[0:1], v2, off
	s_mov_b64 s[0:1], 0
.LBB22_1924:
	s_mov_b64 s[4:5], 0
.LBB22_1925:
	s_and_b64 vcc, exec, s[4:5]
	s_cbranch_vccz .LBB22_1930
; %bb.1926:
	v_cmp_eq_u16_e32 vcc, 44, v4
	s_mov_b64 s[0:1], -1
	s_cbranch_vccz .LBB22_1930
; %bb.1927:
	v_cvt_f32_f16_e32 v2, v3
	s_movk_i32 s0, 0xff
	v_mov_b32_e32 v6, 0xff
	v_bfe_u32 v5, v2, 23, 8
	v_cmp_ne_u32_e32 vcc, s0, v5
	s_and_saveexec_b64 s[4:5], vcc
; %bb.1928:
	s_mov_b32 s0, 0x3fffff
	v_lshrrev_b32_e32 v6, 23, v2
	v_and_b32_e32 v7, 0x400000, v2
	v_and_or_b32 v2, v2, s0, v5
	v_cmp_ne_u32_e32 vcc, 0, v7
	v_cmp_ne_u32_e64 s[0:1], 0, v2
	s_and_b64 s[0:1], vcc, s[0:1]
	v_cndmask_b32_e64 v2, 0, 1, s[0:1]
	v_add_u32_e32 v6, v6, v2
; %bb.1929:
	s_or_b64 exec, exec, s[4:5]
	s_mov_b64 s[0:1], 0
	global_store_byte v[0:1], v6, off
.LBB22_1930:
	s_mov_b64 s[4:5], 0
.LBB22_1931:
	s_and_b64 vcc, exec, s[4:5]
	s_cbranch_vccz .LBB22_1934
; %bb.1932:
	v_cmp_eq_u16_e32 vcc, 29, v4
	s_mov_b64 s[0:1], -1
	s_cbranch_vccz .LBB22_1934
; %bb.1933:
	v_cvt_f32_f16_e32 v2, v3
	v_mov_b32_e32 v7, 0
	s_mov_b64 s[0:1], 0
	v_cvt_u32_f32_e32 v6, v2
	global_store_dwordx2 v[0:1], v[6:7], off
.LBB22_1934:
	s_mov_b64 s[4:5], 0
.LBB22_1935:
	s_and_b64 vcc, exec, s[4:5]
	s_cbranch_vccz .LBB22_1950
; %bb.1936:
	v_cmp_gt_i16_e32 vcc, 27, v4
	s_mov_b64 s[4:5], -1
	s_cbranch_vccnz .LBB22_1942
; %bb.1937:
	v_cmp_lt_i16_e32 vcc, 27, v4
	s_cbranch_vccz .LBB22_1939
; %bb.1938:
	v_cvt_f32_f16_e32 v2, v3
	s_mov_b64 s[4:5], 0
	v_cvt_u32_f32_e32 v2, v2
	global_store_dword v[0:1], v2, off
.LBB22_1939:
	s_andn2_b64 vcc, exec, s[4:5]
	s_cbranch_vccnz .LBB22_1941
; %bb.1940:
	v_cvt_u16_f16_e32 v2, v3
	global_store_short v[0:1], v2, off
.LBB22_1941:
	s_mov_b64 s[4:5], 0
.LBB22_1942:
	s_andn2_b64 vcc, exec, s[4:5]
	s_cbranch_vccnz .LBB22_1950
; %bb.1943:
	v_cvt_f32_f16_e32 v2, v3
	s_mov_b32 s4, 0x43800000
	v_mov_b32_e32 v6, 0x80
	v_and_b32_e32 v5, 0x7fffffff, v2
	v_cmp_gt_u32_e32 vcc, s4, v5
	s_and_saveexec_b64 s[4:5], vcc
	s_cbranch_execz .LBB22_1949
; %bb.1944:
	s_mov_b32 s8, 0x3bffffff
	v_cmp_lt_u32_e32 vcc, s8, v5
	s_mov_b64 s[8:9], 0
                                        ; implicit-def: $vgpr5
	s_and_saveexec_b64 s[10:11], vcc
	s_xor_b64 s[10:11], exec, s[10:11]
	s_cbranch_execz .LBB22_2044
; %bb.1945:
	v_bfe_u32 v5, v2, 20, 1
	s_mov_b32 s16, 0x487ffff
	v_add3_u32 v5, v2, v5, s16
	s_mov_b64 s[8:9], exec
	v_lshrrev_b32_e32 v5, 20, v5
	s_or_saveexec_b64 s[10:11], s[10:11]
                                        ; implicit-def: $sgpr16
	s_xor_b64 exec, exec, s[10:11]
	s_cbranch_execnz .LBB22_2045
.LBB22_1946:
	s_or_b64 exec, exec, s[10:11]
	v_mov_b32_e32 v6, s16
	s_and_saveexec_b64 s[10:11], s[8:9]
.LBB22_1947:
	v_lshrrev_b32_e32 v2, 24, v2
	s_movk_i32 s8, 0x80
	v_and_or_b32 v6, v2, s8, v5
.LBB22_1948:
	s_or_b64 exec, exec, s[10:11]
.LBB22_1949:
	s_or_b64 exec, exec, s[4:5]
	global_store_byte v[0:1], v6, off
.LBB22_1950:
	s_mov_b64 s[4:5], 0
.LBB22_1951:
	s_and_b64 vcc, exec, s[4:5]
	s_cbranch_vccz .LBB22_1991
; %bb.1952:
	v_cmp_lt_i16_e32 vcc, 22, v4
	s_mov_b64 s[2:3], -1
	s_cbranch_vccz .LBB22_1984
; %bb.1953:
	v_cmp_gt_i16_e32 vcc, 24, v4
	s_cbranch_vccnz .LBB22_1973
; %bb.1954:
	v_cmp_lt_i16_e32 vcc, 24, v4
	s_cbranch_vccz .LBB22_1962
; %bb.1955:
	v_cvt_f32_f16_e32 v2, v3
	s_mov_b32 s2, 0x47800000
	v_mov_b32_e32 v6, 0x80
	v_and_b32_e32 v5, 0x7fffffff, v2
	v_cmp_gt_u32_e32 vcc, s2, v5
	s_and_saveexec_b64 s[2:3], vcc
	s_cbranch_execz .LBB22_1961
; %bb.1956:
	s_mov_b32 s4, 0x37ffffff
	v_cmp_lt_u32_e32 vcc, s4, v5
	s_mov_b64 s[4:5], 0
                                        ; implicit-def: $vgpr5
	s_and_saveexec_b64 s[8:9], vcc
	s_xor_b64 s[8:9], exec, s[8:9]
	s_cbranch_execz .LBB22_2047
; %bb.1957:
	v_bfe_u32 v5, v2, 21, 1
	s_mov_b32 s10, 0x88fffff
	v_add3_u32 v5, v2, v5, s10
	s_mov_b64 s[4:5], exec
	v_lshrrev_b32_e32 v5, 21, v5
	s_or_saveexec_b64 s[8:9], s[8:9]
                                        ; implicit-def: $sgpr10
	s_xor_b64 exec, exec, s[8:9]
	s_cbranch_execnz .LBB22_2048
.LBB22_1958:
	s_or_b64 exec, exec, s[8:9]
	v_mov_b32_e32 v6, s10
	s_and_saveexec_b64 s[8:9], s[4:5]
.LBB22_1959:
	v_lshrrev_b32_e32 v2, 24, v2
	s_movk_i32 s4, 0x80
	v_and_or_b32 v6, v2, s4, v5
.LBB22_1960:
	s_or_b64 exec, exec, s[8:9]
.LBB22_1961:
	s_or_b64 exec, exec, s[2:3]
	s_mov_b64 s[2:3], 0
	global_store_byte v[0:1], v6, off
.LBB22_1962:
	s_and_b64 vcc, exec, s[2:3]
	s_cbranch_vccz .LBB22_1972
; %bb.1963:
	v_cvt_f32_f16_e32 v2, v3
	s_mov_b32 s2, 0x43f00000
                                        ; implicit-def: $vgpr5
	v_and_b32_e32 v6, 0x7fffffff, v2
	v_cmp_gt_u32_e32 vcc, s2, v6
	s_and_saveexec_b64 s[2:3], vcc
	s_xor_b64 s[2:3], exec, s[2:3]
	s_cbranch_execz .LBB22_1969
; %bb.1964:
	s_mov_b32 s4, 0x3c7fffff
	v_cmp_lt_u32_e32 vcc, s4, v6
                                        ; implicit-def: $vgpr5
	s_and_saveexec_b64 s[4:5], vcc
	s_xor_b64 s[4:5], exec, s[4:5]
; %bb.1965:
	v_bfe_u32 v5, v2, 20, 1
	s_mov_b32 s8, 0x407ffff
	v_add3_u32 v5, v2, v5, s8
	v_lshrrev_b32_e32 v6, 20, v5
	v_and_b32_e32 v5, 0xff00000, v5
	s_mov_b32 s8, 0x7f00000
	v_mov_b32_e32 v7, 0x7e
	v_cmp_ne_u32_e32 vcc, s8, v5
	v_cndmask_b32_e32 v5, v7, v6, vcc
; %bb.1966:
	s_andn2_saveexec_b64 s[4:5], s[4:5]
; %bb.1967:
	s_mov_b32 s8, 0x46800000
	v_add_f32_e64 v5, |v2|, s8
; %bb.1968:
	s_or_b64 exec, exec, s[4:5]
                                        ; implicit-def: $vgpr6
.LBB22_1969:
	s_andn2_saveexec_b64 s[2:3], s[2:3]
; %bb.1970:
	s_mov_b32 s4, 0x7f800000
	v_mov_b32_e32 v5, 0x7e
	v_mov_b32_e32 v7, 0x7f
	v_cmp_lt_u32_e32 vcc, s4, v6
	v_cndmask_b32_e32 v5, v5, v7, vcc
; %bb.1971:
	s_or_b64 exec, exec, s[2:3]
	v_lshrrev_b32_e32 v2, 24, v2
	s_movk_i32 s2, 0x80
	v_and_or_b32 v2, v2, s2, v5
	global_store_byte v[0:1], v2, off
.LBB22_1972:
	s_mov_b64 s[2:3], 0
.LBB22_1973:
	s_andn2_b64 vcc, exec, s[2:3]
	s_cbranch_vccnz .LBB22_1983
; %bb.1974:
	v_cvt_f32_f16_e32 v2, v3
	s_mov_b32 s2, 0x47800000
                                        ; implicit-def: $vgpr5
	v_and_b32_e32 v6, 0x7fffffff, v2
	v_cmp_gt_u32_e32 vcc, s2, v6
	s_and_saveexec_b64 s[2:3], vcc
	s_xor_b64 s[2:3], exec, s[2:3]
	s_cbranch_execz .LBB22_1980
; %bb.1975:
	s_mov_b32 s4, 0x387fffff
	v_cmp_lt_u32_e32 vcc, s4, v6
                                        ; implicit-def: $vgpr5
	s_and_saveexec_b64 s[4:5], vcc
	s_xor_b64 s[4:5], exec, s[4:5]
; %bb.1976:
	v_bfe_u32 v5, v2, 21, 1
	s_mov_b32 s8, 0x80fffff
	v_add3_u32 v5, v2, v5, s8
	v_lshrrev_b32_e32 v5, 21, v5
; %bb.1977:
	s_andn2_saveexec_b64 s[4:5], s[4:5]
; %bb.1978:
	s_mov_b32 s8, 0x43000000
	v_add_f32_e64 v5, |v2|, s8
; %bb.1979:
	s_or_b64 exec, exec, s[4:5]
                                        ; implicit-def: $vgpr6
.LBB22_1980:
	s_andn2_saveexec_b64 s[2:3], s[2:3]
; %bb.1981:
	s_mov_b32 s4, 0x7f800000
	v_mov_b32_e32 v5, 0x7c
	v_mov_b32_e32 v7, 0x7f
	v_cmp_lt_u32_e32 vcc, s4, v6
	v_cndmask_b32_e32 v5, v5, v7, vcc
; %bb.1982:
	s_or_b64 exec, exec, s[2:3]
	v_lshrrev_b32_e32 v2, 24, v2
	s_movk_i32 s2, 0x80
	v_and_or_b32 v2, v2, s2, v5
	global_store_byte v[0:1], v2, off
.LBB22_1983:
	s_mov_b64 s[2:3], 0
.LBB22_1984:
	s_andn2_b64 vcc, exec, s[2:3]
	s_mov_b64 s[2:3], 0
	s_cbranch_vccnz .LBB22_1991
; %bb.1985:
	v_cmp_lt_i16_e32 vcc, 14, v4
	s_mov_b64 s[4:5], -1
	s_cbranch_vccz .LBB22_1989
; %bb.1986:
	v_cmp_eq_u16_e32 vcc, 15, v4
	s_mov_b64 s[0:1], -1
	s_cbranch_vccz .LBB22_1988
; %bb.1987:
	v_cvt_f32_f16_e32 v2, v3
	s_movk_i32 s0, 0x7fff
	v_mov_b32_e32 v5, 0x7fc0
	v_cmp_o_f16_e32 vcc, v3, v3
	v_bfe_u32 v6, v2, 16, 1
	v_add3_u32 v2, v2, v6, s0
	v_lshrrev_b32_e32 v2, 16, v2
	v_cndmask_b32_e32 v2, v5, v2, vcc
	global_store_short v[0:1], v2, off
	s_mov_b64 s[0:1], 0
.LBB22_1988:
	s_mov_b64 s[4:5], 0
.LBB22_1989:
	s_and_b64 vcc, exec, s[4:5]
	s_cbranch_vccz .LBB22_1991
; %bb.1990:
	v_cmp_ne_u16_e64 s[0:1], 11, v4
	s_mov_b64 s[2:3], -1
.LBB22_1991:
	s_and_b64 vcc, exec, s[0:1]
	s_cbranch_vccnz .LBB22_2046
.LBB22_1992:
	s_mov_b64 s[0:1], 0
	s_branch .LBB22_1994
.LBB22_1993:
	s_mov_b64 s[0:1], 0
	s_mov_b64 s[2:3], 0
                                        ; implicit-def: $vgpr4
                                        ; implicit-def: $vgpr0_vgpr1
                                        ; implicit-def: $vgpr3
.LBB22_1994:
	s_and_b64 s[4:5], s[2:3], exec
	s_andn2_b64 s[2:3], s[12:13], exec
	s_and_b64 s[8:9], s[14:15], exec
	s_and_b64 s[0:1], s[0:1], exec
	s_or_b64 s[12:13], s[2:3], s[8:9]
.LBB22_1995:
	s_or_b64 exec, exec, s[6:7]
	s_and_saveexec_b64 s[2:3], s[12:13]
	s_cbranch_execz .LBB22_1998
; %bb.1996:
	; divergent unreachable
	s_or_b64 exec, exec, s[2:3]
	s_and_saveexec_b64 s[2:3], s[4:5]
	s_xor_b64 s[2:3], exec, s[2:3]
	s_cbranch_execnz .LBB22_1999
.LBB22_1997:
	s_or_b64 exec, exec, s[2:3]
	s_and_saveexec_b64 s[2:3], s[0:1]
	s_cbranch_execnz .LBB22_2000
	s_branch .LBB22_2037
.LBB22_1998:
	s_or_b64 exec, exec, s[2:3]
	s_and_saveexec_b64 s[2:3], s[4:5]
	s_xor_b64 s[2:3], exec, s[2:3]
	s_cbranch_execz .LBB22_1997
.LBB22_1999:
	s_waitcnt vmcnt(0)
	v_and_b32_e32 v2, 0x7fff, v3
	v_cmp_ne_u16_e32 vcc, 0, v2
	v_cndmask_b32_e64 v2, 0, 1, vcc
	global_store_byte v[0:1], v2, off
	s_or_b64 exec, exec, s[2:3]
	s_and_saveexec_b64 s[2:3], s[0:1]
	s_cbranch_execz .LBB22_2037
.LBB22_2000:
	s_waitcnt vmcnt(0)
	v_cmp_gt_i16_e32 vcc, 5, v4
	s_mov_b64 s[0:1], -1
	s_cbranch_vccnz .LBB22_2021
; %bb.2001:
	v_cmp_gt_i16_e32 vcc, 8, v4
	s_cbranch_vccnz .LBB22_2011
; %bb.2002:
	v_cmp_gt_i16_e32 vcc, 9, v4
	s_cbranch_vccnz .LBB22_2008
; %bb.2003:
	v_cmp_lt_i16_e32 vcc, 9, v4
	s_cbranch_vccz .LBB22_2005
; %bb.2004:
	v_cvt_f32_f16_e32 v2, v3
	v_mov_b32_e32 v8, 0
	v_mov_b32_e32 v9, v8
	s_mov_b64 s[0:1], 0
	v_cvt_f64_f32_e32 v[6:7], v2
	global_store_dwordx4 v[0:1], v[6:9], off
.LBB22_2005:
	s_andn2_b64 vcc, exec, s[0:1]
	s_cbranch_vccnz .LBB22_2007
; %bb.2006:
	v_cvt_f32_f16_e32 v6, v3
	v_mov_b32_e32 v7, 0
	global_store_dwordx2 v[0:1], v[6:7], off
.LBB22_2007:
	s_mov_b64 s[0:1], 0
.LBB22_2008:
	s_andn2_b64 vcc, exec, s[0:1]
	s_cbranch_vccnz .LBB22_2010
; %bb.2009:
	v_and_b32_e32 v2, 0xffff, v3
	global_store_dword v[0:1], v2, off
.LBB22_2010:
	s_mov_b64 s[0:1], 0
.LBB22_2011:
	s_andn2_b64 vcc, exec, s[0:1]
	s_cbranch_vccnz .LBB22_2020
; %bb.2012:
	v_cmp_gt_i16_e32 vcc, 6, v4
	s_mov_b64 s[0:1], -1
	s_cbranch_vccnz .LBB22_2018
; %bb.2013:
	v_cmp_lt_i16_e32 vcc, 6, v4
	s_cbranch_vccz .LBB22_2015
; %bb.2014:
	v_cvt_f32_f16_e32 v2, v3
	s_mov_b64 s[0:1], 0
	v_cvt_f64_f32_e32 v[6:7], v2
	global_store_dwordx2 v[0:1], v[6:7], off
.LBB22_2015:
	s_andn2_b64 vcc, exec, s[0:1]
	s_cbranch_vccnz .LBB22_2017
; %bb.2016:
	v_cvt_f32_f16_e32 v2, v3
	global_store_dword v[0:1], v2, off
.LBB22_2017:
	s_mov_b64 s[0:1], 0
.LBB22_2018:
	s_andn2_b64 vcc, exec, s[0:1]
	s_cbranch_vccnz .LBB22_2020
; %bb.2019:
	global_store_short v[0:1], v3, off
.LBB22_2020:
	s_mov_b64 s[0:1], 0
.LBB22_2021:
	s_andn2_b64 vcc, exec, s[0:1]
	s_cbranch_vccnz .LBB22_2037
; %bb.2022:
	v_cmp_gt_i16_e32 vcc, 2, v4
	s_mov_b64 s[0:1], -1
	s_cbranch_vccnz .LBB22_2032
; %bb.2023:
	v_cmp_gt_i16_e32 vcc, 3, v4
	s_cbranch_vccnz .LBB22_2029
; %bb.2024:
	v_cmp_lt_i16_e32 vcc, 3, v4
	s_cbranch_vccz .LBB22_2026
; %bb.2025:
	v_cvt_f32_f16_e32 v2, v3
	s_mov_b64 s[0:1], 0
	v_cvt_i32_f32_e32 v6, v2
	v_ashrrev_i32_e32 v7, 31, v6
	global_store_dwordx2 v[0:1], v[6:7], off
.LBB22_2026:
	s_andn2_b64 vcc, exec, s[0:1]
	s_cbranch_vccnz .LBB22_2028
; %bb.2027:
	v_cvt_f32_f16_e32 v2, v3
	v_cvt_i32_f32_e32 v2, v2
	global_store_dword v[0:1], v2, off
.LBB22_2028:
	s_mov_b64 s[0:1], 0
.LBB22_2029:
	s_andn2_b64 vcc, exec, s[0:1]
	s_cbranch_vccnz .LBB22_2031
; %bb.2030:
	v_cvt_i16_f16_e32 v2, v3
	global_store_short v[0:1], v2, off
.LBB22_2031:
	s_mov_b64 s[0:1], 0
.LBB22_2032:
	s_andn2_b64 vcc, exec, s[0:1]
	s_cbranch_vccnz .LBB22_2037
; %bb.2033:
	v_cmp_lt_i16_e32 vcc, 0, v4
	s_mov_b64 s[0:1], -1
	s_cbranch_vccz .LBB22_2035
; %bb.2034:
	v_cvt_i16_f16_e32 v2, v3
	global_store_byte v[0:1], v2, off
	s_mov_b64 s[0:1], 0
.LBB22_2035:
	s_andn2_b64 vcc, exec, s[0:1]
	s_cbranch_vccnz .LBB22_2037
; %bb.2036:
	v_cvt_f32_f16_e32 v2, v3
	v_cvt_i32_f32_e32 v2, v2
	global_store_byte v[0:1], v2, off
	s_endpgm
.LBB22_2037:
	s_endpgm
.LBB22_2038:
	s_mov_b64 s[2:3], 0
	s_mov_b64 s[0:1], -1
	s_branch .LBB22_1994
.LBB22_2039:
	s_or_saveexec_b64 s[16:17], s[16:17]
                                        ; implicit-def: $sgpr19
	s_xor_b64 exec, exec, s[16:17]
	s_cbranch_execz .LBB22_1827
.LBB22_2040:
	s_mov_b32 s19, 0x46000000
	v_add_f32_e64 v5, |v4|, s19
	v_and_b32_e32 v5, 0xff, v5
	v_cmp_ne_u32_e32 vcc, 0, v5
	s_andn2_b64 s[10:11], s[10:11], exec
	s_and_b64 s[20:21], vcc, exec
	s_mov_b32 s19, 0
	s_or_b64 s[10:11], s[10:11], s[20:21]
	s_or_b64 exec, exec, s[16:17]
	v_mov_b32_e32 v7, s19
	s_and_saveexec_b64 s[16:17], s[10:11]
	s_cbranch_execnz .LBB22_1828
	s_branch .LBB22_1829
.LBB22_2041:
	s_trap 2
	s_or_b64 s[14:15], s[14:15], exec
	s_cbranch_execz .LBB22_1875
	s_branch .LBB22_1876
.LBB22_2042:
	s_or_saveexec_b64 s[10:11], s[10:11]
                                        ; implicit-def: $sgpr16
	s_xor_b64 exec, exec, s[10:11]
	s_cbranch_execz .LBB22_1840
.LBB22_2043:
	s_mov_b32 s16, 0x42800000
	v_add_f32_e64 v5, |v4|, s16
	v_and_b32_e32 v5, 0xff, v5
	v_cmp_ne_u32_e32 vcc, 0, v5
	s_andn2_b64 s[4:5], s[4:5], exec
	s_and_b64 s[20:21], vcc, exec
	s_mov_b32 s16, 0
	s_or_b64 s[4:5], s[4:5], s[20:21]
	s_or_b64 exec, exec, s[10:11]
	v_mov_b32_e32 v7, s16
	s_and_saveexec_b64 s[10:11], s[4:5]
	s_cbranch_execnz .LBB22_1841
	s_branch .LBB22_1842
.LBB22_2044:
	s_or_saveexec_b64 s[10:11], s[10:11]
                                        ; implicit-def: $sgpr16
	s_xor_b64 exec, exec, s[10:11]
	s_cbranch_execz .LBB22_1946
.LBB22_2045:
	s_mov_b32 s16, 0x46000000
	v_add_f32_e64 v5, |v2|, s16
	v_and_b32_e32 v5, 0xff, v5
	v_cmp_ne_u32_e32 vcc, 0, v5
	s_andn2_b64 s[8:9], s[8:9], exec
	s_and_b64 s[18:19], vcc, exec
	s_mov_b32 s16, 0
	s_or_b64 s[8:9], s[8:9], s[18:19]
	s_or_b64 exec, exec, s[10:11]
	v_mov_b32_e32 v6, s16
	s_and_saveexec_b64 s[10:11], s[8:9]
	s_cbranch_execnz .LBB22_1947
	s_branch .LBB22_1948
.LBB22_2046:
	s_mov_b64 s[2:3], 0
	s_or_b64 s[14:15], s[14:15], exec
	s_trap 2
	s_branch .LBB22_1992
.LBB22_2047:
	s_or_saveexec_b64 s[8:9], s[8:9]
                                        ; implicit-def: $sgpr10
	s_xor_b64 exec, exec, s[8:9]
	s_cbranch_execz .LBB22_1958
.LBB22_2048:
	s_mov_b32 s10, 0x42800000
	v_add_f32_e64 v5, |v2|, s10
	v_and_b32_e32 v5, 0xff, v5
	v_cmp_ne_u32_e32 vcc, 0, v5
	s_andn2_b64 s[4:5], s[4:5], exec
	s_and_b64 s[16:17], vcc, exec
	s_mov_b32 s10, 0
	s_or_b64 s[4:5], s[4:5], s[16:17]
	s_or_b64 exec, exec, s[8:9]
	v_mov_b32_e32 v6, s10
	s_and_saveexec_b64 s[8:9], s[4:5]
	s_cbranch_execnz .LBB22_1959
	s_branch .LBB22_1960
	.section	.rodata,"a",@progbits
	.p2align	6, 0x0
	.amdhsa_kernel _ZN2at6native32elementwise_kernel_manual_unrollILi128ELi4EZNS0_15gpu_kernel_implIZZZNS0_12_GLOBAL__N_117hardshrink_kernelERNS_18TensorIteratorBaseERKN3c106ScalarEENKUlvE_clEvENKUlvE1_clEvEUlNS6_4HalfEE_EEvS5_RKT_EUlibE_EEviT1_
		.amdhsa_group_segment_fixed_size 0
		.amdhsa_private_segment_fixed_size 0
		.amdhsa_kernarg_size 40
		.amdhsa_user_sgpr_count 6
		.amdhsa_user_sgpr_private_segment_buffer 1
		.amdhsa_user_sgpr_dispatch_ptr 0
		.amdhsa_user_sgpr_queue_ptr 0
		.amdhsa_user_sgpr_kernarg_segment_ptr 1
		.amdhsa_user_sgpr_dispatch_id 0
		.amdhsa_user_sgpr_flat_scratch_init 0
		.amdhsa_user_sgpr_kernarg_preload_length 0
		.amdhsa_user_sgpr_kernarg_preload_offset 0
		.amdhsa_user_sgpr_private_segment_size 0
		.amdhsa_uses_dynamic_stack 0
		.amdhsa_system_sgpr_private_segment_wavefront_offset 0
		.amdhsa_system_sgpr_workgroup_id_x 1
		.amdhsa_system_sgpr_workgroup_id_y 0
		.amdhsa_system_sgpr_workgroup_id_z 0
		.amdhsa_system_sgpr_workgroup_info 0
		.amdhsa_system_vgpr_workitem_id 0
		.amdhsa_next_free_vgpr 12
		.amdhsa_next_free_sgpr 45
		.amdhsa_accum_offset 12
		.amdhsa_reserve_vcc 1
		.amdhsa_reserve_flat_scratch 0
		.amdhsa_float_round_mode_32 0
		.amdhsa_float_round_mode_16_64 0
		.amdhsa_float_denorm_mode_32 3
		.amdhsa_float_denorm_mode_16_64 3
		.amdhsa_dx10_clamp 1
		.amdhsa_ieee_mode 1
		.amdhsa_fp16_overflow 0
		.amdhsa_tg_split 0
		.amdhsa_exception_fp_ieee_invalid_op 0
		.amdhsa_exception_fp_denorm_src 0
		.amdhsa_exception_fp_ieee_div_zero 0
		.amdhsa_exception_fp_ieee_overflow 0
		.amdhsa_exception_fp_ieee_underflow 0
		.amdhsa_exception_fp_ieee_inexact 0
		.amdhsa_exception_int_div_zero 0
	.end_amdhsa_kernel
	.section	.text._ZN2at6native32elementwise_kernel_manual_unrollILi128ELi4EZNS0_15gpu_kernel_implIZZZNS0_12_GLOBAL__N_117hardshrink_kernelERNS_18TensorIteratorBaseERKN3c106ScalarEENKUlvE_clEvENKUlvE1_clEvEUlNS6_4HalfEE_EEvS5_RKT_EUlibE_EEviT1_,"axG",@progbits,_ZN2at6native32elementwise_kernel_manual_unrollILi128ELi4EZNS0_15gpu_kernel_implIZZZNS0_12_GLOBAL__N_117hardshrink_kernelERNS_18TensorIteratorBaseERKN3c106ScalarEENKUlvE_clEvENKUlvE1_clEvEUlNS6_4HalfEE_EEvS5_RKT_EUlibE_EEviT1_,comdat
.Lfunc_end22:
	.size	_ZN2at6native32elementwise_kernel_manual_unrollILi128ELi4EZNS0_15gpu_kernel_implIZZZNS0_12_GLOBAL__N_117hardshrink_kernelERNS_18TensorIteratorBaseERKN3c106ScalarEENKUlvE_clEvENKUlvE1_clEvEUlNS6_4HalfEE_EEvS5_RKT_EUlibE_EEviT1_, .Lfunc_end22-_ZN2at6native32elementwise_kernel_manual_unrollILi128ELi4EZNS0_15gpu_kernel_implIZZZNS0_12_GLOBAL__N_117hardshrink_kernelERNS_18TensorIteratorBaseERKN3c106ScalarEENKUlvE_clEvENKUlvE1_clEvEUlNS6_4HalfEE_EEvS5_RKT_EUlibE_EEviT1_
                                        ; -- End function
	.section	.AMDGPU.csdata,"",@progbits
; Kernel info:
; codeLenInByte = 35600
; NumSgprs: 49
; NumVgprs: 12
; NumAgprs: 0
; TotalNumVgprs: 12
; ScratchSize: 0
; MemoryBound: 0
; FloatMode: 240
; IeeeMode: 1
; LDSByteSize: 0 bytes/workgroup (compile time only)
; SGPRBlocks: 6
; VGPRBlocks: 1
; NumSGPRsForWavesPerEU: 49
; NumVGPRsForWavesPerEU: 12
; AccumOffset: 12
; Occupancy: 8
; WaveLimiterHint : 0
; COMPUTE_PGM_RSRC2:SCRATCH_EN: 0
; COMPUTE_PGM_RSRC2:USER_SGPR: 6
; COMPUTE_PGM_RSRC2:TRAP_HANDLER: 0
; COMPUTE_PGM_RSRC2:TGID_X_EN: 1
; COMPUTE_PGM_RSRC2:TGID_Y_EN: 0
; COMPUTE_PGM_RSRC2:TGID_Z_EN: 0
; COMPUTE_PGM_RSRC2:TIDIG_COMP_CNT: 0
; COMPUTE_PGM_RSRC3_GFX90A:ACCUM_OFFSET: 2
; COMPUTE_PGM_RSRC3_GFX90A:TG_SPLIT: 0
	.section	.text._ZN2at6native32elementwise_kernel_manual_unrollILi128ELi4EZNS0_15gpu_kernel_implIZZZNS0_12_GLOBAL__N_117hardshrink_kernelERNS_18TensorIteratorBaseERKN3c106ScalarEENKUlvE_clEvENKUlvE1_clEvEUlNS6_4HalfEE_EEvS5_RKT_EUlibE0_EEviT1_,"axG",@progbits,_ZN2at6native32elementwise_kernel_manual_unrollILi128ELi4EZNS0_15gpu_kernel_implIZZZNS0_12_GLOBAL__N_117hardshrink_kernelERNS_18TensorIteratorBaseERKN3c106ScalarEENKUlvE_clEvENKUlvE1_clEvEUlNS6_4HalfEE_EEvS5_RKT_EUlibE0_EEviT1_,comdat
	.globl	_ZN2at6native32elementwise_kernel_manual_unrollILi128ELi4EZNS0_15gpu_kernel_implIZZZNS0_12_GLOBAL__N_117hardshrink_kernelERNS_18TensorIteratorBaseERKN3c106ScalarEENKUlvE_clEvENKUlvE1_clEvEUlNS6_4HalfEE_EEvS5_RKT_EUlibE0_EEviT1_ ; -- Begin function _ZN2at6native32elementwise_kernel_manual_unrollILi128ELi4EZNS0_15gpu_kernel_implIZZZNS0_12_GLOBAL__N_117hardshrink_kernelERNS_18TensorIteratorBaseERKN3c106ScalarEENKUlvE_clEvENKUlvE1_clEvEUlNS6_4HalfEE_EEvS5_RKT_EUlibE0_EEviT1_
	.p2align	8
	.type	_ZN2at6native32elementwise_kernel_manual_unrollILi128ELi4EZNS0_15gpu_kernel_implIZZZNS0_12_GLOBAL__N_117hardshrink_kernelERNS_18TensorIteratorBaseERKN3c106ScalarEENKUlvE_clEvENKUlvE1_clEvEUlNS6_4HalfEE_EEvS5_RKT_EUlibE0_EEviT1_,@function
_ZN2at6native32elementwise_kernel_manual_unrollILi128ELi4EZNS0_15gpu_kernel_implIZZZNS0_12_GLOBAL__N_117hardshrink_kernelERNS_18TensorIteratorBaseERKN3c106ScalarEENKUlvE_clEvENKUlvE1_clEvEUlNS6_4HalfEE_EEvS5_RKT_EUlibE0_EEviT1_: ; @_ZN2at6native32elementwise_kernel_manual_unrollILi128ELi4EZNS0_15gpu_kernel_implIZZZNS0_12_GLOBAL__N_117hardshrink_kernelERNS_18TensorIteratorBaseERKN3c106ScalarEENKUlvE_clEvENKUlvE1_clEvEUlNS6_4HalfEE_EEvS5_RKT_EUlibE0_EEviT1_
; %bb.0:
	s_load_dword s72, s[4:5], 0x0
	s_load_dword s33, s[4:5], 0x8
	s_or_b32 s34, s4, 8
	v_lshl_or_b32 v8, s6, 9, v0
	v_or_b32_e32 v9, 0x180, v8
	s_mov_b32 s35, s5
	s_waitcnt lgkmcnt(0)
	s_add_i32 s74, s33, -1
	s_cmp_gt_u32 s74, 1
	v_cmp_le_i32_e32 vcc, s72, v9
	s_cselect_b64 s[40:41], -1, 0
	s_mov_b64 s[6:7], 0
	s_mov_b64 s[28:29], 0
	s_and_saveexec_b64 s[0:1], vcc
	s_xor_b64 s[42:43], exec, s[0:1]
	s_cbranch_execz .LBB23_1090
; %bb.1:
	s_cmp_lg_u32 s33, 0
	s_cselect_b64 s[50:51], -1, 0
	s_add_u32 s48, s34, 0xc4
	s_addc_u32 s49, s35, 0
	s_min_u32 s73, s74, 15
	s_cmp_gt_u32 s33, 1
	s_load_dwordx4 s[28:31], s[34:35], 0x4
	s_load_dword s0, s[4:5], 0x160
	s_load_dwordx2 s[46:47], s[34:35], 0x14
	s_load_dwordx4 s[36:39], s[34:35], 0xc4
	s_load_dwordx4 s[24:27], s[34:35], 0x148
	s_load_dword s76, s[34:35], 0x158
	s_cselect_b64 s[44:45], -1, 0
	s_waitcnt lgkmcnt(0)
	s_lshr_b32 s75, s0, 16
	s_lshr_b32 s77, s0, 24
	v_cmp_gt_i32_e32 vcc, s72, v8
	s_mov_b64 s[2:3], -1
	s_mov_b64 s[60:61], 0
	s_mov_b64 s[54:55], 0
	;; [unrolled: 1-line block ×3, first 2 shown]
	s_and_saveexec_b64 s[56:57], vcc
	s_cbranch_execz .LBB23_267
; %bb.2:
	s_andn2_b64 vcc, exec, s[40:41]
	s_cbranch_vccnz .LBB23_8
; %bb.3:
	s_mov_b32 s52, 0
	s_andn2_b64 vcc, exec, s[50:51]
	v_mov_b32_e32 v2, 0
	v_mov_b32_e32 v0, 0
	s_cbranch_vccnz .LBB23_14
; %bb.4:
	s_add_i32 s62, s73, 1
	s_cmp_eq_u32 s74, 2
	s_cbranch_scc1 .LBB23_9
; %bb.5:
	s_and_b32 s52, s62, 28
	s_mov_b32 s53, 0
	v_mov_b32_e32 v0, 0
	s_mov_b64 s[54:55], s[34:35]
	s_mov_b64 s[58:59], s[48:49]
	v_mov_b32_e32 v3, v8
	v_mov_b32_e32 v2, 0
.LBB23_6:                               ; =>This Inner Loop Header: Depth=1
	s_load_dwordx8 s[16:23], s[54:55], 0x4
	s_load_dwordx4 s[0:3], s[54:55], 0x24
	s_load_dwordx8 s[8:15], s[58:59], 0x0
	s_add_u32 s54, s54, 48
	s_addc_u32 s55, s55, 0
	s_waitcnt lgkmcnt(0)
	v_mul_hi_u32 v1, s17, v3
	v_add_u32_e32 v1, v3, v1
	v_lshrrev_b32_e32 v1, s18, v1
	v_mul_lo_u32 v4, v1, s16
	v_mul_hi_u32 v5, s20, v1
	v_sub_u32_e32 v3, v3, v4
	v_add_u32_e32 v4, v1, v5
	v_lshrrev_b32_e32 v4, s21, v4
	v_mul_lo_u32 v6, v4, s19
	v_mul_hi_u32 v7, s23, v4
	v_sub_u32_e32 v1, v1, v6
	v_add_u32_e32 v6, v4, v7
	v_mul_lo_u32 v5, v3, s9
	v_mul_lo_u32 v3, v3, s8
	;; [unrolled: 1-line block ×4, first 2 shown]
	v_lshrrev_b32_e32 v6, s0, v6
	v_add3_u32 v0, v3, v0, v1
	v_mul_hi_u32 v3, s2, v6
	v_add_u32_e32 v3, v6, v3
	v_lshrrev_b32_e32 v3, s3, v3
	s_add_i32 s53, s53, 4
	v_add3_u32 v1, v5, v2, v7
	v_mul_lo_u32 v2, v6, s22
	v_mul_lo_u32 v5, v3, s1
	s_add_u32 s58, s58, 32
	v_sub_u32_e32 v2, v4, v2
	v_sub_u32_e32 v5, v6, v5
	s_addc_u32 s59, s59, 0
	v_mul_lo_u32 v4, v2, s12
	v_mul_lo_u32 v2, v2, s13
	;; [unrolled: 1-line block ×4, first 2 shown]
	s_cmp_lg_u32 s52, s53
	v_add3_u32 v2, v2, v1, v5
	v_add3_u32 v0, v4, v0, v6
	s_cbranch_scc1 .LBB23_6
; %bb.7:
	v_mov_b32_e32 v1, v2
	s_branch .LBB23_10
.LBB23_8:
                                        ; implicit-def: $vgpr2
                                        ; implicit-def: $vgpr0
	s_branch .LBB23_15
.LBB23_9:
	s_mov_b32 s53, s52
	v_pk_mov_b32 v[0:1], s[52:53], s[52:53] op_sel:[0,1]
                                        ; implicit-def: $vgpr2
	v_mov_b32_e32 v3, v8
.LBB23_10:
	s_and_b32 s8, s62, 3
	s_cmp_eq_u32 s8, 0
	s_cbranch_scc1 .LBB23_14
; %bb.11:
	s_lshl_b32 s0, s52, 3
	s_add_u32 s0, s0, s34
	s_addc_u32 s1, s35, 0
	s_add_u32 s0, s0, 0xc4
	s_addc_u32 s1, s1, 0
	s_mul_i32 s2, s52, 12
	s_add_u32 s2, s34, s2
	s_addc_u32 s3, s35, 0
.LBB23_12:                              ; =>This Inner Loop Header: Depth=1
	s_load_dwordx2 s[10:11], s[2:3], 0x4
	s_load_dword s9, s[2:3], 0xc
	s_load_dwordx2 s[12:13], s[0:1], 0x0
	v_mov_b32_e32 v2, v1
	s_add_u32 s2, s2, 12
	s_waitcnt lgkmcnt(0)
	v_mul_hi_u32 v1, s11, v3
	v_add_u32_e32 v1, v3, v1
	v_lshrrev_b32_e32 v1, s9, v1
	s_addc_u32 s3, s3, 0
	v_mul_lo_u32 v4, v1, s10
	s_add_u32 s0, s0, 8
	v_sub_u32_e32 v6, v3, v4
	v_mov_b32_e32 v3, v1
	s_addc_u32 s1, s1, 0
	s_add_i32 s8, s8, -1
	v_mad_u64_u32 v[4:5], s[10:11], v6, s13, v[2:3]
	v_mad_u64_u32 v[0:1], s[10:11], v6, s12, v[0:1]
	s_cmp_lg_u32 s8, 0
	v_mov_b32_e32 v1, v4
	s_cbranch_scc1 .LBB23_12
; %bb.13:
	v_mov_b32_e32 v2, v1
.LBB23_14:
	s_cbranch_execnz .LBB23_17
.LBB23_15:
	v_mul_hi_u32 v0, s29, v8
	v_add_u32_e32 v0, v8, v0
	v_lshrrev_b32_e32 v1, s30, v0
	v_mul_lo_u32 v0, v1, s28
	v_sub_u32_e32 v0, v8, v0
	v_mul_lo_u32 v2, v0, s37
	s_andn2_b64 vcc, exec, s[44:45]
	v_mul_lo_u32 v0, v0, s36
	s_cbranch_vccnz .LBB23_17
; %bb.16:
	v_mul_hi_u32 v3, s46, v1
	v_add_u32_e32 v3, v1, v3
	v_lshrrev_b32_e32 v3, s47, v3
	v_mul_lo_u32 v3, v3, s31
	v_sub_u32_e32 v3, v1, v3
	v_mad_u64_u32 v[0:1], s[0:1], v3, s38, v[0:1]
	v_mad_u64_u32 v[2:3], s[0:1], v3, s39, v[2:3]
.LBB23_17:
	v_mov_b32_e32 v1, s27
	v_add_co_u32_e32 v2, vcc, s26, v2
	v_addc_co_u32_e32 v3, vcc, 0, v1, vcc
	v_cmp_lt_i16_e64 s[0:1], s77, 11
	s_and_b64 vcc, exec, s[0:1]
	s_cbranch_vccnz .LBB23_24
; %bb.18:
	v_cmp_gt_i16_e64 s[0:1], s77, 25
	s_and_b64 vcc, exec, s[0:1]
	s_cbranch_vccz .LBB23_33
; %bb.19:
	v_cmp_gt_i16_e64 s[0:1], s77, 28
	s_and_b64 vcc, exec, s[0:1]
	s_cbranch_vccz .LBB23_36
	;; [unrolled: 4-line block ×4, first 2 shown]
; %bb.22:
	v_cmp_eq_u16_e64 s[0:1], s77, 46
	s_mov_b64 s[8:9], 0
	s_and_b64 vcc, exec, s[0:1]
	s_cbranch_vccz .LBB23_42
; %bb.23:
	global_load_dword v1, v[2:3], off
	s_mov_b64 s[0:1], -1
	s_mov_b64 s[2:3], 0
	s_waitcnt vmcnt(0)
	v_lshlrev_b32_e32 v1, 16, v1
	v_cvt_f16_f32_e32 v1, v1
	s_branch .LBB23_44
.LBB23_24:
	s_mov_b64 s[2:3], 0
                                        ; implicit-def: $vgpr1
	s_mov_b64 s[0:1], 0
	s_cbranch_execnz .LBB23_217
.LBB23_25:
	s_andn2_b64 vcc, exec, s[0:1]
	s_cbranch_vccnz .LBB23_264
.LBB23_26:
	s_waitcnt vmcnt(0)
	v_cmp_nge_f16_e64 s[0:1], v1, -s76
	v_cmp_nge_f16_e32 vcc, s76, v1
	s_or_b64 vcc, s[0:1], vcc
	v_cndmask_b32_e32 v2, 0, v1, vcc
	v_mov_b32_e32 v1, s25
	v_add_co_u32_e32 v0, vcc, s24, v0
	v_mov_b32_e32 v3, 11
	v_addc_co_u32_e32 v1, vcc, 0, v1, vcc
	v_cmp_lt_i16_sdwa s[0:1], s75, v3 src0_sel:BYTE_0 src1_sel:DWORD
	s_and_b64 vcc, exec, s[0:1]
	s_cbranch_vccnz .LBB23_34
; %bb.27:
	v_mov_b32_e32 v3, 25
	v_cmp_gt_i16_sdwa s[0:1], s75, v3 src0_sel:BYTE_0 src1_sel:DWORD
	s_and_b64 vcc, exec, s[0:1]
	s_cbranch_vccz .LBB23_37
; %bb.28:
	v_mov_b32_e32 v3, 28
	v_cmp_gt_i16_sdwa s[0:1], s75, v3 src0_sel:BYTE_0 src1_sel:DWORD
	s_and_b64 vcc, exec, s[0:1]
	s_cbranch_vccz .LBB23_39
	;; [unrolled: 5-line block ×4, first 2 shown]
; %bb.31:
	v_mov_b32_e32 v3, 46
	v_cmp_eq_u16_sdwa s[8:9], s75, v3 src0_sel:BYTE_0 src1_sel:DWORD
	s_mov_b64 s[10:11], 0
	s_mov_b64 s[0:1], -1
	s_and_b64 vcc, exec, s[8:9]
	s_mov_b64 s[8:9], 0
	s_cbranch_vccz .LBB23_48
; %bb.32:
	v_cvt_f32_f16_e32 v3, v2
	s_movk_i32 s0, 0x7fff
	v_mov_b32_e32 v4, 0x7fc0
	v_cmp_o_f16_e32 vcc, v2, v2
	v_bfe_u32 v5, v3, 16, 1
	v_add3_u32 v3, v3, v5, s0
	v_lshrrev_b32_e32 v3, 16, v3
	v_cndmask_b32_e32 v3, v4, v3, vcc
	global_store_dword v[0:1], v3, off
	s_mov_b64 s[8:9], -1
	s_mov_b64 s[0:1], 0
	s_branch .LBB23_48
.LBB23_33:
	s_mov_b64 s[2:3], 0
	s_mov_b64 s[0:1], 0
                                        ; implicit-def: $vgpr1
	s_cbranch_execnz .LBB23_182
	s_branch .LBB23_216
.LBB23_34:
	s_mov_b64 s[0:1], 0
	s_mov_b64 s[8:9], 0
	s_cbranch_execnz .LBB23_117
.LBB23_35:
	s_andn2_b64 vcc, exec, s[8:9]
	s_cbranch_vccnz .LBB23_265
	s_branch .LBB23_155
.LBB23_36:
	s_mov_b64 s[8:9], -1
	s_mov_b64 s[2:3], 0
	s_mov_b64 s[0:1], 0
                                        ; implicit-def: $vgpr1
	s_branch .LBB23_163
.LBB23_37:
	s_mov_b64 s[10:11], -1
	s_mov_b64 s[0:1], 0
	s_mov_b64 s[8:9], 0
	s_branch .LBB23_75
.LBB23_38:
	s_mov_b64 s[8:9], -1
	s_mov_b64 s[2:3], 0
	s_mov_b64 s[0:1], 0
                                        ; implicit-def: $vgpr1
	s_branch .LBB23_158
.LBB23_39:
	s_mov_b64 s[10:11], -1
	s_mov_b64 s[0:1], 0
	s_mov_b64 s[8:9], 0
	s_branch .LBB23_58
.LBB23_40:
	s_mov_b64 s[8:9], -1
	s_mov_b64 s[2:3], 0
	s_branch .LBB23_43
.LBB23_41:
	s_mov_b64 s[10:11], -1
	s_mov_b64 s[0:1], 0
	s_mov_b64 s[8:9], 0
	s_branch .LBB23_54
.LBB23_42:
	s_mov_b64 s[2:3], -1
.LBB23_43:
	s_mov_b64 s[0:1], 0
                                        ; implicit-def: $vgpr1
.LBB23_44:
	s_and_b64 vcc, exec, s[8:9]
	s_cbranch_vccz .LBB23_157
; %bb.45:
	v_cmp_eq_u16_e64 s[2:3], s77, 44
	s_and_b64 vcc, exec, s[2:3]
	s_cbranch_vccz .LBB23_156
; %bb.46:
	global_load_ubyte v1, v[2:3], off
	s_movk_i32 s2, 0xff
	v_mov_b32_e32 v5, 0x7e00
	s_mov_b64 s[0:1], -1
	s_waitcnt vmcnt(0)
	v_lshlrev_b32_e32 v4, 23, v1
	v_cvt_f16_f32_e32 v4, v4
	v_cmp_ne_u32_e32 vcc, s2, v1
	s_mov_b64 s[2:3], 0
	v_cndmask_b32_e32 v4, v5, v4, vcc
	v_cmp_ne_u32_e32 vcc, 0, v1
	v_cndmask_b32_e32 v1, 0, v4, vcc
	s_branch .LBB23_157
.LBB23_47:
	s_mov_b64 s[10:11], -1
	s_mov_b64 s[0:1], 0
	s_mov_b64 s[8:9], 0
.LBB23_48:
	s_and_b64 vcc, exec, s[10:11]
	s_cbranch_vccz .LBB23_53
; %bb.49:
	v_mov_b32_e32 v3, 44
	v_cmp_eq_u16_sdwa s[10:11], s75, v3 src0_sel:BYTE_0 src1_sel:DWORD
	s_mov_b64 s[0:1], -1
	s_and_b64 vcc, exec, s[10:11]
	s_cbranch_vccz .LBB23_53
; %bb.50:
	v_cvt_f32_f16_e32 v3, v2
	s_movk_i32 s0, 0xff
	v_mov_b32_e32 v5, 0xff
	v_bfe_u32 v4, v3, 23, 8
	v_cmp_ne_u32_e32 vcc, s0, v4
	s_and_saveexec_b64 s[8:9], vcc
; %bb.51:
	s_mov_b32 s0, 0x3fffff
	v_lshrrev_b32_e32 v5, 23, v3
	v_and_b32_e32 v6, 0x400000, v3
	v_and_or_b32 v3, v3, s0, v4
	v_cmp_ne_u32_e32 vcc, 0, v6
	v_cmp_ne_u32_e64 s[0:1], 0, v3
	s_and_b64 s[0:1], vcc, s[0:1]
	v_cndmask_b32_e64 v3, 0, 1, s[0:1]
	v_add_u32_e32 v5, v5, v3
; %bb.52:
	s_or_b64 exec, exec, s[8:9]
	s_mov_b64 s[8:9], -1
	s_mov_b64 s[0:1], 0
	global_store_byte v[0:1], v5, off
.LBB23_53:
	s_mov_b64 s[10:11], 0
.LBB23_54:
	s_and_b64 vcc, exec, s[10:11]
	s_cbranch_vccz .LBB23_57
; %bb.55:
	v_mov_b32_e32 v3, 29
	v_cmp_eq_u16_sdwa s[10:11], s75, v3 src0_sel:BYTE_0 src1_sel:DWORD
	s_mov_b64 s[0:1], -1
	s_and_b64 vcc, exec, s[10:11]
	s_cbranch_vccz .LBB23_57
; %bb.56:
	v_cvt_f32_f16_e32 v3, v2
	v_mov_b32_e32 v5, 0
	s_mov_b64 s[8:9], -1
	s_mov_b64 s[0:1], 0
	v_cvt_u32_f32_e32 v4, v3
	s_mov_b64 s[10:11], 0
	global_store_dwordx2 v[0:1], v[4:5], off
	s_branch .LBB23_58
.LBB23_57:
	s_mov_b64 s[10:11], 0
.LBB23_58:
	s_and_b64 vcc, exec, s[10:11]
	s_cbranch_vccz .LBB23_74
; %bb.59:
	v_mov_b32_e32 v3, 27
	v_cmp_lt_i16_sdwa s[10:11], s75, v3 src0_sel:BYTE_0 src1_sel:DWORD
	s_mov_b64 s[8:9], -1
	s_and_b64 vcc, exec, s[10:11]
	s_cbranch_vccnz .LBB23_65
; %bb.60:
	v_cmp_gt_i16_sdwa s[10:11], s75, v3 src0_sel:BYTE_0 src1_sel:DWORD
	s_and_b64 vcc, exec, s[10:11]
	s_cbranch_vccz .LBB23_62
; %bb.61:
	v_cvt_f32_f16_e32 v3, v2
	s_mov_b64 s[8:9], 0
	v_cvt_u32_f32_e32 v3, v3
	global_store_dword v[0:1], v3, off
.LBB23_62:
	s_andn2_b64 vcc, exec, s[8:9]
	s_cbranch_vccnz .LBB23_64
; %bb.63:
	v_cvt_u16_f16_e32 v3, v2
	global_store_short v[0:1], v3, off
.LBB23_64:
	s_mov_b64 s[8:9], 0
.LBB23_65:
	s_andn2_b64 vcc, exec, s[8:9]
	s_cbranch_vccnz .LBB23_73
; %bb.66:
	v_cvt_f32_f16_e32 v3, v2
	s_mov_b32 s8, 0x43800000
	v_mov_b32_e32 v5, 0x80
	v_and_b32_e32 v4, 0x7fffffff, v3
	v_cmp_gt_u32_e32 vcc, s8, v4
	s_and_saveexec_b64 s[8:9], vcc
	s_cbranch_execz .LBB23_72
; %bb.67:
	s_mov_b32 s10, 0x3bffffff
	v_cmp_lt_u32_e32 vcc, s10, v4
	s_mov_b64 s[10:11], 0
                                        ; implicit-def: $vgpr4
	s_and_saveexec_b64 s[12:13], vcc
	s_xor_b64 s[12:13], exec, s[12:13]
	s_cbranch_execz .LBB23_309
; %bb.68:
	v_bfe_u32 v4, v3, 20, 1
	s_mov_b32 s14, 0x487ffff
	v_add3_u32 v4, v3, v4, s14
	s_mov_b64 s[10:11], exec
	v_lshrrev_b32_e32 v4, 20, v4
	s_or_saveexec_b64 s[12:13], s[12:13]
                                        ; implicit-def: $sgpr14
	s_xor_b64 exec, exec, s[12:13]
	s_cbranch_execnz .LBB23_310
.LBB23_69:
	s_or_b64 exec, exec, s[12:13]
	v_mov_b32_e32 v5, s14
	s_and_saveexec_b64 s[12:13], s[10:11]
.LBB23_70:
	v_lshrrev_b32_e32 v3, 24, v3
	s_movk_i32 s10, 0x80
	v_and_or_b32 v5, v3, s10, v4
.LBB23_71:
	s_or_b64 exec, exec, s[12:13]
.LBB23_72:
	s_or_b64 exec, exec, s[8:9]
	global_store_byte v[0:1], v5, off
.LBB23_73:
	s_mov_b64 s[8:9], -1
.LBB23_74:
	s_mov_b64 s[10:11], 0
.LBB23_75:
	s_and_b64 vcc, exec, s[10:11]
	s_cbranch_vccz .LBB23_116
; %bb.76:
	v_mov_b32_e32 v3, 22
	v_cmp_gt_i16_sdwa s[12:13], s75, v3 src0_sel:BYTE_0 src1_sel:DWORD
	s_mov_b64 s[10:11], -1
	s_and_b64 vcc, exec, s[12:13]
	s_cbranch_vccz .LBB23_108
; %bb.77:
	v_mov_b32_e32 v3, 24
	v_cmp_lt_i16_sdwa s[10:11], s75, v3 src0_sel:BYTE_0 src1_sel:DWORD
	s_mov_b64 s[8:9], -1
	s_and_b64 vcc, exec, s[10:11]
	s_cbranch_vccnz .LBB23_97
; %bb.78:
	v_cmp_gt_i16_sdwa s[10:11], s75, v3 src0_sel:BYTE_0 src1_sel:DWORD
	s_and_b64 vcc, exec, s[10:11]
	s_cbranch_vccz .LBB23_86
; %bb.79:
	v_cvt_f32_f16_e32 v3, v2
	s_mov_b32 s8, 0x47800000
	v_mov_b32_e32 v5, 0x80
	v_and_b32_e32 v4, 0x7fffffff, v3
	v_cmp_gt_u32_e32 vcc, s8, v4
	s_and_saveexec_b64 s[8:9], vcc
	s_cbranch_execz .LBB23_85
; %bb.80:
	s_mov_b32 s10, 0x37ffffff
	v_cmp_lt_u32_e32 vcc, s10, v4
	s_mov_b64 s[10:11], 0
                                        ; implicit-def: $vgpr4
	s_and_saveexec_b64 s[12:13], vcc
	s_xor_b64 s[12:13], exec, s[12:13]
	s_cbranch_execz .LBB23_313
; %bb.81:
	v_bfe_u32 v4, v3, 21, 1
	s_mov_b32 s14, 0x88fffff
	v_add3_u32 v4, v3, v4, s14
	s_mov_b64 s[10:11], exec
	v_lshrrev_b32_e32 v4, 21, v4
	s_or_saveexec_b64 s[12:13], s[12:13]
                                        ; implicit-def: $sgpr14
	s_xor_b64 exec, exec, s[12:13]
	s_cbranch_execnz .LBB23_314
.LBB23_82:
	s_or_b64 exec, exec, s[12:13]
	v_mov_b32_e32 v5, s14
	s_and_saveexec_b64 s[12:13], s[10:11]
.LBB23_83:
	v_lshrrev_b32_e32 v3, 24, v3
	s_movk_i32 s10, 0x80
	v_and_or_b32 v5, v3, s10, v4
.LBB23_84:
	s_or_b64 exec, exec, s[12:13]
.LBB23_85:
	s_or_b64 exec, exec, s[8:9]
	s_mov_b64 s[8:9], 0
	global_store_byte v[0:1], v5, off
.LBB23_86:
	s_and_b64 vcc, exec, s[8:9]
	s_cbranch_vccz .LBB23_96
; %bb.87:
	v_cvt_f32_f16_e32 v3, v2
	s_mov_b32 s8, 0x43f00000
                                        ; implicit-def: $vgpr4
	v_and_b32_e32 v5, 0x7fffffff, v3
	v_cmp_gt_u32_e32 vcc, s8, v5
	s_and_saveexec_b64 s[8:9], vcc
	s_xor_b64 s[8:9], exec, s[8:9]
	s_cbranch_execz .LBB23_93
; %bb.88:
	s_mov_b32 s10, 0x3c7fffff
	v_cmp_lt_u32_e32 vcc, s10, v5
                                        ; implicit-def: $vgpr4
	s_and_saveexec_b64 s[10:11], vcc
	s_xor_b64 s[10:11], exec, s[10:11]
; %bb.89:
	v_bfe_u32 v4, v3, 20, 1
	s_mov_b32 s12, 0x407ffff
	v_add3_u32 v4, v3, v4, s12
	v_lshrrev_b32_e32 v5, 20, v4
	v_and_b32_e32 v4, 0xff00000, v4
	s_mov_b32 s12, 0x7f00000
	v_mov_b32_e32 v6, 0x7e
	v_cmp_ne_u32_e32 vcc, s12, v4
	v_cndmask_b32_e32 v4, v6, v5, vcc
; %bb.90:
	s_andn2_saveexec_b64 s[10:11], s[10:11]
; %bb.91:
	s_mov_b32 s12, 0x46800000
	v_add_f32_e64 v4, |v3|, s12
; %bb.92:
	s_or_b64 exec, exec, s[10:11]
                                        ; implicit-def: $vgpr5
.LBB23_93:
	s_andn2_saveexec_b64 s[8:9], s[8:9]
; %bb.94:
	s_mov_b32 s10, 0x7f800000
	v_mov_b32_e32 v4, 0x7e
	v_mov_b32_e32 v6, 0x7f
	v_cmp_lt_u32_e32 vcc, s10, v5
	v_cndmask_b32_e32 v4, v4, v6, vcc
; %bb.95:
	s_or_b64 exec, exec, s[8:9]
	v_lshrrev_b32_e32 v3, 24, v3
	s_movk_i32 s8, 0x80
	v_and_or_b32 v3, v3, s8, v4
	global_store_byte v[0:1], v3, off
.LBB23_96:
	s_mov_b64 s[8:9], 0
.LBB23_97:
	s_andn2_b64 vcc, exec, s[8:9]
	s_cbranch_vccnz .LBB23_107
; %bb.98:
	v_cvt_f32_f16_e32 v3, v2
	s_mov_b32 s8, 0x47800000
                                        ; implicit-def: $vgpr4
	v_and_b32_e32 v5, 0x7fffffff, v3
	v_cmp_gt_u32_e32 vcc, s8, v5
	s_and_saveexec_b64 s[8:9], vcc
	s_xor_b64 s[8:9], exec, s[8:9]
	s_cbranch_execz .LBB23_104
; %bb.99:
	s_mov_b32 s10, 0x387fffff
	v_cmp_lt_u32_e32 vcc, s10, v5
                                        ; implicit-def: $vgpr4
	s_and_saveexec_b64 s[10:11], vcc
	s_xor_b64 s[10:11], exec, s[10:11]
; %bb.100:
	v_bfe_u32 v4, v3, 21, 1
	s_mov_b32 s12, 0x80fffff
	v_add3_u32 v4, v3, v4, s12
	v_lshrrev_b32_e32 v4, 21, v4
; %bb.101:
	s_andn2_saveexec_b64 s[10:11], s[10:11]
; %bb.102:
	s_mov_b32 s12, 0x43000000
	v_add_f32_e64 v4, |v3|, s12
; %bb.103:
	s_or_b64 exec, exec, s[10:11]
                                        ; implicit-def: $vgpr5
.LBB23_104:
	s_andn2_saveexec_b64 s[8:9], s[8:9]
; %bb.105:
	s_mov_b32 s10, 0x7f800000
	v_mov_b32_e32 v4, 0x7c
	v_mov_b32_e32 v6, 0x7f
	v_cmp_lt_u32_e32 vcc, s10, v5
	v_cndmask_b32_e32 v4, v4, v6, vcc
; %bb.106:
	s_or_b64 exec, exec, s[8:9]
	v_lshrrev_b32_e32 v3, 24, v3
	s_movk_i32 s8, 0x80
	v_and_or_b32 v3, v3, s8, v4
	global_store_byte v[0:1], v3, off
.LBB23_107:
	s_mov_b64 s[10:11], 0
	s_mov_b64 s[8:9], -1
.LBB23_108:
	s_andn2_b64 vcc, exec, s[10:11]
	s_cbranch_vccnz .LBB23_116
; %bb.109:
	v_mov_b32_e32 v3, 14
	v_cmp_gt_i16_sdwa s[12:13], s75, v3 src0_sel:BYTE_0 src1_sel:DWORD
	s_mov_b64 s[10:11], -1
	s_and_b64 vcc, exec, s[12:13]
	s_cbranch_vccz .LBB23_113
; %bb.110:
	v_mov_b32_e32 v3, 15
	v_cmp_eq_u16_sdwa s[10:11], s75, v3 src0_sel:BYTE_0 src1_sel:DWORD
	s_mov_b64 s[0:1], -1
	s_and_b64 vcc, exec, s[10:11]
	s_cbranch_vccz .LBB23_112
; %bb.111:
	v_cvt_f32_f16_e32 v3, v2
	s_movk_i32 s0, 0x7fff
	v_mov_b32_e32 v4, 0x7fc0
	v_cmp_o_f16_e32 vcc, v2, v2
	v_bfe_u32 v5, v3, 16, 1
	v_add3_u32 v3, v3, v5, s0
	v_lshrrev_b32_e32 v3, 16, v3
	v_cndmask_b32_e32 v3, v4, v3, vcc
	global_store_short v[0:1], v3, off
	s_mov_b64 s[8:9], -1
	s_mov_b64 s[0:1], 0
.LBB23_112:
	s_mov_b64 s[10:11], 0
.LBB23_113:
	s_and_b64 vcc, exec, s[10:11]
	s_cbranch_vccz .LBB23_116
; %bb.114:
	v_mov_b32_e32 v3, 11
	v_cmp_eq_u16_sdwa s[10:11], s75, v3 src0_sel:BYTE_0 src1_sel:DWORD
	s_mov_b64 s[0:1], -1
	s_and_b64 vcc, exec, s[10:11]
	s_cbranch_vccz .LBB23_116
; %bb.115:
	v_and_b32_e32 v3, 0x7fff, v2
	v_cmp_ne_u16_e32 vcc, 0, v3
	v_cndmask_b32_e64 v3, 0, 1, vcc
	s_mov_b64 s[8:9], -1
	s_mov_b64 s[0:1], 0
	global_store_byte v[0:1], v3, off
.LBB23_116:
	s_branch .LBB23_35
.LBB23_117:
	v_mov_b32_e32 v3, 5
	v_cmp_lt_i16_sdwa s[10:11], s75, v3 src0_sel:BYTE_0 src1_sel:DWORD
	s_mov_b64 s[8:9], -1
	s_and_b64 vcc, exec, s[10:11]
	s_cbranch_vccnz .LBB23_138
; %bb.118:
	v_mov_b32_e32 v3, 8
	v_cmp_lt_i16_sdwa s[10:11], s75, v3 src0_sel:BYTE_0 src1_sel:DWORD
	s_and_b64 vcc, exec, s[10:11]
	s_cbranch_vccnz .LBB23_128
; %bb.119:
	v_mov_b32_e32 v3, 9
	v_cmp_lt_i16_sdwa s[10:11], s75, v3 src0_sel:BYTE_0 src1_sel:DWORD
	s_and_b64 vcc, exec, s[10:11]
	s_cbranch_vccnz .LBB23_125
; %bb.120:
	v_cmp_gt_i16_sdwa s[10:11], s75, v3 src0_sel:BYTE_0 src1_sel:DWORD
	s_and_b64 vcc, exec, s[10:11]
	s_cbranch_vccz .LBB23_122
; %bb.121:
	v_cvt_f32_f16_e32 v3, v2
	v_mov_b32_e32 v6, 0
	v_mov_b32_e32 v7, v6
	s_mov_b64 s[8:9], 0
	v_cvt_f64_f32_e32 v[4:5], v3
	global_store_dwordx4 v[0:1], v[4:7], off
.LBB23_122:
	s_andn2_b64 vcc, exec, s[8:9]
	s_cbranch_vccnz .LBB23_124
; %bb.123:
	v_cvt_f32_f16_e32 v4, v2
	v_mov_b32_e32 v5, 0
	global_store_dwordx2 v[0:1], v[4:5], off
.LBB23_124:
	s_mov_b64 s[8:9], 0
.LBB23_125:
	s_andn2_b64 vcc, exec, s[8:9]
	s_cbranch_vccnz .LBB23_127
; %bb.126:
	v_and_b32_e32 v3, 0xffff, v2
	global_store_dword v[0:1], v3, off
.LBB23_127:
	s_mov_b64 s[8:9], 0
.LBB23_128:
	s_andn2_b64 vcc, exec, s[8:9]
	s_cbranch_vccnz .LBB23_137
; %bb.129:
	v_mov_b32_e32 v3, 6
	v_cmp_lt_i16_sdwa s[10:11], s75, v3 src0_sel:BYTE_0 src1_sel:DWORD
	s_mov_b64 s[8:9], -1
	s_and_b64 vcc, exec, s[10:11]
	s_cbranch_vccnz .LBB23_135
; %bb.130:
	v_cmp_gt_i16_sdwa s[10:11], s75, v3 src0_sel:BYTE_0 src1_sel:DWORD
	s_and_b64 vcc, exec, s[10:11]
	s_cbranch_vccz .LBB23_132
; %bb.131:
	v_cvt_f32_f16_e32 v3, v2
	s_mov_b64 s[8:9], 0
	v_cvt_f64_f32_e32 v[4:5], v3
	global_store_dwordx2 v[0:1], v[4:5], off
.LBB23_132:
	s_andn2_b64 vcc, exec, s[8:9]
	s_cbranch_vccnz .LBB23_134
; %bb.133:
	v_cvt_f32_f16_e32 v3, v2
	global_store_dword v[0:1], v3, off
.LBB23_134:
	s_mov_b64 s[8:9], 0
.LBB23_135:
	s_andn2_b64 vcc, exec, s[8:9]
	s_cbranch_vccnz .LBB23_137
; %bb.136:
	global_store_short v[0:1], v2, off
.LBB23_137:
	s_mov_b64 s[8:9], 0
.LBB23_138:
	s_andn2_b64 vcc, exec, s[8:9]
	s_cbranch_vccnz .LBB23_154
; %bb.139:
	v_mov_b32_e32 v3, 2
	v_cmp_lt_i16_sdwa s[10:11], s75, v3 src0_sel:BYTE_0 src1_sel:DWORD
	s_mov_b64 s[8:9], -1
	s_and_b64 vcc, exec, s[10:11]
	s_cbranch_vccnz .LBB23_149
; %bb.140:
	v_mov_b32_e32 v3, 3
	v_cmp_lt_i16_sdwa s[10:11], s75, v3 src0_sel:BYTE_0 src1_sel:DWORD
	s_and_b64 vcc, exec, s[10:11]
	s_cbranch_vccnz .LBB23_146
; %bb.141:
	v_cmp_gt_i16_sdwa s[10:11], s75, v3 src0_sel:BYTE_0 src1_sel:DWORD
	s_and_b64 vcc, exec, s[10:11]
	s_cbranch_vccz .LBB23_143
; %bb.142:
	v_cvt_f32_f16_e32 v3, v2
	s_mov_b64 s[8:9], 0
	v_cvt_i32_f32_e32 v4, v3
	v_ashrrev_i32_e32 v5, 31, v4
	global_store_dwordx2 v[0:1], v[4:5], off
.LBB23_143:
	s_andn2_b64 vcc, exec, s[8:9]
	s_cbranch_vccnz .LBB23_145
; %bb.144:
	v_cvt_f32_f16_e32 v3, v2
	v_cvt_i32_f32_e32 v3, v3
	global_store_dword v[0:1], v3, off
.LBB23_145:
	s_mov_b64 s[8:9], 0
.LBB23_146:
	s_andn2_b64 vcc, exec, s[8:9]
	s_cbranch_vccnz .LBB23_148
; %bb.147:
	v_cvt_i16_f16_e32 v3, v2
	global_store_short v[0:1], v3, off
.LBB23_148:
	s_mov_b64 s[8:9], 0
.LBB23_149:
	s_andn2_b64 vcc, exec, s[8:9]
	s_cbranch_vccnz .LBB23_154
; %bb.150:
	v_mov_b32_e32 v3, 0
	v_cmp_gt_i16_sdwa s[10:11], s75, v3 src0_sel:BYTE_0 src1_sel:DWORD
	s_mov_b64 s[8:9], -1
	s_and_b64 vcc, exec, s[10:11]
	s_cbranch_vccz .LBB23_152
; %bb.151:
	v_cvt_i16_f16_e32 v3, v2
	global_store_byte v[0:1], v3, off
	s_mov_b64 s[8:9], 0
.LBB23_152:
	s_andn2_b64 vcc, exec, s[8:9]
	s_cbranch_vccnz .LBB23_154
; %bb.153:
	v_cvt_f32_f16_e32 v2, v2
	v_cvt_i32_f32_e32 v2, v2
	global_store_byte v[0:1], v2, off
.LBB23_154:
.LBB23_155:
	v_add_u32_e32 v8, 0x80, v8
	s_mov_b64 s[8:9], -1
	s_branch .LBB23_266
.LBB23_156:
	s_mov_b64 s[2:3], -1
                                        ; implicit-def: $vgpr1
.LBB23_157:
	s_mov_b64 s[8:9], 0
.LBB23_158:
	s_and_b64 vcc, exec, s[8:9]
	s_cbranch_vccz .LBB23_162
; %bb.159:
	v_cmp_eq_u16_e64 s[2:3], s77, 29
	s_and_b64 vcc, exec, s[2:3]
	s_cbranch_vccz .LBB23_161
; %bb.160:
	global_load_dwordx2 v[4:5], v[2:3], off
	s_mov_b64 s[0:1], -1
	s_mov_b64 s[2:3], 0
	s_mov_b64 s[8:9], 0
	s_waitcnt vmcnt(0)
	v_ffbh_u32_e32 v1, v5
	v_min_u32_e32 v1, 32, v1
	v_lshlrev_b64 v[4:5], v1, v[4:5]
	v_min_u32_e32 v4, 1, v4
	v_or_b32_e32 v4, v5, v4
	v_cvt_f32_u32_e32 v4, v4
	v_sub_u32_e32 v1, 32, v1
	v_ldexp_f32 v1, v4, v1
	v_cvt_f16_f32_e32 v1, v1
	s_branch .LBB23_163
.LBB23_161:
	s_mov_b64 s[2:3], -1
                                        ; implicit-def: $vgpr1
.LBB23_162:
	s_mov_b64 s[8:9], 0
.LBB23_163:
	s_and_b64 vcc, exec, s[8:9]
	s_cbranch_vccz .LBB23_181
; %bb.164:
	v_cmp_lt_i16_e64 s[0:1], s77, 27
	s_and_b64 vcc, exec, s[0:1]
	s_cbranch_vccnz .LBB23_167
; %bb.165:
	v_cmp_gt_i16_e64 s[0:1], s77, 27
	s_and_b64 vcc, exec, s[0:1]
	s_cbranch_vccz .LBB23_168
; %bb.166:
	global_load_dword v1, v[2:3], off
	s_mov_b64 s[0:1], 0
	s_waitcnt vmcnt(0)
	v_cvt_f32_u32_e32 v1, v1
	v_cvt_f16_f32_e32 v1, v1
	s_branch .LBB23_169
.LBB23_167:
	s_mov_b64 s[0:1], -1
                                        ; implicit-def: $vgpr1
	s_branch .LBB23_172
.LBB23_168:
	s_mov_b64 s[0:1], -1
                                        ; implicit-def: $vgpr1
.LBB23_169:
	s_andn2_b64 vcc, exec, s[0:1]
	s_cbranch_vccnz .LBB23_171
; %bb.170:
	global_load_ushort v1, v[2:3], off
	s_waitcnt vmcnt(0)
	v_cvt_f16_u16_e32 v1, v1
.LBB23_171:
	s_mov_b64 s[0:1], 0
.LBB23_172:
	s_andn2_b64 vcc, exec, s[0:1]
	s_cbranch_vccnz .LBB23_180
; %bb.173:
	global_load_ubyte v4, v[2:3], off
	s_movk_i32 s0, 0x7f
                                        ; implicit-def: $sgpr12
	s_waitcnt vmcnt(0)
	v_cmp_lt_i16_e32 vcc, s0, v4
	s_mov_b64 s[0:1], 0
	s_and_saveexec_b64 s[8:9], vcc
	s_xor_b64 s[8:9], exec, s[8:9]
	s_cbranch_execz .LBB23_193
; %bb.174:
	s_movk_i32 s0, 0x80
	v_cmp_eq_u16_e32 vcc, s0, v4
	s_mov_b64 s[0:1], -1
                                        ; implicit-def: $sgpr12
	s_and_saveexec_b64 s[10:11], vcc
; %bb.175:
	s_movk_i32 s12, 0x7e00
	s_xor_b64 s[0:1], exec, -1
; %bb.176:
	s_or_b64 exec, exec, s[10:11]
	s_and_b64 s[0:1], s[0:1], exec
	s_or_saveexec_b64 s[8:9], s[8:9]
	v_mov_b32_e32 v1, s12
	s_xor_b64 exec, exec, s[8:9]
	s_cbranch_execnz .LBB23_194
.LBB23_177:
	s_or_b64 exec, exec, s[8:9]
	s_and_saveexec_b64 s[8:9], s[0:1]
	s_cbranch_execz .LBB23_179
.LBB23_178:
	v_lshlrev_b32_e32 v1, 24, v4
	v_and_b32_e32 v4, 0xffff, v4
	v_and_b32_e32 v5, 7, v4
	v_ffbh_u32_e32 v7, v5
	v_min_u32_e32 v7, 32, v7
	v_subrev_u32_e32 v9, 28, v7
	v_bfe_u32 v6, v4, 3, 4
	v_lshlrev_b32_e32 v4, v9, v4
	v_sub_u32_e32 v7, 29, v7
	v_and_b32_e32 v4, 7, v4
	v_cmp_eq_u32_e32 vcc, 0, v6
	v_cndmask_b32_e32 v6, v6, v7, vcc
	v_cndmask_b32_e32 v4, v5, v4, vcc
	v_mov_b32_e32 v5, 0x3b800000
	v_lshlrev_b32_e32 v4, 20, v4
	v_and_b32_e32 v1, 0x80000000, v1
	v_lshl_add_u32 v5, v6, 23, v5
	v_or3_b32 v1, v1, v5, v4
	v_cvt_f16_f32_e32 v1, v1
.LBB23_179:
	s_or_b64 exec, exec, s[8:9]
.LBB23_180:
	s_mov_b64 s[0:1], -1
.LBB23_181:
	s_branch .LBB23_216
.LBB23_182:
	v_cmp_gt_i16_e64 s[8:9], s77, 22
	s_and_b64 vcc, exec, s[8:9]
	s_cbranch_vccz .LBB23_192
; %bb.183:
	v_cmp_lt_i16_e64 s[0:1], s77, 24
	s_and_b64 vcc, exec, s[0:1]
	s_cbranch_vccnz .LBB23_195
; %bb.184:
	v_cmp_gt_i16_e64 s[0:1], s77, 24
	s_and_b64 vcc, exec, s[0:1]
	s_cbranch_vccz .LBB23_196
; %bb.185:
	global_load_ubyte v4, v[2:3], off
	s_movk_i32 s0, 0x7f
                                        ; implicit-def: $sgpr12
	s_waitcnt vmcnt(0)
	v_cmp_lt_i16_e32 vcc, s0, v4
	s_mov_b64 s[0:1], 0
	s_and_saveexec_b64 s[8:9], vcc
	s_xor_b64 s[8:9], exec, s[8:9]
	s_cbranch_execz .LBB23_208
; %bb.186:
	s_movk_i32 s0, 0x80
	v_cmp_eq_u16_e32 vcc, s0, v4
	s_mov_b64 s[0:1], -1
                                        ; implicit-def: $sgpr12
	s_and_saveexec_b64 s[10:11], vcc
; %bb.187:
	s_movk_i32 s12, 0x7e00
	s_xor_b64 s[0:1], exec, -1
; %bb.188:
	s_or_b64 exec, exec, s[10:11]
	s_and_b64 s[0:1], s[0:1], exec
	s_or_saveexec_b64 s[8:9], s[8:9]
	v_mov_b32_e32 v1, s12
	s_xor_b64 exec, exec, s[8:9]
	s_cbranch_execnz .LBB23_209
.LBB23_189:
	s_or_b64 exec, exec, s[8:9]
	s_and_saveexec_b64 s[8:9], s[0:1]
	s_cbranch_execz .LBB23_191
.LBB23_190:
	v_lshlrev_b32_e32 v1, 24, v4
	v_and_b32_e32 v4, 0xffff, v4
	v_and_b32_e32 v5, 3, v4
	v_ffbh_u32_e32 v7, v5
	v_min_u32_e32 v7, 32, v7
	v_subrev_u32_e32 v9, 29, v7
	v_bfe_u32 v6, v4, 2, 5
	v_lshlrev_b32_e32 v4, v9, v4
	v_sub_u32_e32 v7, 30, v7
	v_and_b32_e32 v4, 3, v4
	v_cmp_eq_u32_e32 vcc, 0, v6
	v_cndmask_b32_e32 v6, v6, v7, vcc
	v_cndmask_b32_e32 v4, v5, v4, vcc
	v_mov_b32_e32 v5, 0x37800000
	v_lshlrev_b32_e32 v4, 21, v4
	v_and_b32_e32 v1, 0x80000000, v1
	v_lshl_add_u32 v5, v6, 23, v5
	v_or3_b32 v1, v1, v5, v4
	v_cvt_f16_f32_e32 v1, v1
.LBB23_191:
	s_or_b64 exec, exec, s[8:9]
	s_mov_b64 s[0:1], 0
	s_branch .LBB23_197
.LBB23_192:
	s_mov_b64 s[8:9], -1
                                        ; implicit-def: $vgpr1
	s_branch .LBB23_203
.LBB23_193:
	s_or_saveexec_b64 s[8:9], s[8:9]
	v_mov_b32_e32 v1, s12
	s_xor_b64 exec, exec, s[8:9]
	s_cbranch_execz .LBB23_177
.LBB23_194:
	v_cmp_ne_u16_e32 vcc, 0, v4
	s_andn2_b64 s[0:1], s[0:1], exec
	s_and_b64 s[10:11], vcc, exec
	s_or_b64 s[0:1], s[0:1], s[10:11]
	v_mov_b32_e32 v1, v4
	s_or_b64 exec, exec, s[8:9]
	s_and_saveexec_b64 s[8:9], s[0:1]
	s_cbranch_execnz .LBB23_178
	s_branch .LBB23_179
.LBB23_195:
	s_mov_b64 s[0:1], -1
                                        ; implicit-def: $vgpr1
	s_branch .LBB23_200
.LBB23_196:
	s_mov_b64 s[0:1], -1
                                        ; implicit-def: $vgpr1
.LBB23_197:
	s_and_b64 vcc, exec, s[0:1]
	s_cbranch_vccz .LBB23_199
; %bb.198:
	global_load_ubyte v1, v[2:3], off
	s_mov_b32 s0, 0x7f800000
	s_waitcnt vmcnt(0)
	v_lshlrev_b32_e32 v1, 24, v1
	v_and_b32_e32 v4, 0x7f000000, v1
	v_ffbh_u32_e32 v5, v4
	v_min_u32_e32 v5, 32, v5
	v_sub_u32_e64 v5, v5, 4 clamp
	v_lshlrev_b32_e32 v7, v5, v4
	v_lshlrev_b32_e32 v5, 23, v5
	v_lshrrev_b32_e32 v7, 4, v7
	v_add_u32_e32 v6, 0x1000000, v4
	v_sub_u32_e32 v5, v7, v5
	v_ashrrev_i32_e32 v6, 8, v6
	v_add_u32_e32 v5, 0x3c000000, v5
	v_and_or_b32 v5, v6, s0, v5
	v_cmp_ne_u32_e32 vcc, 0, v4
	v_cndmask_b32_e32 v4, 0, v5, vcc
	s_brev_b32 s0, 1
	v_and_or_b32 v1, v1, s0, v4
	v_cvt_f16_f32_e32 v1, v1
.LBB23_199:
	s_mov_b64 s[0:1], 0
.LBB23_200:
	s_andn2_b64 vcc, exec, s[0:1]
	s_cbranch_vccnz .LBB23_202
; %bb.201:
	global_load_ubyte v1, v[2:3], off
	s_movk_i32 s0, 0x7f00
	s_brev_b32 s1, 16
	s_waitcnt vmcnt(0)
	v_lshlrev_b16_e32 v4, 8, v1
	v_lshlrev_b32_e32 v1, 25, v1
	v_lshrrev_b32_e32 v5, 4, v1
	v_and_or_b32 v6, v4, s0, 0.5
	v_or_b32_e32 v5, 0x70000000, v5
	v_add_f32_e32 v6, -0.5, v6
	v_mul_f32_e32 v5, 0x7800000, v5
	v_cmp_gt_u32_e32 vcc, s1, v1
	v_bfe_i32 v4, v4, 0, 16
	v_cndmask_b32_e32 v1, v5, v6, vcc
	s_brev_b32 s0, 1
	v_and_or_b32 v1, v4, s0, v1
	v_cvt_f16_f32_e32 v1, v1
.LBB23_202:
	s_mov_b64 s[8:9], 0
	s_mov_b64 s[0:1], -1
.LBB23_203:
	s_andn2_b64 vcc, exec, s[8:9]
	s_cbranch_vccnz .LBB23_216
; %bb.204:
	v_cmp_gt_i16_e64 s[8:9], s77, 14
	s_and_b64 vcc, exec, s[8:9]
	s_cbranch_vccz .LBB23_207
; %bb.205:
	v_cmp_eq_u16_e64 s[2:3], s77, 15
	s_and_b64 vcc, exec, s[2:3]
	s_cbranch_vccz .LBB23_210
; %bb.206:
	global_load_ushort v1, v[2:3], off
	s_mov_b64 s[0:1], -1
	s_mov_b64 s[2:3], 0
	s_waitcnt vmcnt(0)
	v_lshlrev_b32_e32 v1, 16, v1
	v_cvt_f16_f32_e32 v1, v1
	s_branch .LBB23_211
.LBB23_207:
	s_mov_b64 s[8:9], -1
                                        ; implicit-def: $vgpr1
	s_branch .LBB23_212
.LBB23_208:
	s_or_saveexec_b64 s[8:9], s[8:9]
	v_mov_b32_e32 v1, s12
	s_xor_b64 exec, exec, s[8:9]
	s_cbranch_execz .LBB23_189
.LBB23_209:
	v_cmp_ne_u16_e32 vcc, 0, v4
	s_andn2_b64 s[0:1], s[0:1], exec
	s_and_b64 s[10:11], vcc, exec
	s_or_b64 s[0:1], s[0:1], s[10:11]
	v_mov_b32_e32 v1, v4
	s_or_b64 exec, exec, s[8:9]
	s_and_saveexec_b64 s[8:9], s[0:1]
	s_cbranch_execnz .LBB23_190
	s_branch .LBB23_191
.LBB23_210:
	s_mov_b64 s[2:3], -1
                                        ; implicit-def: $vgpr1
.LBB23_211:
	s_mov_b64 s[8:9], 0
.LBB23_212:
	s_and_b64 vcc, exec, s[8:9]
	s_cbranch_vccz .LBB23_216
; %bb.213:
	v_cmp_eq_u16_e64 s[2:3], s77, 11
	s_and_b64 vcc, exec, s[2:3]
	s_cbranch_vccz .LBB23_215
; %bb.214:
	global_load_ubyte v1, v[2:3], off
	v_mov_b32_e32 v4, 0x3c00
	s_mov_b64 s[0:1], -1
	s_mov_b64 s[2:3], 0
	s_waitcnt vmcnt(0)
	v_cmp_ne_u16_e32 vcc, 0, v1
	v_cndmask_b32_e32 v1, 0, v4, vcc
	s_branch .LBB23_216
.LBB23_215:
	s_mov_b64 s[2:3], -1
                                        ; implicit-def: $vgpr1
.LBB23_216:
	s_branch .LBB23_25
.LBB23_217:
	v_cmp_lt_i16_e64 s[0:1], s77, 5
	s_and_b64 vcc, exec, s[0:1]
	s_cbranch_vccnz .LBB23_222
; %bb.218:
	v_cmp_lt_i16_e64 s[0:1], s77, 8
	s_and_b64 vcc, exec, s[0:1]
	s_cbranch_vccnz .LBB23_223
; %bb.219:
	;; [unrolled: 4-line block ×3, first 2 shown]
	v_cmp_gt_i16_e64 s[0:1], s77, 9
	s_and_b64 vcc, exec, s[0:1]
	s_cbranch_vccz .LBB23_225
; %bb.221:
	global_load_dwordx2 v[4:5], v[2:3], off
	s_mov_b64 s[0:1], 0
	s_waitcnt vmcnt(0)
	v_cvt_f32_f64_e32 v1, v[4:5]
	v_cvt_f16_f32_e32 v1, v1
	s_branch .LBB23_226
.LBB23_222:
                                        ; implicit-def: $vgpr1
	s_branch .LBB23_244
.LBB23_223:
	s_mov_b64 s[0:1], -1
                                        ; implicit-def: $vgpr1
	s_branch .LBB23_232
.LBB23_224:
	s_mov_b64 s[0:1], -1
                                        ; implicit-def: $vgpr1
	s_branch .LBB23_229
.LBB23_225:
	s_mov_b64 s[0:1], -1
                                        ; implicit-def: $vgpr1
.LBB23_226:
	s_andn2_b64 vcc, exec, s[0:1]
	s_cbranch_vccnz .LBB23_228
; %bb.227:
	global_load_dword v1, v[2:3], off
	s_waitcnt vmcnt(0)
	v_cvt_f16_f32_e32 v1, v1
.LBB23_228:
	s_mov_b64 s[0:1], 0
.LBB23_229:
	s_andn2_b64 vcc, exec, s[0:1]
	s_cbranch_vccnz .LBB23_231
; %bb.230:
	global_load_dword v1, v[2:3], off
.LBB23_231:
	s_mov_b64 s[0:1], 0
.LBB23_232:
	s_andn2_b64 vcc, exec, s[0:1]
	s_cbranch_vccnz .LBB23_243
; %bb.233:
	v_cmp_lt_i16_e64 s[0:1], s77, 6
	s_and_b64 vcc, exec, s[0:1]
	s_cbranch_vccnz .LBB23_236
; %bb.234:
	v_cmp_gt_i16_e64 s[0:1], s77, 6
	s_and_b64 vcc, exec, s[0:1]
	s_cbranch_vccz .LBB23_237
; %bb.235:
	global_load_dwordx2 v[4:5], v[2:3], off
	s_mov_b64 s[0:1], 0
	s_waitcnt vmcnt(0)
	v_cvt_f32_f64_e32 v1, v[4:5]
	v_cvt_f16_f32_e32 v1, v1
	s_branch .LBB23_238
.LBB23_236:
	s_mov_b64 s[0:1], -1
                                        ; implicit-def: $vgpr1
	s_branch .LBB23_241
.LBB23_237:
	s_mov_b64 s[0:1], -1
                                        ; implicit-def: $vgpr1
.LBB23_238:
	s_andn2_b64 vcc, exec, s[0:1]
	s_cbranch_vccnz .LBB23_240
; %bb.239:
	global_load_dword v1, v[2:3], off
	s_waitcnt vmcnt(0)
	v_cvt_f16_f32_e32 v1, v1
.LBB23_240:
	s_mov_b64 s[0:1], 0
.LBB23_241:
	s_andn2_b64 vcc, exec, s[0:1]
	s_cbranch_vccnz .LBB23_243
; %bb.242:
	global_load_ushort v1, v[2:3], off
.LBB23_243:
	s_cbranch_execnz .LBB23_263
.LBB23_244:
	v_cmp_lt_i16_e64 s[0:1], s77, 2
	s_and_b64 vcc, exec, s[0:1]
	s_cbranch_vccnz .LBB23_248
; %bb.245:
	v_cmp_lt_i16_e64 s[0:1], s77, 3
	s_and_b64 vcc, exec, s[0:1]
	s_cbranch_vccnz .LBB23_249
; %bb.246:
	v_cmp_gt_i16_e64 s[0:1], s77, 3
	s_and_b64 vcc, exec, s[0:1]
	s_cbranch_vccz .LBB23_250
; %bb.247:
	global_load_dwordx2 v[4:5], v[2:3], off
	s_mov_b64 s[0:1], 0
	s_waitcnt vmcnt(0)
	v_xor_b32_e32 v6, v4, v5
	v_ffbh_i32_e32 v1, v5
	v_ashrrev_i32_e32 v6, 31, v6
	v_add_u32_e32 v1, -1, v1
	v_add_u32_e32 v6, 32, v6
	v_min_u32_e32 v1, v1, v6
	v_lshlrev_b64 v[4:5], v1, v[4:5]
	v_min_u32_e32 v4, 1, v4
	v_or_b32_e32 v4, v5, v4
	v_cvt_f32_i32_e32 v4, v4
	v_sub_u32_e32 v1, 32, v1
	v_ldexp_f32 v1, v4, v1
	v_cvt_f16_f32_e32 v1, v1
	s_branch .LBB23_251
.LBB23_248:
	s_mov_b64 s[0:1], -1
                                        ; implicit-def: $vgpr1
	s_branch .LBB23_257
.LBB23_249:
	s_mov_b64 s[0:1], -1
                                        ; implicit-def: $vgpr1
	s_branch .LBB23_254
.LBB23_250:
	s_mov_b64 s[0:1], -1
                                        ; implicit-def: $vgpr1
.LBB23_251:
	s_andn2_b64 vcc, exec, s[0:1]
	s_cbranch_vccnz .LBB23_253
; %bb.252:
	global_load_dword v1, v[2:3], off
	s_waitcnt vmcnt(0)
	v_cvt_f32_i32_e32 v1, v1
	v_cvt_f16_f32_e32 v1, v1
.LBB23_253:
	s_mov_b64 s[0:1], 0
.LBB23_254:
	s_andn2_b64 vcc, exec, s[0:1]
	s_cbranch_vccnz .LBB23_256
; %bb.255:
	global_load_ushort v1, v[2:3], off
	s_waitcnt vmcnt(0)
	v_cvt_f16_i16_e32 v1, v1
.LBB23_256:
	s_mov_b64 s[0:1], 0
.LBB23_257:
	s_andn2_b64 vcc, exec, s[0:1]
	s_cbranch_vccnz .LBB23_263
; %bb.258:
	v_cmp_gt_i16_e64 s[0:1], s77, 0
	s_and_b64 vcc, exec, s[0:1]
	s_cbranch_vccz .LBB23_260
; %bb.259:
	global_load_sbyte v1, v[2:3], off
	s_mov_b64 s[0:1], 0
	s_waitcnt vmcnt(0)
	v_cvt_f16_i16_e32 v1, v1
	s_branch .LBB23_261
.LBB23_260:
	s_mov_b64 s[0:1], -1
                                        ; implicit-def: $vgpr1
.LBB23_261:
	s_andn2_b64 vcc, exec, s[0:1]
	s_cbranch_vccnz .LBB23_263
; %bb.262:
	global_load_ubyte v1, v[2:3], off
	s_waitcnt vmcnt(0)
	v_cvt_f16_u16_e32 v1, v1
.LBB23_263:
	s_branch .LBB23_26
.LBB23_264:
	s_mov_b64 s[0:1], 0
.LBB23_265:
	s_mov_b64 s[8:9], 0
                                        ; implicit-def: $vgpr8
.LBB23_266:
	s_and_b64 s[52:53], s[0:1], exec
	s_and_b64 s[54:55], s[2:3], exec
	s_orn2_b64 s[2:3], s[8:9], exec
.LBB23_267:
	s_or_b64 exec, exec, s[56:57]
	s_mov_b64 s[10:11], 0
	s_mov_b64 s[0:1], 0
                                        ; implicit-def: $vgpr2_vgpr3
                                        ; implicit-def: $vgpr0
                                        ; implicit-def: $vgpr5
	s_and_saveexec_b64 s[56:57], s[2:3]
	s_cbranch_execz .LBB23_275
; %bb.268:
	v_cmp_gt_i32_e32 vcc, s72, v8
	s_mov_b64 s[0:1], -1
	s_mov_b64 s[58:59], s[54:55]
	s_mov_b64 s[60:61], s[52:53]
	s_and_saveexec_b64 s[62:63], vcc
	s_cbranch_execz .LBB23_544
; %bb.269:
	s_andn2_b64 vcc, exec, s[40:41]
	s_cbranch_vccnz .LBB23_278
; %bb.270:
	s_mov_b32 s58, 0
	s_andn2_b64 vcc, exec, s[50:51]
	v_mov_b32_e32 v2, 0
	v_mov_b32_e32 v0, 0
	s_cbranch_vccnz .LBB23_284
; %bb.271:
	s_add_i32 s66, s73, 1
	s_cmp_eq_u32 s74, 2
	s_cbranch_scc1 .LBB23_279
; %bb.272:
	s_and_b32 s58, s66, 28
	s_mov_b32 s59, 0
	v_mov_b32_e32 v0, 0
	s_mov_b64 s[60:61], s[34:35]
	s_mov_b64 s[64:65], s[48:49]
	v_mov_b32_e32 v3, v8
	v_mov_b32_e32 v2, 0
.LBB23_273:                             ; =>This Inner Loop Header: Depth=1
	s_load_dwordx8 s[16:23], s[60:61], 0x4
	s_load_dwordx4 s[0:3], s[60:61], 0x24
	s_load_dwordx8 s[8:15], s[64:65], 0x0
	s_add_u32 s60, s60, 48
	s_addc_u32 s61, s61, 0
	s_waitcnt vmcnt(0) lgkmcnt(0)
	v_mul_hi_u32 v1, s17, v3
	v_add_u32_e32 v1, v3, v1
	v_lshrrev_b32_e32 v1, s18, v1
	v_mul_lo_u32 v4, v1, s16
	v_mul_hi_u32 v5, s20, v1
	v_sub_u32_e32 v3, v3, v4
	v_add_u32_e32 v4, v1, v5
	v_lshrrev_b32_e32 v4, s21, v4
	v_mul_lo_u32 v6, v4, s19
	v_mul_hi_u32 v7, s23, v4
	v_sub_u32_e32 v1, v1, v6
	v_add_u32_e32 v6, v4, v7
	v_mul_lo_u32 v5, v3, s9
	v_mul_lo_u32 v3, v3, s8
	;; [unrolled: 1-line block ×4, first 2 shown]
	v_lshrrev_b32_e32 v6, s0, v6
	v_add3_u32 v0, v3, v0, v1
	v_mul_hi_u32 v3, s2, v6
	v_add_u32_e32 v3, v6, v3
	v_lshrrev_b32_e32 v3, s3, v3
	s_add_i32 s59, s59, 4
	v_add3_u32 v1, v5, v2, v7
	v_mul_lo_u32 v2, v6, s22
	v_mul_lo_u32 v5, v3, s1
	s_add_u32 s64, s64, 32
	v_sub_u32_e32 v2, v4, v2
	v_sub_u32_e32 v5, v6, v5
	s_addc_u32 s65, s65, 0
	v_mul_lo_u32 v4, v2, s12
	v_mul_lo_u32 v2, v2, s13
	;; [unrolled: 1-line block ×4, first 2 shown]
	s_cmp_eq_u32 s58, s59
	v_add3_u32 v2, v2, v1, v5
	v_add3_u32 v0, v4, v0, v6
	s_cbranch_scc0 .LBB23_273
; %bb.274:
	v_mov_b32_e32 v1, v2
	s_branch .LBB23_280
.LBB23_275:
	s_or_b64 exec, exec, s[56:57]
	s_mov_b64 s[2:3], 0
	s_and_saveexec_b64 s[8:9], s[54:55]
	s_cbranch_execnz .LBB23_922
.LBB23_276:
	s_or_b64 exec, exec, s[8:9]
	s_and_saveexec_b64 s[8:9], s[60:61]
	s_xor_b64 s[8:9], exec, s[8:9]
	s_cbranch_execz .LBB23_923
.LBB23_277:
	global_load_ubyte v1, v[2:3], off
	v_mov_b32_e32 v4, 0x3c00
	s_or_b64 s[0:1], s[0:1], exec
	s_waitcnt vmcnt(0)
	v_cmp_ne_u16_e32 vcc, 0, v1
	v_cndmask_b32_e32 v5, 0, v4, vcc
	s_or_b64 exec, exec, s[8:9]
	s_and_saveexec_b64 s[8:9], s[10:11]
	s_cbranch_execz .LBB23_969
	s_branch .LBB23_924
.LBB23_278:
                                        ; implicit-def: $vgpr2
                                        ; implicit-def: $vgpr0
	s_andn2_b64 vcc, exec, s[0:1]
	s_cbranch_vccz .LBB23_285
	s_branch .LBB23_287
.LBB23_279:
	s_mov_b32 s59, s58
	s_waitcnt vmcnt(0)
	v_pk_mov_b32 v[0:1], s[58:59], s[58:59] op_sel:[0,1]
                                        ; implicit-def: $vgpr2
	v_mov_b32_e32 v3, v8
.LBB23_280:
	s_and_b32 s8, s66, 3
	s_cmp_eq_u32 s8, 0
	s_cbranch_scc1 .LBB23_284
; %bb.281:
	s_lshl_b32 s0, s58, 3
	s_add_u32 s0, s0, s34
	s_addc_u32 s1, s35, 0
	s_add_u32 s0, s0, 0xc4
	s_addc_u32 s1, s1, 0
	s_mul_i32 s2, s58, 12
	s_add_u32 s2, s34, s2
	s_addc_u32 s3, s35, 0
.LBB23_282:                             ; =>This Inner Loop Header: Depth=1
	s_load_dwordx2 s[10:11], s[2:3], 0x4
	s_load_dword s9, s[2:3], 0xc
	s_load_dwordx2 s[12:13], s[0:1], 0x0
	v_mov_b32_e32 v2, v1
	s_add_u32 s2, s2, 12
	s_waitcnt lgkmcnt(0)
	v_mul_hi_u32 v1, s11, v3
	v_add_u32_e32 v1, v3, v1
	v_lshrrev_b32_e32 v1, s9, v1
	s_addc_u32 s3, s3, 0
	v_mul_lo_u32 v4, v1, s10
	s_add_u32 s0, s0, 8
	v_sub_u32_e32 v6, v3, v4
	v_mov_b32_e32 v3, v1
	s_addc_u32 s1, s1, 0
	s_add_i32 s8, s8, -1
	v_mad_u64_u32 v[4:5], s[10:11], v6, s13, v[2:3]
	v_mad_u64_u32 v[0:1], s[10:11], v6, s12, v[0:1]
	s_cmp_lg_u32 s8, 0
	v_mov_b32_e32 v1, v4
	s_cbranch_scc1 .LBB23_282
; %bb.283:
	v_mov_b32_e32 v2, v1
.LBB23_284:
	s_cbranch_execnz .LBB23_287
.LBB23_285:
	v_mul_hi_u32 v0, s29, v8
	v_add_u32_e32 v0, v8, v0
	s_waitcnt vmcnt(0)
	v_lshrrev_b32_e32 v1, s30, v0
	v_mul_lo_u32 v0, v1, s28
	v_sub_u32_e32 v0, v8, v0
	v_mul_lo_u32 v2, v0, s37
	s_andn2_b64 vcc, exec, s[44:45]
	v_mul_lo_u32 v0, v0, s36
	s_cbranch_vccnz .LBB23_287
; %bb.286:
	v_mul_hi_u32 v3, s46, v1
	v_add_u32_e32 v3, v1, v3
	v_lshrrev_b32_e32 v3, s47, v3
	v_mul_lo_u32 v3, v3, s31
	v_sub_u32_e32 v3, v1, v3
	v_mad_u64_u32 v[0:1], s[0:1], v3, s38, v[0:1]
	v_mad_u64_u32 v[2:3], s[0:1], v3, s39, v[2:3]
.LBB23_287:
	s_waitcnt vmcnt(0)
	v_mov_b32_e32 v1, s27
	v_add_co_u32_e32 v2, vcc, s26, v2
	v_addc_co_u32_e32 v3, vcc, 0, v1, vcc
	v_cmp_lt_i16_e64 s[0:1], s77, 11
	s_and_b64 vcc, exec, s[0:1]
	s_cbranch_vccnz .LBB23_294
; %bb.288:
	v_cmp_gt_i16_e64 s[0:1], s77, 25
	s_and_b64 vcc, exec, s[0:1]
	s_cbranch_vccz .LBB23_303
; %bb.289:
	v_cmp_gt_i16_e64 s[0:1], s77, 28
	s_and_b64 vcc, exec, s[0:1]
	s_cbranch_vccz .LBB23_305
	;; [unrolled: 4-line block ×4, first 2 shown]
; %bb.292:
	v_cmp_eq_u16_e64 s[0:1], s77, 46
	s_mov_b64 s[8:9], 0
	s_and_b64 vcc, exec, s[0:1]
	s_cbranch_vccz .LBB23_315
; %bb.293:
	global_load_dword v1, v[2:3], off
	s_mov_b64 s[0:1], -1
	s_mov_b64 s[2:3], 0
	s_waitcnt vmcnt(0)
	v_lshlrev_b32_e32 v1, 16, v1
	v_cvt_f16_f32_e32 v1, v1
	s_branch .LBB23_316
.LBB23_294:
	s_mov_b64 s[0:1], 0
                                        ; implicit-def: $vgpr1
	s_mov_b64 s[2:3], s[54:55]
	s_cbranch_execnz .LBB23_493
.LBB23_295:
	s_andn2_b64 vcc, exec, s[0:1]
	s_cbranch_vccnz .LBB23_541
.LBB23_296:
	s_waitcnt vmcnt(0)
	v_cmp_nge_f16_e64 s[0:1], v1, -s76
	v_cmp_nge_f16_e32 vcc, s76, v1
	s_or_b64 vcc, s[0:1], vcc
	v_cndmask_b32_e32 v2, 0, v1, vcc
	v_mov_b32_e32 v1, s25
	v_add_co_u32_e32 v0, vcc, s24, v0
	v_mov_b32_e32 v3, 11
	v_addc_co_u32_e32 v1, vcc, 0, v1, vcc
	v_cmp_lt_i16_sdwa s[0:1], s75, v3 src0_sel:BYTE_0 src1_sel:DWORD
	s_and_b64 vcc, exec, s[0:1]
	s_cbranch_vccnz .LBB23_304
; %bb.297:
	v_mov_b32_e32 v3, 25
	v_cmp_gt_i16_sdwa s[0:1], s75, v3 src0_sel:BYTE_0 src1_sel:DWORD
	s_and_b64 vcc, exec, s[0:1]
	s_cbranch_vccz .LBB23_306
; %bb.298:
	v_mov_b32_e32 v3, 28
	v_cmp_gt_i16_sdwa s[0:1], s75, v3 src0_sel:BYTE_0 src1_sel:DWORD
	s_and_b64 vcc, exec, s[0:1]
	s_cbranch_vccz .LBB23_308
	;; [unrolled: 5-line block ×4, first 2 shown]
; %bb.301:
	v_mov_b32_e32 v3, 46
	v_cmp_eq_u16_sdwa s[8:9], s75, v3 src0_sel:BYTE_0 src1_sel:DWORD
	s_mov_b64 s[10:11], 0
	s_mov_b64 s[0:1], -1
	s_and_b64 vcc, exec, s[8:9]
	s_mov_b64 s[8:9], 0
	s_cbranch_vccz .LBB23_320
; %bb.302:
	v_cvt_f32_f16_e32 v3, v2
	s_movk_i32 s0, 0x7fff
	v_mov_b32_e32 v4, 0x7fc0
	v_cmp_o_f16_e32 vcc, v2, v2
	v_bfe_u32 v5, v3, 16, 1
	v_add3_u32 v3, v3, v5, s0
	v_lshrrev_b32_e32 v3, 16, v3
	v_cndmask_b32_e32 v3, v4, v3, vcc
	global_store_dword v[0:1], v3, off
	s_mov_b64 s[8:9], -1
	s_mov_b64 s[0:1], 0
	s_branch .LBB23_320
.LBB23_303:
	s_mov_b64 s[8:9], -1
	s_mov_b64 s[0:1], 0
	s_mov_b64 s[2:3], s[54:55]
                                        ; implicit-def: $vgpr1
	s_branch .LBB23_457
.LBB23_304:
	s_mov_b64 s[10:11], -1
	s_mov_b64 s[8:9], 0
	s_mov_b64 s[0:1], s[52:53]
	s_branch .LBB23_389
.LBB23_305:
	s_mov_b64 s[8:9], -1
	s_mov_b64 s[0:1], 0
	s_mov_b64 s[2:3], s[54:55]
                                        ; implicit-def: $vgpr1
	s_branch .LBB23_438
.LBB23_306:
	s_mov_b64 s[10:11], -1
	s_mov_b64 s[8:9], 0
	s_mov_b64 s[0:1], s[52:53]
	s_branch .LBB23_347
.LBB23_307:
	s_mov_b64 s[8:9], -1
	s_mov_b64 s[0:1], 0
	s_mov_b64 s[2:3], s[54:55]
                                        ; implicit-def: $vgpr1
	s_branch .LBB23_433
.LBB23_308:
	s_mov_b64 s[10:11], -1
	s_mov_b64 s[8:9], 0
	s_mov_b64 s[0:1], s[52:53]
	s_branch .LBB23_330
.LBB23_309:
	s_or_saveexec_b64 s[12:13], s[12:13]
                                        ; implicit-def: $sgpr14
	s_xor_b64 exec, exec, s[12:13]
	s_cbranch_execz .LBB23_69
.LBB23_310:
	s_mov_b32 s14, 0x46000000
	v_add_f32_e64 v4, |v3|, s14
	v_and_b32_e32 v4, 0xff, v4
	v_cmp_ne_u32_e32 vcc, 0, v4
	s_andn2_b64 s[10:11], s[10:11], exec
	s_and_b64 s[16:17], vcc, exec
	s_mov_b32 s14, 0
	s_or_b64 s[10:11], s[10:11], s[16:17]
	s_or_b64 exec, exec, s[12:13]
	v_mov_b32_e32 v5, s14
	s_and_saveexec_b64 s[12:13], s[10:11]
	s_cbranch_execnz .LBB23_70
	s_branch .LBB23_71
.LBB23_311:
	s_mov_b64 s[8:9], -1
	s_mov_b64 s[0:1], 0
	s_mov_b64 s[2:3], s[54:55]
                                        ; implicit-def: $vgpr1
	s_branch .LBB23_316
.LBB23_312:
	s_mov_b64 s[10:11], -1
	s_mov_b64 s[8:9], 0
	s_mov_b64 s[0:1], s[52:53]
	s_branch .LBB23_326
.LBB23_313:
	s_or_saveexec_b64 s[12:13], s[12:13]
                                        ; implicit-def: $sgpr14
	s_xor_b64 exec, exec, s[12:13]
	s_cbranch_execz .LBB23_82
.LBB23_314:
	s_mov_b32 s14, 0x42800000
	v_add_f32_e64 v4, |v3|, s14
	v_and_b32_e32 v4, 0xff, v4
	v_cmp_ne_u32_e32 vcc, 0, v4
	s_andn2_b64 s[10:11], s[10:11], exec
	s_and_b64 s[16:17], vcc, exec
	s_mov_b32 s14, 0
	s_or_b64 s[10:11], s[10:11], s[16:17]
	s_or_b64 exec, exec, s[12:13]
	v_mov_b32_e32 v5, s14
	s_and_saveexec_b64 s[12:13], s[10:11]
	s_cbranch_execnz .LBB23_83
	s_branch .LBB23_84
.LBB23_315:
	s_mov_b64 s[2:3], -1
                                        ; implicit-def: $vgpr1
	s_mov_b64 s[0:1], 0
.LBB23_316:
	s_and_b64 vcc, exec, s[8:9]
	s_cbranch_vccz .LBB23_432
; %bb.317:
	v_cmp_eq_u16_e64 s[2:3], s77, 44
	s_and_b64 vcc, exec, s[2:3]
	s_cbranch_vccz .LBB23_431
; %bb.318:
	global_load_ubyte v1, v[2:3], off
	s_movk_i32 s2, 0xff
	v_mov_b32_e32 v5, 0x7e00
	s_mov_b64 s[0:1], -1
	s_waitcnt vmcnt(0)
	v_lshlrev_b32_e32 v4, 23, v1
	v_cvt_f16_f32_e32 v4, v4
	v_cmp_ne_u32_e32 vcc, s2, v1
	s_mov_b64 s[2:3], 0
	v_cndmask_b32_e32 v4, v5, v4, vcc
	v_cmp_ne_u32_e32 vcc, 0, v1
	v_cndmask_b32_e32 v1, 0, v4, vcc
	s_branch .LBB23_432
.LBB23_319:
	s_mov_b64 s[10:11], -1
	s_mov_b64 s[8:9], 0
	s_mov_b64 s[0:1], s[52:53]
.LBB23_320:
	s_and_b64 vcc, exec, s[10:11]
	s_cbranch_vccz .LBB23_325
; %bb.321:
	v_mov_b32_e32 v3, 44
	v_cmp_eq_u16_sdwa s[10:11], s75, v3 src0_sel:BYTE_0 src1_sel:DWORD
	s_mov_b64 s[0:1], -1
	s_and_b64 vcc, exec, s[10:11]
	s_cbranch_vccz .LBB23_325
; %bb.322:
	v_cvt_f32_f16_e32 v3, v2
	s_movk_i32 s0, 0xff
	v_mov_b32_e32 v5, 0xff
	v_bfe_u32 v4, v3, 23, 8
	v_cmp_ne_u32_e32 vcc, s0, v4
	s_and_saveexec_b64 s[8:9], vcc
; %bb.323:
	s_mov_b32 s0, 0x3fffff
	v_lshrrev_b32_e32 v5, 23, v3
	v_and_b32_e32 v6, 0x400000, v3
	v_and_or_b32 v3, v3, s0, v4
	v_cmp_ne_u32_e32 vcc, 0, v6
	v_cmp_ne_u32_e64 s[0:1], 0, v3
	s_and_b64 s[0:1], vcc, s[0:1]
	v_cndmask_b32_e64 v3, 0, 1, s[0:1]
	v_add_u32_e32 v5, v5, v3
; %bb.324:
	s_or_b64 exec, exec, s[8:9]
	s_mov_b64 s[8:9], -1
	s_mov_b64 s[0:1], 0
	global_store_byte v[0:1], v5, off
.LBB23_325:
	s_mov_b64 s[10:11], 0
.LBB23_326:
	s_and_b64 vcc, exec, s[10:11]
	s_cbranch_vccz .LBB23_329
; %bb.327:
	v_mov_b32_e32 v3, 29
	v_cmp_eq_u16_sdwa s[10:11], s75, v3 src0_sel:BYTE_0 src1_sel:DWORD
	s_mov_b64 s[0:1], -1
	s_and_b64 vcc, exec, s[10:11]
	s_cbranch_vccz .LBB23_329
; %bb.328:
	v_cvt_f32_f16_e32 v3, v2
	v_mov_b32_e32 v5, 0
	s_mov_b64 s[8:9], -1
	s_mov_b64 s[0:1], 0
	v_cvt_u32_f32_e32 v4, v3
	s_mov_b64 s[10:11], 0
	global_store_dwordx2 v[0:1], v[4:5], off
	s_branch .LBB23_330
.LBB23_329:
	s_mov_b64 s[10:11], 0
.LBB23_330:
	s_and_b64 vcc, exec, s[10:11]
	s_cbranch_vccz .LBB23_346
; %bb.331:
	v_mov_b32_e32 v3, 27
	v_cmp_lt_i16_sdwa s[10:11], s75, v3 src0_sel:BYTE_0 src1_sel:DWORD
	s_mov_b64 s[8:9], -1
	s_and_b64 vcc, exec, s[10:11]
	s_cbranch_vccnz .LBB23_337
; %bb.332:
	v_cmp_gt_i16_sdwa s[10:11], s75, v3 src0_sel:BYTE_0 src1_sel:DWORD
	s_and_b64 vcc, exec, s[10:11]
	s_cbranch_vccz .LBB23_334
; %bb.333:
	v_cvt_f32_f16_e32 v3, v2
	s_mov_b64 s[8:9], 0
	v_cvt_u32_f32_e32 v3, v3
	global_store_dword v[0:1], v3, off
.LBB23_334:
	s_andn2_b64 vcc, exec, s[8:9]
	s_cbranch_vccnz .LBB23_336
; %bb.335:
	v_cvt_u16_f16_e32 v3, v2
	global_store_short v[0:1], v3, off
.LBB23_336:
	s_mov_b64 s[8:9], 0
.LBB23_337:
	s_andn2_b64 vcc, exec, s[8:9]
	s_cbranch_vccnz .LBB23_345
; %bb.338:
	v_cvt_f32_f16_e32 v3, v2
	s_mov_b32 s8, 0x43800000
	v_mov_b32_e32 v5, 0x80
	v_and_b32_e32 v4, 0x7fffffff, v3
	v_cmp_gt_u32_e32 vcc, s8, v4
	s_and_saveexec_b64 s[8:9], vcc
	s_cbranch_execz .LBB23_344
; %bb.339:
	s_mov_b32 s10, 0x3bffffff
	v_cmp_lt_u32_e32 vcc, s10, v4
	s_mov_b64 s[10:11], 0
                                        ; implicit-def: $vgpr4
	s_and_saveexec_b64 s[12:13], vcc
	s_xor_b64 s[12:13], exec, s[12:13]
	s_cbranch_execz .LBB23_573
; %bb.340:
	v_bfe_u32 v4, v3, 20, 1
	s_mov_b32 s14, 0x487ffff
	v_add3_u32 v4, v3, v4, s14
	s_mov_b64 s[10:11], exec
	v_lshrrev_b32_e32 v4, 20, v4
	s_or_saveexec_b64 s[12:13], s[12:13]
                                        ; implicit-def: $sgpr14
	s_xor_b64 exec, exec, s[12:13]
	s_cbranch_execnz .LBB23_574
.LBB23_341:
	s_or_b64 exec, exec, s[12:13]
	v_mov_b32_e32 v5, s14
	s_and_saveexec_b64 s[12:13], s[10:11]
.LBB23_342:
	v_lshrrev_b32_e32 v3, 24, v3
	s_movk_i32 s10, 0x80
	v_and_or_b32 v5, v3, s10, v4
.LBB23_343:
	s_or_b64 exec, exec, s[12:13]
.LBB23_344:
	s_or_b64 exec, exec, s[8:9]
	global_store_byte v[0:1], v5, off
.LBB23_345:
	s_mov_b64 s[8:9], -1
.LBB23_346:
	s_mov_b64 s[10:11], 0
.LBB23_347:
	s_and_b64 vcc, exec, s[10:11]
	s_cbranch_vccz .LBB23_388
; %bb.348:
	v_mov_b32_e32 v3, 22
	v_cmp_gt_i16_sdwa s[12:13], s75, v3 src0_sel:BYTE_0 src1_sel:DWORD
	s_mov_b64 s[10:11], -1
	s_and_b64 vcc, exec, s[12:13]
	s_cbranch_vccz .LBB23_380
; %bb.349:
	v_mov_b32_e32 v3, 24
	v_cmp_lt_i16_sdwa s[10:11], s75, v3 src0_sel:BYTE_0 src1_sel:DWORD
	s_mov_b64 s[8:9], -1
	s_and_b64 vcc, exec, s[10:11]
	s_cbranch_vccnz .LBB23_369
; %bb.350:
	v_cmp_gt_i16_sdwa s[10:11], s75, v3 src0_sel:BYTE_0 src1_sel:DWORD
	s_and_b64 vcc, exec, s[10:11]
	s_cbranch_vccz .LBB23_358
; %bb.351:
	v_cvt_f32_f16_e32 v3, v2
	s_mov_b32 s8, 0x47800000
	v_mov_b32_e32 v5, 0x80
	v_and_b32_e32 v4, 0x7fffffff, v3
	v_cmp_gt_u32_e32 vcc, s8, v4
	s_and_saveexec_b64 s[8:9], vcc
	s_cbranch_execz .LBB23_357
; %bb.352:
	s_mov_b32 s10, 0x37ffffff
	v_cmp_lt_u32_e32 vcc, s10, v4
	s_mov_b64 s[10:11], 0
                                        ; implicit-def: $vgpr4
	s_and_saveexec_b64 s[12:13], vcc
	s_xor_b64 s[12:13], exec, s[12:13]
	s_cbranch_execz .LBB23_576
; %bb.353:
	v_bfe_u32 v4, v3, 21, 1
	s_mov_b32 s14, 0x88fffff
	v_add3_u32 v4, v3, v4, s14
	s_mov_b64 s[10:11], exec
	v_lshrrev_b32_e32 v4, 21, v4
	s_or_saveexec_b64 s[12:13], s[12:13]
                                        ; implicit-def: $sgpr14
	s_xor_b64 exec, exec, s[12:13]
	s_cbranch_execnz .LBB23_577
.LBB23_354:
	s_or_b64 exec, exec, s[12:13]
	v_mov_b32_e32 v5, s14
	s_and_saveexec_b64 s[12:13], s[10:11]
.LBB23_355:
	v_lshrrev_b32_e32 v3, 24, v3
	s_movk_i32 s10, 0x80
	v_and_or_b32 v5, v3, s10, v4
.LBB23_356:
	s_or_b64 exec, exec, s[12:13]
.LBB23_357:
	s_or_b64 exec, exec, s[8:9]
	s_mov_b64 s[8:9], 0
	global_store_byte v[0:1], v5, off
.LBB23_358:
	s_and_b64 vcc, exec, s[8:9]
	s_cbranch_vccz .LBB23_368
; %bb.359:
	v_cvt_f32_f16_e32 v3, v2
	s_mov_b32 s8, 0x43f00000
                                        ; implicit-def: $vgpr4
	v_and_b32_e32 v5, 0x7fffffff, v3
	v_cmp_gt_u32_e32 vcc, s8, v5
	s_and_saveexec_b64 s[8:9], vcc
	s_xor_b64 s[8:9], exec, s[8:9]
	s_cbranch_execz .LBB23_365
; %bb.360:
	s_mov_b32 s10, 0x3c7fffff
	v_cmp_lt_u32_e32 vcc, s10, v5
                                        ; implicit-def: $vgpr4
	s_and_saveexec_b64 s[10:11], vcc
	s_xor_b64 s[10:11], exec, s[10:11]
; %bb.361:
	v_bfe_u32 v4, v3, 20, 1
	s_mov_b32 s12, 0x407ffff
	v_add3_u32 v4, v3, v4, s12
	v_lshrrev_b32_e32 v5, 20, v4
	v_and_b32_e32 v4, 0xff00000, v4
	s_mov_b32 s12, 0x7f00000
	v_mov_b32_e32 v6, 0x7e
	v_cmp_ne_u32_e32 vcc, s12, v4
	v_cndmask_b32_e32 v4, v6, v5, vcc
; %bb.362:
	s_andn2_saveexec_b64 s[10:11], s[10:11]
; %bb.363:
	s_mov_b32 s12, 0x46800000
	v_add_f32_e64 v4, |v3|, s12
; %bb.364:
	s_or_b64 exec, exec, s[10:11]
                                        ; implicit-def: $vgpr5
.LBB23_365:
	s_andn2_saveexec_b64 s[8:9], s[8:9]
; %bb.366:
	s_mov_b32 s10, 0x7f800000
	v_mov_b32_e32 v4, 0x7e
	v_mov_b32_e32 v6, 0x7f
	v_cmp_lt_u32_e32 vcc, s10, v5
	v_cndmask_b32_e32 v4, v4, v6, vcc
; %bb.367:
	s_or_b64 exec, exec, s[8:9]
	v_lshrrev_b32_e32 v3, 24, v3
	s_movk_i32 s8, 0x80
	v_and_or_b32 v3, v3, s8, v4
	global_store_byte v[0:1], v3, off
.LBB23_368:
	s_mov_b64 s[8:9], 0
.LBB23_369:
	s_andn2_b64 vcc, exec, s[8:9]
	s_cbranch_vccnz .LBB23_379
; %bb.370:
	v_cvt_f32_f16_e32 v3, v2
	s_mov_b32 s8, 0x47800000
                                        ; implicit-def: $vgpr4
	v_and_b32_e32 v5, 0x7fffffff, v3
	v_cmp_gt_u32_e32 vcc, s8, v5
	s_and_saveexec_b64 s[8:9], vcc
	s_xor_b64 s[8:9], exec, s[8:9]
	s_cbranch_execz .LBB23_376
; %bb.371:
	s_mov_b32 s10, 0x387fffff
	v_cmp_lt_u32_e32 vcc, s10, v5
                                        ; implicit-def: $vgpr4
	s_and_saveexec_b64 s[10:11], vcc
	s_xor_b64 s[10:11], exec, s[10:11]
; %bb.372:
	v_bfe_u32 v4, v3, 21, 1
	s_mov_b32 s12, 0x80fffff
	v_add3_u32 v4, v3, v4, s12
	v_lshrrev_b32_e32 v4, 21, v4
; %bb.373:
	s_andn2_saveexec_b64 s[10:11], s[10:11]
; %bb.374:
	s_mov_b32 s12, 0x43000000
	v_add_f32_e64 v4, |v3|, s12
; %bb.375:
	s_or_b64 exec, exec, s[10:11]
                                        ; implicit-def: $vgpr5
.LBB23_376:
	s_andn2_saveexec_b64 s[8:9], s[8:9]
; %bb.377:
	s_mov_b32 s10, 0x7f800000
	v_mov_b32_e32 v4, 0x7c
	v_mov_b32_e32 v6, 0x7f
	v_cmp_lt_u32_e32 vcc, s10, v5
	v_cndmask_b32_e32 v4, v4, v6, vcc
; %bb.378:
	s_or_b64 exec, exec, s[8:9]
	v_lshrrev_b32_e32 v3, 24, v3
	s_movk_i32 s8, 0x80
	v_and_or_b32 v3, v3, s8, v4
	global_store_byte v[0:1], v3, off
.LBB23_379:
	s_mov_b64 s[10:11], 0
	s_mov_b64 s[8:9], -1
.LBB23_380:
	s_andn2_b64 vcc, exec, s[10:11]
	s_cbranch_vccnz .LBB23_388
; %bb.381:
	v_mov_b32_e32 v3, 14
	v_cmp_gt_i16_sdwa s[12:13], s75, v3 src0_sel:BYTE_0 src1_sel:DWORD
	s_mov_b64 s[10:11], -1
	s_and_b64 vcc, exec, s[12:13]
	s_cbranch_vccz .LBB23_385
; %bb.382:
	v_mov_b32_e32 v3, 15
	v_cmp_eq_u16_sdwa s[10:11], s75, v3 src0_sel:BYTE_0 src1_sel:DWORD
	s_mov_b64 s[0:1], -1
	s_and_b64 vcc, exec, s[10:11]
	s_cbranch_vccz .LBB23_384
; %bb.383:
	v_cvt_f32_f16_e32 v3, v2
	s_movk_i32 s0, 0x7fff
	v_mov_b32_e32 v4, 0x7fc0
	v_cmp_o_f16_e32 vcc, v2, v2
	v_bfe_u32 v5, v3, 16, 1
	v_add3_u32 v3, v3, v5, s0
	v_lshrrev_b32_e32 v3, 16, v3
	v_cndmask_b32_e32 v3, v4, v3, vcc
	global_store_short v[0:1], v3, off
	s_mov_b64 s[8:9], -1
	s_mov_b64 s[0:1], 0
.LBB23_384:
	s_mov_b64 s[10:11], 0
.LBB23_385:
	s_and_b64 vcc, exec, s[10:11]
	s_cbranch_vccz .LBB23_388
; %bb.386:
	v_mov_b32_e32 v3, 11
	v_cmp_eq_u16_sdwa s[10:11], s75, v3 src0_sel:BYTE_0 src1_sel:DWORD
	s_mov_b64 s[0:1], -1
	s_and_b64 vcc, exec, s[10:11]
	s_cbranch_vccz .LBB23_388
; %bb.387:
	v_and_b32_e32 v3, 0x7fff, v2
	v_cmp_ne_u16_e32 vcc, 0, v3
	v_cndmask_b32_e64 v3, 0, 1, vcc
	s_mov_b64 s[8:9], -1
	s_mov_b64 s[0:1], 0
	global_store_byte v[0:1], v3, off
.LBB23_388:
	s_mov_b64 s[10:11], 0
.LBB23_389:
	s_and_b64 vcc, exec, s[10:11]
	s_cbranch_vccz .LBB23_428
; %bb.390:
	v_mov_b32_e32 v3, 5
	v_cmp_lt_i16_sdwa s[10:11], s75, v3 src0_sel:BYTE_0 src1_sel:DWORD
	s_mov_b64 s[8:9], -1
	s_and_b64 vcc, exec, s[10:11]
	s_cbranch_vccnz .LBB23_411
; %bb.391:
	v_mov_b32_e32 v3, 8
	v_cmp_lt_i16_sdwa s[10:11], s75, v3 src0_sel:BYTE_0 src1_sel:DWORD
	s_and_b64 vcc, exec, s[10:11]
	s_cbranch_vccnz .LBB23_401
; %bb.392:
	v_mov_b32_e32 v3, 9
	v_cmp_lt_i16_sdwa s[10:11], s75, v3 src0_sel:BYTE_0 src1_sel:DWORD
	s_and_b64 vcc, exec, s[10:11]
	s_cbranch_vccnz .LBB23_398
; %bb.393:
	v_cmp_gt_i16_sdwa s[10:11], s75, v3 src0_sel:BYTE_0 src1_sel:DWORD
	s_and_b64 vcc, exec, s[10:11]
	s_cbranch_vccz .LBB23_395
; %bb.394:
	v_cvt_f32_f16_e32 v3, v2
	v_mov_b32_e32 v6, 0
	v_mov_b32_e32 v7, v6
	s_mov_b64 s[8:9], 0
	v_cvt_f64_f32_e32 v[4:5], v3
	global_store_dwordx4 v[0:1], v[4:7], off
.LBB23_395:
	s_andn2_b64 vcc, exec, s[8:9]
	s_cbranch_vccnz .LBB23_397
; %bb.396:
	v_cvt_f32_f16_e32 v4, v2
	v_mov_b32_e32 v5, 0
	global_store_dwordx2 v[0:1], v[4:5], off
.LBB23_397:
	s_mov_b64 s[8:9], 0
.LBB23_398:
	s_andn2_b64 vcc, exec, s[8:9]
	s_cbranch_vccnz .LBB23_400
; %bb.399:
	v_and_b32_e32 v3, 0xffff, v2
	global_store_dword v[0:1], v3, off
.LBB23_400:
	s_mov_b64 s[8:9], 0
.LBB23_401:
	s_andn2_b64 vcc, exec, s[8:9]
	s_cbranch_vccnz .LBB23_410
; %bb.402:
	v_mov_b32_e32 v3, 6
	v_cmp_lt_i16_sdwa s[10:11], s75, v3 src0_sel:BYTE_0 src1_sel:DWORD
	s_mov_b64 s[8:9], -1
	s_and_b64 vcc, exec, s[10:11]
	s_cbranch_vccnz .LBB23_408
; %bb.403:
	v_cmp_gt_i16_sdwa s[10:11], s75, v3 src0_sel:BYTE_0 src1_sel:DWORD
	s_and_b64 vcc, exec, s[10:11]
	s_cbranch_vccz .LBB23_405
; %bb.404:
	v_cvt_f32_f16_e32 v3, v2
	s_mov_b64 s[8:9], 0
	v_cvt_f64_f32_e32 v[4:5], v3
	global_store_dwordx2 v[0:1], v[4:5], off
.LBB23_405:
	s_andn2_b64 vcc, exec, s[8:9]
	s_cbranch_vccnz .LBB23_407
; %bb.406:
	v_cvt_f32_f16_e32 v3, v2
	global_store_dword v[0:1], v3, off
.LBB23_407:
	s_mov_b64 s[8:9], 0
.LBB23_408:
	s_andn2_b64 vcc, exec, s[8:9]
	s_cbranch_vccnz .LBB23_410
; %bb.409:
	global_store_short v[0:1], v2, off
.LBB23_410:
	s_mov_b64 s[8:9], 0
.LBB23_411:
	s_andn2_b64 vcc, exec, s[8:9]
	s_cbranch_vccnz .LBB23_427
; %bb.412:
	v_mov_b32_e32 v3, 2
	v_cmp_lt_i16_sdwa s[10:11], s75, v3 src0_sel:BYTE_0 src1_sel:DWORD
	s_mov_b64 s[8:9], -1
	s_and_b64 vcc, exec, s[10:11]
	s_cbranch_vccnz .LBB23_422
; %bb.413:
	v_mov_b32_e32 v3, 3
	v_cmp_lt_i16_sdwa s[10:11], s75, v3 src0_sel:BYTE_0 src1_sel:DWORD
	s_and_b64 vcc, exec, s[10:11]
	s_cbranch_vccnz .LBB23_419
; %bb.414:
	v_cmp_gt_i16_sdwa s[10:11], s75, v3 src0_sel:BYTE_0 src1_sel:DWORD
	s_and_b64 vcc, exec, s[10:11]
	s_cbranch_vccz .LBB23_416
; %bb.415:
	v_cvt_f32_f16_e32 v3, v2
	s_mov_b64 s[8:9], 0
	v_cvt_i32_f32_e32 v4, v3
	v_ashrrev_i32_e32 v5, 31, v4
	global_store_dwordx2 v[0:1], v[4:5], off
.LBB23_416:
	s_andn2_b64 vcc, exec, s[8:9]
	s_cbranch_vccnz .LBB23_418
; %bb.417:
	v_cvt_f32_f16_e32 v3, v2
	v_cvt_i32_f32_e32 v3, v3
	global_store_dword v[0:1], v3, off
.LBB23_418:
	s_mov_b64 s[8:9], 0
.LBB23_419:
	s_andn2_b64 vcc, exec, s[8:9]
	s_cbranch_vccnz .LBB23_421
; %bb.420:
	v_cvt_i16_f16_e32 v3, v2
	global_store_short v[0:1], v3, off
.LBB23_421:
	s_mov_b64 s[8:9], 0
.LBB23_422:
	s_andn2_b64 vcc, exec, s[8:9]
	s_cbranch_vccnz .LBB23_427
; %bb.423:
	v_mov_b32_e32 v3, 0
	v_cmp_gt_i16_sdwa s[10:11], s75, v3 src0_sel:BYTE_0 src1_sel:DWORD
	s_mov_b64 s[8:9], -1
	s_and_b64 vcc, exec, s[10:11]
	s_cbranch_vccz .LBB23_425
; %bb.424:
	v_cvt_i16_f16_e32 v3, v2
	s_mov_b64 s[8:9], 0
	global_store_byte v[0:1], v3, off
.LBB23_425:
	s_andn2_b64 vcc, exec, s[8:9]
	s_cbranch_vccnz .LBB23_427
; %bb.426:
	v_cvt_f32_f16_e32 v2, v2
	v_cvt_i32_f32_e32 v2, v2
	global_store_byte v[0:1], v2, off
.LBB23_427:
	s_mov_b64 s[8:9], -1
.LBB23_428:
	s_andn2_b64 vcc, exec, s[8:9]
	s_cbranch_vccnz .LBB23_430
; %bb.429:
	v_add_u32_e32 v8, 0x80, v8
	s_mov_b64 s[8:9], -1
	s_branch .LBB23_543
.LBB23_430:
	s_mov_b64 s[8:9], 0
	s_branch .LBB23_542
.LBB23_431:
	s_mov_b64 s[2:3], -1
                                        ; implicit-def: $vgpr1
.LBB23_432:
	s_mov_b64 s[8:9], 0
.LBB23_433:
	s_and_b64 vcc, exec, s[8:9]
	s_cbranch_vccz .LBB23_437
; %bb.434:
	v_cmp_eq_u16_e64 s[2:3], s77, 29
	s_and_b64 vcc, exec, s[2:3]
	s_cbranch_vccz .LBB23_436
; %bb.435:
	global_load_dwordx2 v[4:5], v[2:3], off
	s_mov_b64 s[0:1], -1
	s_mov_b64 s[2:3], 0
	s_mov_b64 s[8:9], 0
	s_waitcnt vmcnt(0)
	v_ffbh_u32_e32 v1, v5
	v_min_u32_e32 v1, 32, v1
	v_lshlrev_b64 v[4:5], v1, v[4:5]
	v_min_u32_e32 v4, 1, v4
	v_or_b32_e32 v4, v5, v4
	v_cvt_f32_u32_e32 v4, v4
	v_sub_u32_e32 v1, 32, v1
	v_ldexp_f32 v1, v4, v1
	v_cvt_f16_f32_e32 v1, v1
	s_branch .LBB23_438
.LBB23_436:
	s_mov_b64 s[2:3], -1
                                        ; implicit-def: $vgpr1
.LBB23_437:
	s_mov_b64 s[8:9], 0
.LBB23_438:
	s_and_b64 vcc, exec, s[8:9]
	s_cbranch_vccz .LBB23_456
; %bb.439:
	v_cmp_lt_i16_e64 s[0:1], s77, 27
	s_and_b64 vcc, exec, s[0:1]
	s_cbranch_vccnz .LBB23_442
; %bb.440:
	v_cmp_gt_i16_e64 s[0:1], s77, 27
	s_and_b64 vcc, exec, s[0:1]
	s_cbranch_vccz .LBB23_443
; %bb.441:
	global_load_dword v1, v[2:3], off
	s_mov_b64 s[0:1], 0
	s_waitcnt vmcnt(0)
	v_cvt_f32_u32_e32 v1, v1
	v_cvt_f16_f32_e32 v1, v1
	s_branch .LBB23_444
.LBB23_442:
	s_mov_b64 s[0:1], -1
                                        ; implicit-def: $vgpr1
	s_branch .LBB23_447
.LBB23_443:
	s_mov_b64 s[0:1], -1
                                        ; implicit-def: $vgpr1
.LBB23_444:
	s_andn2_b64 vcc, exec, s[0:1]
	s_cbranch_vccnz .LBB23_446
; %bb.445:
	global_load_ushort v1, v[2:3], off
	s_waitcnt vmcnt(0)
	v_cvt_f16_u16_e32 v1, v1
.LBB23_446:
	s_mov_b64 s[0:1], 0
.LBB23_447:
	s_andn2_b64 vcc, exec, s[0:1]
	s_cbranch_vccnz .LBB23_455
; %bb.448:
	global_load_ubyte v4, v[2:3], off
	s_movk_i32 s0, 0x7f
                                        ; implicit-def: $sgpr12
	s_waitcnt vmcnt(0)
	v_cmp_lt_i16_e32 vcc, s0, v4
	s_mov_b64 s[0:1], 0
	s_and_saveexec_b64 s[8:9], vcc
	s_xor_b64 s[8:9], exec, s[8:9]
	s_cbranch_execz .LBB23_469
; %bb.449:
	s_movk_i32 s0, 0x80
	v_cmp_eq_u16_e32 vcc, s0, v4
	s_mov_b64 s[0:1], -1
                                        ; implicit-def: $sgpr12
	s_and_saveexec_b64 s[10:11], vcc
; %bb.450:
	s_movk_i32 s12, 0x7e00
	s_xor_b64 s[0:1], exec, -1
; %bb.451:
	s_or_b64 exec, exec, s[10:11]
	s_and_b64 s[0:1], s[0:1], exec
	s_or_saveexec_b64 s[8:9], s[8:9]
	v_mov_b32_e32 v1, s12
	s_xor_b64 exec, exec, s[8:9]
	s_cbranch_execnz .LBB23_470
.LBB23_452:
	s_or_b64 exec, exec, s[8:9]
	s_and_saveexec_b64 s[8:9], s[0:1]
	s_cbranch_execz .LBB23_454
.LBB23_453:
	v_lshlrev_b32_e32 v1, 24, v4
	v_and_b32_e32 v4, 0xffff, v4
	v_and_b32_e32 v5, 7, v4
	v_ffbh_u32_e32 v7, v5
	v_min_u32_e32 v7, 32, v7
	v_subrev_u32_e32 v9, 28, v7
	v_bfe_u32 v6, v4, 3, 4
	v_lshlrev_b32_e32 v4, v9, v4
	v_sub_u32_e32 v7, 29, v7
	v_and_b32_e32 v4, 7, v4
	v_cmp_eq_u32_e32 vcc, 0, v6
	v_cndmask_b32_e32 v6, v6, v7, vcc
	v_cndmask_b32_e32 v4, v5, v4, vcc
	v_mov_b32_e32 v5, 0x3b800000
	v_lshlrev_b32_e32 v4, 20, v4
	v_and_b32_e32 v1, 0x80000000, v1
	v_lshl_add_u32 v5, v6, 23, v5
	v_or3_b32 v1, v1, v5, v4
	v_cvt_f16_f32_e32 v1, v1
.LBB23_454:
	s_or_b64 exec, exec, s[8:9]
.LBB23_455:
	s_mov_b64 s[0:1], -1
.LBB23_456:
	s_mov_b64 s[8:9], 0
.LBB23_457:
	s_and_b64 vcc, exec, s[8:9]
	s_cbranch_vccz .LBB23_492
; %bb.458:
	v_cmp_gt_i16_e64 s[8:9], s77, 22
	s_and_b64 vcc, exec, s[8:9]
	s_cbranch_vccz .LBB23_468
; %bb.459:
	v_cmp_lt_i16_e64 s[0:1], s77, 24
	s_and_b64 vcc, exec, s[0:1]
	s_cbranch_vccnz .LBB23_471
; %bb.460:
	v_cmp_gt_i16_e64 s[0:1], s77, 24
	s_and_b64 vcc, exec, s[0:1]
	s_cbranch_vccz .LBB23_472
; %bb.461:
	global_load_ubyte v4, v[2:3], off
	s_movk_i32 s0, 0x7f
                                        ; implicit-def: $sgpr12
	s_waitcnt vmcnt(0)
	v_cmp_lt_i16_e32 vcc, s0, v4
	s_mov_b64 s[0:1], 0
	s_and_saveexec_b64 s[8:9], vcc
	s_xor_b64 s[8:9], exec, s[8:9]
	s_cbranch_execz .LBB23_484
; %bb.462:
	s_movk_i32 s0, 0x80
	v_cmp_eq_u16_e32 vcc, s0, v4
	s_mov_b64 s[0:1], -1
                                        ; implicit-def: $sgpr12
	s_and_saveexec_b64 s[10:11], vcc
; %bb.463:
	s_movk_i32 s12, 0x7e00
	s_xor_b64 s[0:1], exec, -1
; %bb.464:
	s_or_b64 exec, exec, s[10:11]
	s_and_b64 s[0:1], s[0:1], exec
	s_or_saveexec_b64 s[8:9], s[8:9]
	v_mov_b32_e32 v1, s12
	s_xor_b64 exec, exec, s[8:9]
	s_cbranch_execnz .LBB23_485
.LBB23_465:
	s_or_b64 exec, exec, s[8:9]
	s_and_saveexec_b64 s[8:9], s[0:1]
	s_cbranch_execz .LBB23_467
.LBB23_466:
	v_lshlrev_b32_e32 v1, 24, v4
	v_and_b32_e32 v4, 0xffff, v4
	v_and_b32_e32 v5, 3, v4
	v_ffbh_u32_e32 v7, v5
	v_min_u32_e32 v7, 32, v7
	v_subrev_u32_e32 v9, 29, v7
	v_bfe_u32 v6, v4, 2, 5
	v_lshlrev_b32_e32 v4, v9, v4
	v_sub_u32_e32 v7, 30, v7
	v_and_b32_e32 v4, 3, v4
	v_cmp_eq_u32_e32 vcc, 0, v6
	v_cndmask_b32_e32 v6, v6, v7, vcc
	v_cndmask_b32_e32 v4, v5, v4, vcc
	v_mov_b32_e32 v5, 0x37800000
	v_lshlrev_b32_e32 v4, 21, v4
	v_and_b32_e32 v1, 0x80000000, v1
	v_lshl_add_u32 v5, v6, 23, v5
	v_or3_b32 v1, v1, v5, v4
	v_cvt_f16_f32_e32 v1, v1
.LBB23_467:
	s_or_b64 exec, exec, s[8:9]
	s_mov_b64 s[0:1], 0
	s_branch .LBB23_473
.LBB23_468:
	s_mov_b64 s[8:9], -1
                                        ; implicit-def: $vgpr1
	s_branch .LBB23_479
.LBB23_469:
	s_or_saveexec_b64 s[8:9], s[8:9]
	v_mov_b32_e32 v1, s12
	s_xor_b64 exec, exec, s[8:9]
	s_cbranch_execz .LBB23_452
.LBB23_470:
	v_cmp_ne_u16_e32 vcc, 0, v4
	s_andn2_b64 s[0:1], s[0:1], exec
	s_and_b64 s[10:11], vcc, exec
	s_or_b64 s[0:1], s[0:1], s[10:11]
	v_mov_b32_e32 v1, v4
	s_or_b64 exec, exec, s[8:9]
	s_and_saveexec_b64 s[8:9], s[0:1]
	s_cbranch_execnz .LBB23_453
	s_branch .LBB23_454
.LBB23_471:
	s_mov_b64 s[0:1], -1
                                        ; implicit-def: $vgpr1
	s_branch .LBB23_476
.LBB23_472:
	s_mov_b64 s[0:1], -1
                                        ; implicit-def: $vgpr1
.LBB23_473:
	s_and_b64 vcc, exec, s[0:1]
	s_cbranch_vccz .LBB23_475
; %bb.474:
	global_load_ubyte v1, v[2:3], off
	s_mov_b32 s0, 0x7f800000
	s_waitcnt vmcnt(0)
	v_lshlrev_b32_e32 v1, 24, v1
	v_and_b32_e32 v4, 0x7f000000, v1
	v_ffbh_u32_e32 v5, v4
	v_min_u32_e32 v5, 32, v5
	v_sub_u32_e64 v5, v5, 4 clamp
	v_lshlrev_b32_e32 v7, v5, v4
	v_lshlrev_b32_e32 v5, 23, v5
	v_lshrrev_b32_e32 v7, 4, v7
	v_add_u32_e32 v6, 0x1000000, v4
	v_sub_u32_e32 v5, v7, v5
	v_ashrrev_i32_e32 v6, 8, v6
	v_add_u32_e32 v5, 0x3c000000, v5
	v_and_or_b32 v5, v6, s0, v5
	v_cmp_ne_u32_e32 vcc, 0, v4
	v_cndmask_b32_e32 v4, 0, v5, vcc
	s_brev_b32 s0, 1
	v_and_or_b32 v1, v1, s0, v4
	v_cvt_f16_f32_e32 v1, v1
.LBB23_475:
	s_mov_b64 s[0:1], 0
.LBB23_476:
	s_andn2_b64 vcc, exec, s[0:1]
	s_cbranch_vccnz .LBB23_478
; %bb.477:
	global_load_ubyte v1, v[2:3], off
	s_movk_i32 s0, 0x7f00
	s_brev_b32 s1, 16
	s_waitcnt vmcnt(0)
	v_lshlrev_b16_e32 v4, 8, v1
	v_lshlrev_b32_e32 v1, 25, v1
	v_lshrrev_b32_e32 v5, 4, v1
	v_and_or_b32 v6, v4, s0, 0.5
	v_or_b32_e32 v5, 0x70000000, v5
	v_add_f32_e32 v6, -0.5, v6
	v_mul_f32_e32 v5, 0x7800000, v5
	v_cmp_gt_u32_e32 vcc, s1, v1
	v_bfe_i32 v4, v4, 0, 16
	v_cndmask_b32_e32 v1, v5, v6, vcc
	s_brev_b32 s0, 1
	v_and_or_b32 v1, v4, s0, v1
	v_cvt_f16_f32_e32 v1, v1
.LBB23_478:
	s_mov_b64 s[8:9], 0
	s_mov_b64 s[0:1], -1
.LBB23_479:
	s_andn2_b64 vcc, exec, s[8:9]
	s_cbranch_vccnz .LBB23_492
; %bb.480:
	v_cmp_gt_i16_e64 s[8:9], s77, 14
	s_and_b64 vcc, exec, s[8:9]
	s_cbranch_vccz .LBB23_483
; %bb.481:
	v_cmp_eq_u16_e64 s[2:3], s77, 15
	s_and_b64 vcc, exec, s[2:3]
	s_cbranch_vccz .LBB23_486
; %bb.482:
	global_load_ushort v1, v[2:3], off
	s_mov_b64 s[0:1], -1
	s_mov_b64 s[2:3], 0
	s_waitcnt vmcnt(0)
	v_lshlrev_b32_e32 v1, 16, v1
	v_cvt_f16_f32_e32 v1, v1
	s_branch .LBB23_487
.LBB23_483:
	s_mov_b64 s[8:9], -1
                                        ; implicit-def: $vgpr1
	s_branch .LBB23_488
.LBB23_484:
	s_or_saveexec_b64 s[8:9], s[8:9]
	v_mov_b32_e32 v1, s12
	s_xor_b64 exec, exec, s[8:9]
	s_cbranch_execz .LBB23_465
.LBB23_485:
	v_cmp_ne_u16_e32 vcc, 0, v4
	s_andn2_b64 s[0:1], s[0:1], exec
	s_and_b64 s[10:11], vcc, exec
	s_or_b64 s[0:1], s[0:1], s[10:11]
	v_mov_b32_e32 v1, v4
	s_or_b64 exec, exec, s[8:9]
	s_and_saveexec_b64 s[8:9], s[0:1]
	s_cbranch_execnz .LBB23_466
	s_branch .LBB23_467
.LBB23_486:
	s_mov_b64 s[2:3], -1
                                        ; implicit-def: $vgpr1
.LBB23_487:
	s_mov_b64 s[8:9], 0
.LBB23_488:
	s_and_b64 vcc, exec, s[8:9]
	s_cbranch_vccz .LBB23_492
; %bb.489:
	v_cmp_eq_u16_e64 s[2:3], s77, 11
	s_and_b64 vcc, exec, s[2:3]
	s_cbranch_vccz .LBB23_491
; %bb.490:
	global_load_ubyte v1, v[2:3], off
	v_mov_b32_e32 v4, 0x3c00
	s_mov_b64 s[0:1], -1
	s_mov_b64 s[2:3], 0
	s_waitcnt vmcnt(0)
	v_cmp_ne_u16_e32 vcc, 0, v1
	v_cndmask_b32_e32 v1, 0, v4, vcc
	s_branch .LBB23_492
.LBB23_491:
	s_mov_b64 s[2:3], -1
                                        ; implicit-def: $vgpr1
.LBB23_492:
	s_branch .LBB23_295
.LBB23_493:
	v_cmp_lt_i16_e64 s[0:1], s77, 5
	s_and_b64 vcc, exec, s[0:1]
	s_cbranch_vccnz .LBB23_498
; %bb.494:
	v_cmp_lt_i16_e64 s[0:1], s77, 8
	s_and_b64 vcc, exec, s[0:1]
	s_cbranch_vccnz .LBB23_499
; %bb.495:
	;; [unrolled: 4-line block ×3, first 2 shown]
	v_cmp_gt_i16_e64 s[0:1], s77, 9
	s_and_b64 vcc, exec, s[0:1]
	s_cbranch_vccz .LBB23_501
; %bb.497:
	global_load_dwordx2 v[4:5], v[2:3], off
	s_mov_b64 s[0:1], 0
	s_waitcnt vmcnt(0)
	v_cvt_f32_f64_e32 v1, v[4:5]
	v_cvt_f16_f32_e32 v1, v1
	s_branch .LBB23_502
.LBB23_498:
	s_mov_b64 s[0:1], -1
                                        ; implicit-def: $vgpr1
	s_branch .LBB23_520
.LBB23_499:
	s_mov_b64 s[0:1], -1
                                        ; implicit-def: $vgpr1
	s_branch .LBB23_508
.LBB23_500:
	s_mov_b64 s[0:1], -1
                                        ; implicit-def: $vgpr1
	s_branch .LBB23_505
.LBB23_501:
	s_mov_b64 s[0:1], -1
                                        ; implicit-def: $vgpr1
.LBB23_502:
	s_andn2_b64 vcc, exec, s[0:1]
	s_cbranch_vccnz .LBB23_504
; %bb.503:
	global_load_dword v1, v[2:3], off
	s_waitcnt vmcnt(0)
	v_cvt_f16_f32_e32 v1, v1
.LBB23_504:
	s_mov_b64 s[0:1], 0
.LBB23_505:
	s_andn2_b64 vcc, exec, s[0:1]
	s_cbranch_vccnz .LBB23_507
; %bb.506:
	global_load_dword v1, v[2:3], off
.LBB23_507:
	s_mov_b64 s[0:1], 0
.LBB23_508:
	s_andn2_b64 vcc, exec, s[0:1]
	s_cbranch_vccnz .LBB23_519
; %bb.509:
	v_cmp_lt_i16_e64 s[0:1], s77, 6
	s_and_b64 vcc, exec, s[0:1]
	s_cbranch_vccnz .LBB23_512
; %bb.510:
	v_cmp_gt_i16_e64 s[0:1], s77, 6
	s_and_b64 vcc, exec, s[0:1]
	s_cbranch_vccz .LBB23_513
; %bb.511:
	global_load_dwordx2 v[4:5], v[2:3], off
	s_mov_b64 s[0:1], 0
	s_waitcnt vmcnt(0)
	v_cvt_f32_f64_e32 v1, v[4:5]
	v_cvt_f16_f32_e32 v1, v1
	s_branch .LBB23_514
.LBB23_512:
	s_mov_b64 s[0:1], -1
                                        ; implicit-def: $vgpr1
	s_branch .LBB23_517
.LBB23_513:
	s_mov_b64 s[0:1], -1
                                        ; implicit-def: $vgpr1
.LBB23_514:
	s_andn2_b64 vcc, exec, s[0:1]
	s_cbranch_vccnz .LBB23_516
; %bb.515:
	global_load_dword v1, v[2:3], off
	s_waitcnt vmcnt(0)
	v_cvt_f16_f32_e32 v1, v1
.LBB23_516:
	s_mov_b64 s[0:1], 0
.LBB23_517:
	s_andn2_b64 vcc, exec, s[0:1]
	s_cbranch_vccnz .LBB23_519
; %bb.518:
	global_load_ushort v1, v[2:3], off
.LBB23_519:
	s_mov_b64 s[0:1], 0
.LBB23_520:
	s_andn2_b64 vcc, exec, s[0:1]
	s_cbranch_vccnz .LBB23_540
; %bb.521:
	v_cmp_lt_i16_e64 s[0:1], s77, 2
	s_and_b64 vcc, exec, s[0:1]
	s_cbranch_vccnz .LBB23_525
; %bb.522:
	v_cmp_lt_i16_e64 s[0:1], s77, 3
	s_and_b64 vcc, exec, s[0:1]
	s_cbranch_vccnz .LBB23_526
; %bb.523:
	v_cmp_gt_i16_e64 s[0:1], s77, 3
	s_and_b64 vcc, exec, s[0:1]
	s_cbranch_vccz .LBB23_527
; %bb.524:
	global_load_dwordx2 v[4:5], v[2:3], off
	s_mov_b64 s[0:1], 0
	s_waitcnt vmcnt(0)
	v_xor_b32_e32 v6, v4, v5
	v_ffbh_i32_e32 v1, v5
	v_ashrrev_i32_e32 v6, 31, v6
	v_add_u32_e32 v1, -1, v1
	v_add_u32_e32 v6, 32, v6
	v_min_u32_e32 v1, v1, v6
	v_lshlrev_b64 v[4:5], v1, v[4:5]
	v_min_u32_e32 v4, 1, v4
	v_or_b32_e32 v4, v5, v4
	v_cvt_f32_i32_e32 v4, v4
	v_sub_u32_e32 v1, 32, v1
	v_ldexp_f32 v1, v4, v1
	v_cvt_f16_f32_e32 v1, v1
	s_branch .LBB23_528
.LBB23_525:
	s_mov_b64 s[0:1], -1
                                        ; implicit-def: $vgpr1
	s_branch .LBB23_534
.LBB23_526:
	s_mov_b64 s[0:1], -1
                                        ; implicit-def: $vgpr1
	s_branch .LBB23_531
.LBB23_527:
	s_mov_b64 s[0:1], -1
                                        ; implicit-def: $vgpr1
.LBB23_528:
	s_andn2_b64 vcc, exec, s[0:1]
	s_cbranch_vccnz .LBB23_530
; %bb.529:
	global_load_dword v1, v[2:3], off
	s_waitcnt vmcnt(0)
	v_cvt_f32_i32_e32 v1, v1
	v_cvt_f16_f32_e32 v1, v1
.LBB23_530:
	s_mov_b64 s[0:1], 0
.LBB23_531:
	s_andn2_b64 vcc, exec, s[0:1]
	s_cbranch_vccnz .LBB23_533
; %bb.532:
	global_load_ushort v1, v[2:3], off
	s_waitcnt vmcnt(0)
	v_cvt_f16_i16_e32 v1, v1
.LBB23_533:
	s_mov_b64 s[0:1], 0
.LBB23_534:
	s_andn2_b64 vcc, exec, s[0:1]
	s_cbranch_vccnz .LBB23_540
; %bb.535:
	v_cmp_gt_i16_e64 s[0:1], s77, 0
	s_and_b64 vcc, exec, s[0:1]
	s_cbranch_vccz .LBB23_537
; %bb.536:
	global_load_sbyte v1, v[2:3], off
	s_mov_b64 s[0:1], 0
	s_waitcnt vmcnt(0)
	v_cvt_f16_i16_e32 v1, v1
	s_branch .LBB23_538
.LBB23_537:
	s_mov_b64 s[0:1], -1
                                        ; implicit-def: $vgpr1
.LBB23_538:
	s_andn2_b64 vcc, exec, s[0:1]
	s_cbranch_vccnz .LBB23_540
; %bb.539:
	global_load_ubyte v1, v[2:3], off
	s_waitcnt vmcnt(0)
	v_cvt_f16_u16_e32 v1, v1
.LBB23_540:
	s_branch .LBB23_296
.LBB23_541:
	s_mov_b64 s[8:9], 0
	s_mov_b64 s[0:1], s[52:53]
.LBB23_542:
                                        ; implicit-def: $vgpr8
.LBB23_543:
	s_andn2_b64 s[10:11], s[52:53], exec
	s_and_b64 s[0:1], s[0:1], exec
	s_or_b64 s[60:61], s[10:11], s[0:1]
	s_andn2_b64 s[0:1], s[54:55], exec
	s_and_b64 s[2:3], s[2:3], exec
	s_or_b64 s[58:59], s[0:1], s[2:3]
	s_orn2_b64 s[0:1], s[8:9], exec
.LBB23_544:
	s_or_b64 exec, exec, s[62:63]
	s_mov_b64 s[2:3], 0
	s_mov_b64 s[8:9], 0
	;; [unrolled: 1-line block ×3, first 2 shown]
                                        ; implicit-def: $vgpr2_vgpr3
                                        ; implicit-def: $vgpr0
                                        ; implicit-def: $vgpr5
	s_and_saveexec_b64 s[62:63], s[0:1]
	s_cbranch_execz .LBB23_921
; %bb.545:
	v_cmp_gt_i32_e32 vcc, s72, v8
	s_mov_b64 s[2:3], -1
	s_mov_b64 s[66:67], s[58:59]
	s_mov_b64 s[68:69], s[60:61]
	s_and_saveexec_b64 s[64:65], vcc
	s_cbranch_execz .LBB23_820
; %bb.546:
	s_andn2_b64 vcc, exec, s[40:41]
	s_cbranch_vccnz .LBB23_552
; %bb.547:
	s_mov_b32 s66, 0
	s_andn2_b64 vcc, exec, s[50:51]
	v_mov_b32_e32 v2, 0
	v_mov_b32_e32 v0, 0
	s_cbranch_vccnz .LBB23_558
; %bb.548:
	s_add_i32 s78, s73, 1
	s_cmp_eq_u32 s74, 2
	s_cbranch_scc1 .LBB23_553
; %bb.549:
	s_and_b32 s66, s78, 28
	s_mov_b32 s67, 0
	v_mov_b32_e32 v0, 0
	s_mov_b64 s[68:69], s[34:35]
	s_mov_b64 s[70:71], s[48:49]
	v_mov_b32_e32 v3, v8
	v_mov_b32_e32 v2, 0
.LBB23_550:                             ; =>This Inner Loop Header: Depth=1
	s_load_dwordx8 s[16:23], s[68:69], 0x4
	s_load_dwordx4 s[0:3], s[68:69], 0x24
	s_load_dwordx8 s[8:15], s[70:71], 0x0
	s_add_u32 s68, s68, 48
	s_addc_u32 s69, s69, 0
	s_waitcnt vmcnt(0) lgkmcnt(0)
	v_mul_hi_u32 v1, s17, v3
	v_add_u32_e32 v1, v3, v1
	v_lshrrev_b32_e32 v1, s18, v1
	v_mul_lo_u32 v4, v1, s16
	v_mul_hi_u32 v5, s20, v1
	v_sub_u32_e32 v3, v3, v4
	v_add_u32_e32 v4, v1, v5
	v_lshrrev_b32_e32 v4, s21, v4
	v_mul_lo_u32 v6, v4, s19
	v_mul_hi_u32 v7, s23, v4
	v_sub_u32_e32 v1, v1, v6
	v_add_u32_e32 v6, v4, v7
	v_mul_lo_u32 v5, v3, s9
	v_mul_lo_u32 v3, v3, s8
	;; [unrolled: 1-line block ×4, first 2 shown]
	v_lshrrev_b32_e32 v6, s0, v6
	v_add3_u32 v0, v3, v0, v1
	v_mul_hi_u32 v3, s2, v6
	v_add_u32_e32 v3, v6, v3
	v_lshrrev_b32_e32 v3, s3, v3
	s_add_i32 s67, s67, 4
	v_add3_u32 v1, v5, v2, v7
	v_mul_lo_u32 v2, v6, s22
	v_mul_lo_u32 v5, v3, s1
	s_add_u32 s70, s70, 32
	v_sub_u32_e32 v2, v4, v2
	v_sub_u32_e32 v5, v6, v5
	s_addc_u32 s71, s71, 0
	v_mul_lo_u32 v4, v2, s12
	v_mul_lo_u32 v2, v2, s13
	;; [unrolled: 1-line block ×4, first 2 shown]
	s_cmp_eq_u32 s66, s67
	v_add3_u32 v2, v2, v1, v5
	v_add3_u32 v0, v4, v0, v6
	s_cbranch_scc0 .LBB23_550
; %bb.551:
	v_mov_b32_e32 v1, v2
	s_branch .LBB23_554
.LBB23_552:
	s_mov_b64 s[0:1], -1
                                        ; implicit-def: $vgpr2
                                        ; implicit-def: $vgpr0
	s_branch .LBB23_559
.LBB23_553:
	s_mov_b32 s67, s66
	s_waitcnt vmcnt(0)
	v_pk_mov_b32 v[0:1], s[66:67], s[66:67] op_sel:[0,1]
                                        ; implicit-def: $vgpr2
	v_mov_b32_e32 v3, v8
.LBB23_554:
	s_and_b32 s8, s78, 3
	s_cmp_eq_u32 s8, 0
	s_cbranch_scc1 .LBB23_558
; %bb.555:
	s_lshl_b32 s0, s66, 3
	s_add_u32 s0, s0, s34
	s_addc_u32 s1, s35, 0
	s_add_u32 s0, s0, 0xc4
	s_addc_u32 s1, s1, 0
	s_mul_i32 s2, s66, 12
	s_add_u32 s2, s34, s2
	s_addc_u32 s3, s35, 0
.LBB23_556:                             ; =>This Inner Loop Header: Depth=1
	s_load_dwordx2 s[10:11], s[2:3], 0x4
	s_load_dword s9, s[2:3], 0xc
	s_load_dwordx2 s[12:13], s[0:1], 0x0
	v_mov_b32_e32 v2, v1
	s_add_u32 s2, s2, 12
	s_waitcnt lgkmcnt(0)
	v_mul_hi_u32 v1, s11, v3
	v_add_u32_e32 v1, v3, v1
	v_lshrrev_b32_e32 v1, s9, v1
	s_addc_u32 s3, s3, 0
	v_mul_lo_u32 v4, v1, s10
	s_add_u32 s0, s0, 8
	v_sub_u32_e32 v6, v3, v4
	v_mov_b32_e32 v3, v1
	s_addc_u32 s1, s1, 0
	s_add_i32 s8, s8, -1
	v_mad_u64_u32 v[4:5], s[10:11], v6, s13, v[2:3]
	v_mad_u64_u32 v[0:1], s[10:11], v6, s12, v[0:1]
	s_cmp_lg_u32 s8, 0
	v_mov_b32_e32 v1, v4
	s_cbranch_scc1 .LBB23_556
; %bb.557:
	v_mov_b32_e32 v2, v1
.LBB23_558:
	s_mov_b64 s[0:1], 0
.LBB23_559:
	s_andn2_b64 vcc, exec, s[0:1]
	s_cbranch_vccnz .LBB23_562
; %bb.560:
	v_mul_hi_u32 v0, s29, v8
	v_add_u32_e32 v0, v8, v0
	s_waitcnt vmcnt(0)
	v_lshrrev_b32_e32 v1, s30, v0
	v_mul_lo_u32 v0, v1, s28
	v_sub_u32_e32 v0, v8, v0
	v_mul_lo_u32 v2, v0, s37
	s_andn2_b64 vcc, exec, s[44:45]
	v_mul_lo_u32 v0, v0, s36
	s_cbranch_vccnz .LBB23_562
; %bb.561:
	v_mul_hi_u32 v3, s46, v1
	v_add_u32_e32 v3, v1, v3
	v_lshrrev_b32_e32 v3, s47, v3
	v_mul_lo_u32 v3, v3, s31
	v_sub_u32_e32 v3, v1, v3
	v_mad_u64_u32 v[0:1], s[0:1], v3, s38, v[0:1]
	v_mad_u64_u32 v[2:3], s[0:1], v3, s39, v[2:3]
.LBB23_562:
	s_waitcnt vmcnt(0)
	v_mov_b32_e32 v1, s27
	v_add_co_u32_e32 v2, vcc, s26, v2
	v_addc_co_u32_e32 v3, vcc, 0, v1, vcc
	v_cmp_lt_i16_e64 s[0:1], s77, 11
	s_and_b64 vcc, exec, s[0:1]
	s_cbranch_vccnz .LBB23_569
; %bb.563:
	v_cmp_gt_i16_e64 s[0:1], s77, 25
	s_and_b64 vcc, exec, s[0:1]
	s_cbranch_vccz .LBB23_570
; %bb.564:
	v_cmp_gt_i16_e64 s[0:1], s77, 28
	s_and_b64 vcc, exec, s[0:1]
	s_cbranch_vccz .LBB23_571
	;; [unrolled: 4-line block ×4, first 2 shown]
; %bb.567:
	v_cmp_eq_u16_e64 s[0:1], s77, 46
	s_mov_b64 s[8:9], 0
	s_and_b64 vcc, exec, s[0:1]
	s_cbranch_vccz .LBB23_578
; %bb.568:
	global_load_dword v1, v[2:3], off
	s_mov_b64 s[0:1], -1
	s_mov_b64 s[2:3], 0
	s_waitcnt vmcnt(0)
	v_lshlrev_b32_e32 v1, 16, v1
	v_cvt_f16_f32_e32 v1, v1
	s_branch .LBB23_579
.LBB23_569:
	s_mov_b64 s[8:9], -1
	s_mov_b64 s[0:1], 0
                                        ; implicit-def: $vgpr1
	s_mov_b64 s[2:3], s[58:59]
	s_branch .LBB23_644
.LBB23_570:
	s_mov_b64 s[8:9], -1
	s_mov_b64 s[0:1], 0
	s_mov_b64 s[2:3], s[58:59]
                                        ; implicit-def: $vgpr1
	s_branch .LBB23_608
.LBB23_571:
	s_mov_b64 s[8:9], -1
	s_mov_b64 s[0:1], 0
	s_mov_b64 s[2:3], s[58:59]
                                        ; implicit-def: $vgpr1
	s_branch .LBB23_589
.LBB23_572:
	s_mov_b64 s[8:9], -1
	s_mov_b64 s[0:1], 0
	s_mov_b64 s[2:3], s[58:59]
                                        ; implicit-def: $vgpr1
	s_branch .LBB23_584
.LBB23_573:
	s_or_saveexec_b64 s[12:13], s[12:13]
                                        ; implicit-def: $sgpr14
	s_xor_b64 exec, exec, s[12:13]
	s_cbranch_execz .LBB23_341
.LBB23_574:
	s_mov_b32 s14, 0x46000000
	v_add_f32_e64 v4, |v3|, s14
	v_and_b32_e32 v4, 0xff, v4
	v_cmp_ne_u32_e32 vcc, 0, v4
	s_andn2_b64 s[10:11], s[10:11], exec
	s_and_b64 s[16:17], vcc, exec
	s_mov_b32 s14, 0
	s_or_b64 s[10:11], s[10:11], s[16:17]
	s_or_b64 exec, exec, s[12:13]
	v_mov_b32_e32 v5, s14
	s_and_saveexec_b64 s[12:13], s[10:11]
	s_cbranch_execnz .LBB23_342
	s_branch .LBB23_343
.LBB23_575:
	s_mov_b64 s[8:9], -1
	s_mov_b64 s[0:1], 0
	s_mov_b64 s[2:3], s[58:59]
                                        ; implicit-def: $vgpr1
	s_branch .LBB23_579
.LBB23_576:
	s_or_saveexec_b64 s[12:13], s[12:13]
                                        ; implicit-def: $sgpr14
	s_xor_b64 exec, exec, s[12:13]
	s_cbranch_execz .LBB23_354
.LBB23_577:
	s_mov_b32 s14, 0x42800000
	v_add_f32_e64 v4, |v3|, s14
	v_and_b32_e32 v4, 0xff, v4
	v_cmp_ne_u32_e32 vcc, 0, v4
	s_andn2_b64 s[10:11], s[10:11], exec
	s_and_b64 s[16:17], vcc, exec
	s_mov_b32 s14, 0
	s_or_b64 s[10:11], s[10:11], s[16:17]
	s_or_b64 exec, exec, s[12:13]
	v_mov_b32_e32 v5, s14
	s_and_saveexec_b64 s[12:13], s[10:11]
	s_cbranch_execnz .LBB23_355
	s_branch .LBB23_356
.LBB23_578:
	s_mov_b64 s[2:3], -1
                                        ; implicit-def: $vgpr1
	s_mov_b64 s[0:1], 0
.LBB23_579:
	s_and_b64 vcc, exec, s[8:9]
	s_cbranch_vccz .LBB23_583
; %bb.580:
	v_cmp_eq_u16_e64 s[2:3], s77, 44
	s_and_b64 vcc, exec, s[2:3]
	s_cbranch_vccz .LBB23_582
; %bb.581:
	global_load_ubyte v1, v[2:3], off
	s_movk_i32 s2, 0xff
	v_mov_b32_e32 v5, 0x7e00
	s_mov_b64 s[0:1], -1
	s_waitcnt vmcnt(0)
	v_lshlrev_b32_e32 v4, 23, v1
	v_cvt_f16_f32_e32 v4, v4
	v_cmp_ne_u32_e32 vcc, s2, v1
	s_mov_b64 s[2:3], 0
	v_cndmask_b32_e32 v4, v5, v4, vcc
	v_cmp_ne_u32_e32 vcc, 0, v1
	v_cndmask_b32_e32 v1, 0, v4, vcc
	s_branch .LBB23_583
.LBB23_582:
	s_mov_b64 s[2:3], -1
                                        ; implicit-def: $vgpr1
.LBB23_583:
	s_mov_b64 s[8:9], 0
.LBB23_584:
	s_and_b64 vcc, exec, s[8:9]
	s_cbranch_vccz .LBB23_588
; %bb.585:
	v_cmp_eq_u16_e64 s[2:3], s77, 29
	s_and_b64 vcc, exec, s[2:3]
	s_cbranch_vccz .LBB23_587
; %bb.586:
	global_load_dwordx2 v[4:5], v[2:3], off
	s_mov_b64 s[0:1], -1
	s_mov_b64 s[2:3], 0
	s_mov_b64 s[8:9], 0
	s_waitcnt vmcnt(0)
	v_ffbh_u32_e32 v1, v5
	v_min_u32_e32 v1, 32, v1
	v_lshlrev_b64 v[4:5], v1, v[4:5]
	v_min_u32_e32 v4, 1, v4
	v_or_b32_e32 v4, v5, v4
	v_cvt_f32_u32_e32 v4, v4
	v_sub_u32_e32 v1, 32, v1
	v_ldexp_f32 v1, v4, v1
	v_cvt_f16_f32_e32 v1, v1
	s_branch .LBB23_589
.LBB23_587:
	s_mov_b64 s[2:3], -1
                                        ; implicit-def: $vgpr1
.LBB23_588:
	s_mov_b64 s[8:9], 0
.LBB23_589:
	s_and_b64 vcc, exec, s[8:9]
	s_cbranch_vccz .LBB23_607
; %bb.590:
	v_cmp_lt_i16_e64 s[0:1], s77, 27
	s_and_b64 vcc, exec, s[0:1]
	s_cbranch_vccnz .LBB23_593
; %bb.591:
	v_cmp_gt_i16_e64 s[0:1], s77, 27
	s_and_b64 vcc, exec, s[0:1]
	s_cbranch_vccz .LBB23_594
; %bb.592:
	global_load_dword v1, v[2:3], off
	s_mov_b64 s[0:1], 0
	s_waitcnt vmcnt(0)
	v_cvt_f32_u32_e32 v1, v1
	v_cvt_f16_f32_e32 v1, v1
	s_branch .LBB23_595
.LBB23_593:
	s_mov_b64 s[0:1], -1
                                        ; implicit-def: $vgpr1
	s_branch .LBB23_598
.LBB23_594:
	s_mov_b64 s[0:1], -1
                                        ; implicit-def: $vgpr1
.LBB23_595:
	s_andn2_b64 vcc, exec, s[0:1]
	s_cbranch_vccnz .LBB23_597
; %bb.596:
	global_load_ushort v1, v[2:3], off
	s_waitcnt vmcnt(0)
	v_cvt_f16_u16_e32 v1, v1
.LBB23_597:
	s_mov_b64 s[0:1], 0
.LBB23_598:
	s_andn2_b64 vcc, exec, s[0:1]
	s_cbranch_vccnz .LBB23_606
; %bb.599:
	global_load_ubyte v4, v[2:3], off
	s_movk_i32 s0, 0x7f
                                        ; implicit-def: $sgpr12
	s_waitcnt vmcnt(0)
	v_cmp_lt_i16_e32 vcc, s0, v4
	s_mov_b64 s[0:1], 0
	s_and_saveexec_b64 s[8:9], vcc
	s_xor_b64 s[8:9], exec, s[8:9]
	s_cbranch_execz .LBB23_620
; %bb.600:
	s_movk_i32 s0, 0x80
	v_cmp_eq_u16_e32 vcc, s0, v4
	s_mov_b64 s[0:1], -1
                                        ; implicit-def: $sgpr12
	s_and_saveexec_b64 s[10:11], vcc
; %bb.601:
	s_movk_i32 s12, 0x7e00
	s_xor_b64 s[0:1], exec, -1
; %bb.602:
	s_or_b64 exec, exec, s[10:11]
	s_and_b64 s[0:1], s[0:1], exec
	s_or_saveexec_b64 s[8:9], s[8:9]
	v_mov_b32_e32 v1, s12
	s_xor_b64 exec, exec, s[8:9]
	s_cbranch_execnz .LBB23_621
.LBB23_603:
	s_or_b64 exec, exec, s[8:9]
	s_and_saveexec_b64 s[8:9], s[0:1]
	s_cbranch_execz .LBB23_605
.LBB23_604:
	v_lshlrev_b32_e32 v1, 24, v4
	v_and_b32_e32 v4, 0xffff, v4
	v_and_b32_e32 v5, 7, v4
	v_ffbh_u32_e32 v7, v5
	v_min_u32_e32 v7, 32, v7
	v_subrev_u32_e32 v9, 28, v7
	v_bfe_u32 v6, v4, 3, 4
	v_lshlrev_b32_e32 v4, v9, v4
	v_sub_u32_e32 v7, 29, v7
	v_and_b32_e32 v4, 7, v4
	v_cmp_eq_u32_e32 vcc, 0, v6
	v_cndmask_b32_e32 v6, v6, v7, vcc
	v_cndmask_b32_e32 v4, v5, v4, vcc
	v_mov_b32_e32 v5, 0x3b800000
	v_lshlrev_b32_e32 v4, 20, v4
	v_and_b32_e32 v1, 0x80000000, v1
	v_lshl_add_u32 v5, v6, 23, v5
	v_or3_b32 v1, v1, v5, v4
	v_cvt_f16_f32_e32 v1, v1
.LBB23_605:
	s_or_b64 exec, exec, s[8:9]
.LBB23_606:
	s_mov_b64 s[0:1], -1
.LBB23_607:
	s_mov_b64 s[8:9], 0
.LBB23_608:
	s_and_b64 vcc, exec, s[8:9]
	s_cbranch_vccz .LBB23_643
; %bb.609:
	v_cmp_gt_i16_e64 s[8:9], s77, 22
	s_and_b64 vcc, exec, s[8:9]
	s_cbranch_vccz .LBB23_619
; %bb.610:
	v_cmp_lt_i16_e64 s[0:1], s77, 24
	s_and_b64 vcc, exec, s[0:1]
	s_cbranch_vccnz .LBB23_622
; %bb.611:
	v_cmp_gt_i16_e64 s[0:1], s77, 24
	s_and_b64 vcc, exec, s[0:1]
	s_cbranch_vccz .LBB23_623
; %bb.612:
	global_load_ubyte v4, v[2:3], off
	s_movk_i32 s0, 0x7f
                                        ; implicit-def: $sgpr12
	s_waitcnt vmcnt(0)
	v_cmp_lt_i16_e32 vcc, s0, v4
	s_mov_b64 s[0:1], 0
	s_and_saveexec_b64 s[8:9], vcc
	s_xor_b64 s[8:9], exec, s[8:9]
	s_cbranch_execz .LBB23_635
; %bb.613:
	s_movk_i32 s0, 0x80
	v_cmp_eq_u16_e32 vcc, s0, v4
	s_mov_b64 s[0:1], -1
                                        ; implicit-def: $sgpr12
	s_and_saveexec_b64 s[10:11], vcc
; %bb.614:
	s_movk_i32 s12, 0x7e00
	s_xor_b64 s[0:1], exec, -1
; %bb.615:
	s_or_b64 exec, exec, s[10:11]
	s_and_b64 s[0:1], s[0:1], exec
	s_or_saveexec_b64 s[8:9], s[8:9]
	v_mov_b32_e32 v1, s12
	s_xor_b64 exec, exec, s[8:9]
	s_cbranch_execnz .LBB23_636
.LBB23_616:
	s_or_b64 exec, exec, s[8:9]
	s_and_saveexec_b64 s[8:9], s[0:1]
	s_cbranch_execz .LBB23_618
.LBB23_617:
	v_lshlrev_b32_e32 v1, 24, v4
	v_and_b32_e32 v4, 0xffff, v4
	v_and_b32_e32 v5, 3, v4
	v_ffbh_u32_e32 v7, v5
	v_min_u32_e32 v7, 32, v7
	v_subrev_u32_e32 v9, 29, v7
	v_bfe_u32 v6, v4, 2, 5
	v_lshlrev_b32_e32 v4, v9, v4
	v_sub_u32_e32 v7, 30, v7
	v_and_b32_e32 v4, 3, v4
	v_cmp_eq_u32_e32 vcc, 0, v6
	v_cndmask_b32_e32 v6, v6, v7, vcc
	v_cndmask_b32_e32 v4, v5, v4, vcc
	v_mov_b32_e32 v5, 0x37800000
	v_lshlrev_b32_e32 v4, 21, v4
	v_and_b32_e32 v1, 0x80000000, v1
	v_lshl_add_u32 v5, v6, 23, v5
	v_or3_b32 v1, v1, v5, v4
	v_cvt_f16_f32_e32 v1, v1
.LBB23_618:
	s_or_b64 exec, exec, s[8:9]
	s_mov_b64 s[0:1], 0
	s_branch .LBB23_624
.LBB23_619:
	s_mov_b64 s[8:9], -1
                                        ; implicit-def: $vgpr1
	s_branch .LBB23_630
.LBB23_620:
	s_or_saveexec_b64 s[8:9], s[8:9]
	v_mov_b32_e32 v1, s12
	s_xor_b64 exec, exec, s[8:9]
	s_cbranch_execz .LBB23_603
.LBB23_621:
	v_cmp_ne_u16_e32 vcc, 0, v4
	s_andn2_b64 s[0:1], s[0:1], exec
	s_and_b64 s[10:11], vcc, exec
	s_or_b64 s[0:1], s[0:1], s[10:11]
	v_mov_b32_e32 v1, v4
	s_or_b64 exec, exec, s[8:9]
	s_and_saveexec_b64 s[8:9], s[0:1]
	s_cbranch_execnz .LBB23_604
	s_branch .LBB23_605
.LBB23_622:
	s_mov_b64 s[0:1], -1
                                        ; implicit-def: $vgpr1
	s_branch .LBB23_627
.LBB23_623:
	s_mov_b64 s[0:1], -1
                                        ; implicit-def: $vgpr1
.LBB23_624:
	s_and_b64 vcc, exec, s[0:1]
	s_cbranch_vccz .LBB23_626
; %bb.625:
	global_load_ubyte v1, v[2:3], off
	s_mov_b32 s0, 0x7f800000
	s_waitcnt vmcnt(0)
	v_lshlrev_b32_e32 v1, 24, v1
	v_and_b32_e32 v4, 0x7f000000, v1
	v_ffbh_u32_e32 v5, v4
	v_min_u32_e32 v5, 32, v5
	v_sub_u32_e64 v5, v5, 4 clamp
	v_lshlrev_b32_e32 v7, v5, v4
	v_lshlrev_b32_e32 v5, 23, v5
	v_lshrrev_b32_e32 v7, 4, v7
	v_add_u32_e32 v6, 0x1000000, v4
	v_sub_u32_e32 v5, v7, v5
	v_ashrrev_i32_e32 v6, 8, v6
	v_add_u32_e32 v5, 0x3c000000, v5
	v_and_or_b32 v5, v6, s0, v5
	v_cmp_ne_u32_e32 vcc, 0, v4
	v_cndmask_b32_e32 v4, 0, v5, vcc
	s_brev_b32 s0, 1
	v_and_or_b32 v1, v1, s0, v4
	v_cvt_f16_f32_e32 v1, v1
.LBB23_626:
	s_mov_b64 s[0:1], 0
.LBB23_627:
	s_andn2_b64 vcc, exec, s[0:1]
	s_cbranch_vccnz .LBB23_629
; %bb.628:
	global_load_ubyte v1, v[2:3], off
	s_movk_i32 s0, 0x7f00
	s_brev_b32 s1, 16
	s_waitcnt vmcnt(0)
	v_lshlrev_b16_e32 v4, 8, v1
	v_lshlrev_b32_e32 v1, 25, v1
	v_lshrrev_b32_e32 v5, 4, v1
	v_and_or_b32 v6, v4, s0, 0.5
	v_or_b32_e32 v5, 0x70000000, v5
	v_add_f32_e32 v6, -0.5, v6
	v_mul_f32_e32 v5, 0x7800000, v5
	v_cmp_gt_u32_e32 vcc, s1, v1
	v_bfe_i32 v4, v4, 0, 16
	v_cndmask_b32_e32 v1, v5, v6, vcc
	s_brev_b32 s0, 1
	v_and_or_b32 v1, v4, s0, v1
	v_cvt_f16_f32_e32 v1, v1
.LBB23_629:
	s_mov_b64 s[8:9], 0
	s_mov_b64 s[0:1], -1
.LBB23_630:
	s_andn2_b64 vcc, exec, s[8:9]
	s_cbranch_vccnz .LBB23_643
; %bb.631:
	v_cmp_gt_i16_e64 s[8:9], s77, 14
	s_and_b64 vcc, exec, s[8:9]
	s_cbranch_vccz .LBB23_634
; %bb.632:
	v_cmp_eq_u16_e64 s[2:3], s77, 15
	s_and_b64 vcc, exec, s[2:3]
	s_cbranch_vccz .LBB23_637
; %bb.633:
	global_load_ushort v1, v[2:3], off
	s_mov_b64 s[0:1], -1
	s_mov_b64 s[2:3], 0
	s_waitcnt vmcnt(0)
	v_lshlrev_b32_e32 v1, 16, v1
	v_cvt_f16_f32_e32 v1, v1
	s_branch .LBB23_638
.LBB23_634:
	s_mov_b64 s[8:9], -1
                                        ; implicit-def: $vgpr1
	s_branch .LBB23_639
.LBB23_635:
	s_or_saveexec_b64 s[8:9], s[8:9]
	v_mov_b32_e32 v1, s12
	s_xor_b64 exec, exec, s[8:9]
	s_cbranch_execz .LBB23_616
.LBB23_636:
	v_cmp_ne_u16_e32 vcc, 0, v4
	s_andn2_b64 s[0:1], s[0:1], exec
	s_and_b64 s[10:11], vcc, exec
	s_or_b64 s[0:1], s[0:1], s[10:11]
	v_mov_b32_e32 v1, v4
	s_or_b64 exec, exec, s[8:9]
	s_and_saveexec_b64 s[8:9], s[0:1]
	s_cbranch_execnz .LBB23_617
	s_branch .LBB23_618
.LBB23_637:
	s_mov_b64 s[2:3], -1
                                        ; implicit-def: $vgpr1
.LBB23_638:
	s_mov_b64 s[8:9], 0
.LBB23_639:
	s_and_b64 vcc, exec, s[8:9]
	s_cbranch_vccz .LBB23_643
; %bb.640:
	v_cmp_eq_u16_e64 s[2:3], s77, 11
	s_and_b64 vcc, exec, s[2:3]
	s_cbranch_vccz .LBB23_642
; %bb.641:
	global_load_ubyte v1, v[2:3], off
	v_mov_b32_e32 v4, 0x3c00
	s_mov_b64 s[0:1], -1
	s_mov_b64 s[2:3], 0
	s_waitcnt vmcnt(0)
	v_cmp_ne_u16_e32 vcc, 0, v1
	v_cndmask_b32_e32 v1, 0, v4, vcc
	s_branch .LBB23_643
.LBB23_642:
	s_mov_b64 s[2:3], -1
                                        ; implicit-def: $vgpr1
.LBB23_643:
	s_mov_b64 s[8:9], 0
.LBB23_644:
	s_and_b64 vcc, exec, s[8:9]
	s_cbranch_vccz .LBB23_693
; %bb.645:
	v_cmp_lt_i16_e64 s[0:1], s77, 5
	s_and_b64 vcc, exec, s[0:1]
	s_cbranch_vccnz .LBB23_650
; %bb.646:
	v_cmp_lt_i16_e64 s[0:1], s77, 8
	s_and_b64 vcc, exec, s[0:1]
	s_cbranch_vccnz .LBB23_651
	;; [unrolled: 4-line block ×3, first 2 shown]
; %bb.648:
	v_cmp_gt_i16_e64 s[0:1], s77, 9
	s_and_b64 vcc, exec, s[0:1]
	s_cbranch_vccz .LBB23_653
; %bb.649:
	global_load_dwordx2 v[4:5], v[2:3], off
	s_mov_b64 s[0:1], 0
	s_waitcnt vmcnt(0)
	v_cvt_f32_f64_e32 v1, v[4:5]
	v_cvt_f16_f32_e32 v1, v1
	s_branch .LBB23_654
.LBB23_650:
	s_mov_b64 s[0:1], -1
                                        ; implicit-def: $vgpr1
	s_branch .LBB23_672
.LBB23_651:
	s_mov_b64 s[0:1], -1
                                        ; implicit-def: $vgpr1
	s_branch .LBB23_660
.LBB23_652:
	s_mov_b64 s[0:1], -1
                                        ; implicit-def: $vgpr1
	s_branch .LBB23_657
.LBB23_653:
	s_mov_b64 s[0:1], -1
                                        ; implicit-def: $vgpr1
.LBB23_654:
	s_andn2_b64 vcc, exec, s[0:1]
	s_cbranch_vccnz .LBB23_656
; %bb.655:
	global_load_dword v1, v[2:3], off
	s_waitcnt vmcnt(0)
	v_cvt_f16_f32_e32 v1, v1
.LBB23_656:
	s_mov_b64 s[0:1], 0
.LBB23_657:
	s_andn2_b64 vcc, exec, s[0:1]
	s_cbranch_vccnz .LBB23_659
; %bb.658:
	global_load_dword v1, v[2:3], off
.LBB23_659:
	s_mov_b64 s[0:1], 0
.LBB23_660:
	s_andn2_b64 vcc, exec, s[0:1]
	s_cbranch_vccnz .LBB23_671
; %bb.661:
	v_cmp_lt_i16_e64 s[0:1], s77, 6
	s_and_b64 vcc, exec, s[0:1]
	s_cbranch_vccnz .LBB23_664
; %bb.662:
	v_cmp_gt_i16_e64 s[0:1], s77, 6
	s_and_b64 vcc, exec, s[0:1]
	s_cbranch_vccz .LBB23_665
; %bb.663:
	global_load_dwordx2 v[4:5], v[2:3], off
	s_mov_b64 s[0:1], 0
	s_waitcnt vmcnt(0)
	v_cvt_f32_f64_e32 v1, v[4:5]
	v_cvt_f16_f32_e32 v1, v1
	s_branch .LBB23_666
.LBB23_664:
	s_mov_b64 s[0:1], -1
                                        ; implicit-def: $vgpr1
	s_branch .LBB23_669
.LBB23_665:
	s_mov_b64 s[0:1], -1
                                        ; implicit-def: $vgpr1
.LBB23_666:
	s_andn2_b64 vcc, exec, s[0:1]
	s_cbranch_vccnz .LBB23_668
; %bb.667:
	global_load_dword v1, v[2:3], off
	s_waitcnt vmcnt(0)
	v_cvt_f16_f32_e32 v1, v1
.LBB23_668:
	s_mov_b64 s[0:1], 0
.LBB23_669:
	s_andn2_b64 vcc, exec, s[0:1]
	s_cbranch_vccnz .LBB23_671
; %bb.670:
	global_load_ushort v1, v[2:3], off
.LBB23_671:
	s_mov_b64 s[0:1], 0
.LBB23_672:
	s_andn2_b64 vcc, exec, s[0:1]
	s_cbranch_vccnz .LBB23_692
; %bb.673:
	v_cmp_lt_i16_e64 s[0:1], s77, 2
	s_and_b64 vcc, exec, s[0:1]
	s_cbranch_vccnz .LBB23_677
; %bb.674:
	v_cmp_lt_i16_e64 s[0:1], s77, 3
	s_and_b64 vcc, exec, s[0:1]
	s_cbranch_vccnz .LBB23_678
; %bb.675:
	v_cmp_gt_i16_e64 s[0:1], s77, 3
	s_and_b64 vcc, exec, s[0:1]
	s_cbranch_vccz .LBB23_679
; %bb.676:
	global_load_dwordx2 v[4:5], v[2:3], off
	s_mov_b64 s[0:1], 0
	s_waitcnt vmcnt(0)
	v_xor_b32_e32 v6, v4, v5
	v_ffbh_i32_e32 v1, v5
	v_ashrrev_i32_e32 v6, 31, v6
	v_add_u32_e32 v1, -1, v1
	v_add_u32_e32 v6, 32, v6
	v_min_u32_e32 v1, v1, v6
	v_lshlrev_b64 v[4:5], v1, v[4:5]
	v_min_u32_e32 v4, 1, v4
	v_or_b32_e32 v4, v5, v4
	v_cvt_f32_i32_e32 v4, v4
	v_sub_u32_e32 v1, 32, v1
	v_ldexp_f32 v1, v4, v1
	v_cvt_f16_f32_e32 v1, v1
	s_branch .LBB23_680
.LBB23_677:
	s_mov_b64 s[0:1], -1
                                        ; implicit-def: $vgpr1
	s_branch .LBB23_686
.LBB23_678:
	s_mov_b64 s[0:1], -1
                                        ; implicit-def: $vgpr1
	s_branch .LBB23_683
.LBB23_679:
	s_mov_b64 s[0:1], -1
                                        ; implicit-def: $vgpr1
.LBB23_680:
	s_andn2_b64 vcc, exec, s[0:1]
	s_cbranch_vccnz .LBB23_682
; %bb.681:
	global_load_dword v1, v[2:3], off
	s_waitcnt vmcnt(0)
	v_cvt_f32_i32_e32 v1, v1
	v_cvt_f16_f32_e32 v1, v1
.LBB23_682:
	s_mov_b64 s[0:1], 0
.LBB23_683:
	s_andn2_b64 vcc, exec, s[0:1]
	s_cbranch_vccnz .LBB23_685
; %bb.684:
	global_load_ushort v1, v[2:3], off
	s_waitcnt vmcnt(0)
	v_cvt_f16_i16_e32 v1, v1
.LBB23_685:
	s_mov_b64 s[0:1], 0
.LBB23_686:
	s_andn2_b64 vcc, exec, s[0:1]
	s_cbranch_vccnz .LBB23_692
; %bb.687:
	v_cmp_gt_i16_e64 s[0:1], s77, 0
	s_and_b64 vcc, exec, s[0:1]
	s_cbranch_vccz .LBB23_689
; %bb.688:
	global_load_sbyte v1, v[2:3], off
	s_mov_b64 s[0:1], 0
	s_waitcnt vmcnt(0)
	v_cvt_f16_i16_e32 v1, v1
	s_branch .LBB23_690
.LBB23_689:
	s_mov_b64 s[0:1], -1
                                        ; implicit-def: $vgpr1
.LBB23_690:
	s_andn2_b64 vcc, exec, s[0:1]
	s_cbranch_vccnz .LBB23_692
; %bb.691:
	global_load_ubyte v1, v[2:3], off
	s_waitcnt vmcnt(0)
	v_cvt_f16_u16_e32 v1, v1
.LBB23_692:
	s_mov_b64 s[0:1], -1
.LBB23_693:
	s_andn2_b64 vcc, exec, s[0:1]
	s_cbranch_vccnz .LBB23_701
; %bb.694:
	s_waitcnt vmcnt(0)
	v_cmp_nge_f16_e64 s[0:1], v1, -s76
	v_cmp_nge_f16_e32 vcc, s76, v1
	s_or_b64 vcc, s[0:1], vcc
	v_cndmask_b32_e32 v2, 0, v1, vcc
	v_mov_b32_e32 v1, s25
	v_add_co_u32_e32 v0, vcc, s24, v0
	v_mov_b32_e32 v3, 11
	v_addc_co_u32_e32 v1, vcc, 0, v1, vcc
	v_cmp_lt_i16_sdwa s[0:1], s75, v3 src0_sel:BYTE_0 src1_sel:DWORD
	s_and_b64 vcc, exec, s[0:1]
	s_cbranch_vccnz .LBB23_702
; %bb.695:
	v_mov_b32_e32 v3, 25
	v_cmp_gt_i16_sdwa s[0:1], s75, v3 src0_sel:BYTE_0 src1_sel:DWORD
	s_and_b64 vcc, exec, s[0:1]
	s_cbranch_vccz .LBB23_703
; %bb.696:
	v_mov_b32_e32 v3, 28
	v_cmp_gt_i16_sdwa s[0:1], s75, v3 src0_sel:BYTE_0 src1_sel:DWORD
	s_and_b64 vcc, exec, s[0:1]
	s_cbranch_vccz .LBB23_704
	;; [unrolled: 5-line block ×4, first 2 shown]
; %bb.699:
	v_mov_b32_e32 v3, 46
	v_cmp_eq_u16_sdwa s[8:9], s75, v3 src0_sel:BYTE_0 src1_sel:DWORD
	s_mov_b64 s[10:11], 0
	s_mov_b64 s[0:1], -1
	s_and_b64 vcc, exec, s[8:9]
	s_mov_b64 s[8:9], 0
	s_cbranch_vccz .LBB23_707
; %bb.700:
	v_cvt_f32_f16_e32 v3, v2
	s_movk_i32 s0, 0x7fff
	v_mov_b32_e32 v4, 0x7fc0
	v_cmp_o_f16_e32 vcc, v2, v2
	v_bfe_u32 v5, v3, 16, 1
	v_add3_u32 v3, v3, v5, s0
	v_lshrrev_b32_e32 v3, 16, v3
	v_cndmask_b32_e32 v3, v4, v3, vcc
	global_store_dword v[0:1], v3, off
	s_mov_b64 s[8:9], -1
	s_mov_b64 s[0:1], 0
	s_branch .LBB23_707
.LBB23_701:
	s_mov_b64 s[8:9], 0
	s_mov_b64 s[0:1], s[60:61]
	s_branch .LBB23_818
.LBB23_702:
	s_mov_b64 s[10:11], -1
	s_mov_b64 s[8:9], 0
	s_mov_b64 s[0:1], s[60:61]
	s_branch .LBB23_776
.LBB23_703:
	s_mov_b64 s[10:11], -1
	s_mov_b64 s[8:9], 0
	s_mov_b64 s[0:1], s[60:61]
	s_branch .LBB23_734
.LBB23_704:
	s_mov_b64 s[10:11], -1
	s_mov_b64 s[8:9], 0
	s_mov_b64 s[0:1], s[60:61]
	s_branch .LBB23_717
.LBB23_705:
	s_mov_b64 s[10:11], -1
	s_mov_b64 s[8:9], 0
	s_mov_b64 s[0:1], s[60:61]
	s_branch .LBB23_713
.LBB23_706:
	s_mov_b64 s[10:11], -1
	s_mov_b64 s[8:9], 0
	s_mov_b64 s[0:1], s[60:61]
.LBB23_707:
	s_and_b64 vcc, exec, s[10:11]
	s_cbranch_vccz .LBB23_712
; %bb.708:
	v_mov_b32_e32 v3, 44
	v_cmp_eq_u16_sdwa s[10:11], s75, v3 src0_sel:BYTE_0 src1_sel:DWORD
	s_mov_b64 s[0:1], -1
	s_and_b64 vcc, exec, s[10:11]
	s_cbranch_vccz .LBB23_712
; %bb.709:
	v_cvt_f32_f16_e32 v3, v2
	s_movk_i32 s0, 0xff
	v_mov_b32_e32 v5, 0xff
	v_bfe_u32 v4, v3, 23, 8
	v_cmp_ne_u32_e32 vcc, s0, v4
	s_and_saveexec_b64 s[8:9], vcc
; %bb.710:
	s_mov_b32 s0, 0x3fffff
	v_lshrrev_b32_e32 v5, 23, v3
	v_and_b32_e32 v6, 0x400000, v3
	v_and_or_b32 v3, v3, s0, v4
	v_cmp_ne_u32_e32 vcc, 0, v6
	v_cmp_ne_u32_e64 s[0:1], 0, v3
	s_and_b64 s[0:1], vcc, s[0:1]
	v_cndmask_b32_e64 v3, 0, 1, s[0:1]
	v_add_u32_e32 v5, v5, v3
; %bb.711:
	s_or_b64 exec, exec, s[8:9]
	s_mov_b64 s[8:9], -1
	s_mov_b64 s[0:1], 0
	global_store_byte v[0:1], v5, off
.LBB23_712:
	s_mov_b64 s[10:11], 0
.LBB23_713:
	s_and_b64 vcc, exec, s[10:11]
	s_cbranch_vccz .LBB23_716
; %bb.714:
	v_mov_b32_e32 v3, 29
	v_cmp_eq_u16_sdwa s[10:11], s75, v3 src0_sel:BYTE_0 src1_sel:DWORD
	s_mov_b64 s[0:1], -1
	s_and_b64 vcc, exec, s[10:11]
	s_cbranch_vccz .LBB23_716
; %bb.715:
	v_cvt_f32_f16_e32 v3, v2
	v_mov_b32_e32 v5, 0
	s_mov_b64 s[8:9], -1
	s_mov_b64 s[0:1], 0
	v_cvt_u32_f32_e32 v4, v3
	s_mov_b64 s[10:11], 0
	global_store_dwordx2 v[0:1], v[4:5], off
	s_branch .LBB23_717
.LBB23_716:
	s_mov_b64 s[10:11], 0
.LBB23_717:
	s_and_b64 vcc, exec, s[10:11]
	s_cbranch_vccz .LBB23_733
; %bb.718:
	v_mov_b32_e32 v3, 27
	v_cmp_lt_i16_sdwa s[10:11], s75, v3 src0_sel:BYTE_0 src1_sel:DWORD
	s_mov_b64 s[8:9], -1
	s_and_b64 vcc, exec, s[10:11]
	s_cbranch_vccnz .LBB23_724
; %bb.719:
	v_cmp_gt_i16_sdwa s[10:11], s75, v3 src0_sel:BYTE_0 src1_sel:DWORD
	s_and_b64 vcc, exec, s[10:11]
	s_cbranch_vccz .LBB23_721
; %bb.720:
	v_cvt_f32_f16_e32 v3, v2
	s_mov_b64 s[8:9], 0
	v_cvt_u32_f32_e32 v3, v3
	global_store_dword v[0:1], v3, off
.LBB23_721:
	s_andn2_b64 vcc, exec, s[8:9]
	s_cbranch_vccnz .LBB23_723
; %bb.722:
	v_cvt_u16_f16_e32 v3, v2
	global_store_short v[0:1], v3, off
.LBB23_723:
	s_mov_b64 s[8:9], 0
.LBB23_724:
	s_andn2_b64 vcc, exec, s[8:9]
	s_cbranch_vccnz .LBB23_732
; %bb.725:
	v_cvt_f32_f16_e32 v3, v2
	s_mov_b32 s8, 0x43800000
	v_mov_b32_e32 v5, 0x80
	v_and_b32_e32 v4, 0x7fffffff, v3
	v_cmp_gt_u32_e32 vcc, s8, v4
	s_and_saveexec_b64 s[8:9], vcc
	s_cbranch_execz .LBB23_731
; %bb.726:
	s_mov_b32 s10, 0x3bffffff
	v_cmp_lt_u32_e32 vcc, s10, v4
	s_mov_b64 s[10:11], 0
                                        ; implicit-def: $vgpr4
	s_and_saveexec_b64 s[12:13], vcc
	s_xor_b64 s[12:13], exec, s[12:13]
	s_cbranch_execz .LBB23_849
; %bb.727:
	v_bfe_u32 v4, v3, 20, 1
	s_mov_b32 s14, 0x487ffff
	v_add3_u32 v4, v3, v4, s14
	s_mov_b64 s[10:11], exec
	v_lshrrev_b32_e32 v4, 20, v4
	s_or_saveexec_b64 s[12:13], s[12:13]
                                        ; implicit-def: $sgpr14
	s_xor_b64 exec, exec, s[12:13]
	s_cbranch_execnz .LBB23_850
.LBB23_728:
	s_or_b64 exec, exec, s[12:13]
	v_mov_b32_e32 v5, s14
	s_and_saveexec_b64 s[12:13], s[10:11]
.LBB23_729:
	v_lshrrev_b32_e32 v3, 24, v3
	s_movk_i32 s10, 0x80
	v_and_or_b32 v5, v3, s10, v4
.LBB23_730:
	s_or_b64 exec, exec, s[12:13]
.LBB23_731:
	s_or_b64 exec, exec, s[8:9]
	global_store_byte v[0:1], v5, off
.LBB23_732:
	s_mov_b64 s[8:9], -1
.LBB23_733:
	s_mov_b64 s[10:11], 0
.LBB23_734:
	s_and_b64 vcc, exec, s[10:11]
	s_cbranch_vccz .LBB23_775
; %bb.735:
	v_mov_b32_e32 v3, 22
	v_cmp_gt_i16_sdwa s[12:13], s75, v3 src0_sel:BYTE_0 src1_sel:DWORD
	s_mov_b64 s[10:11], -1
	s_and_b64 vcc, exec, s[12:13]
	s_cbranch_vccz .LBB23_767
; %bb.736:
	v_mov_b32_e32 v3, 24
	v_cmp_lt_i16_sdwa s[10:11], s75, v3 src0_sel:BYTE_0 src1_sel:DWORD
	s_mov_b64 s[8:9], -1
	s_and_b64 vcc, exec, s[10:11]
	s_cbranch_vccnz .LBB23_756
; %bb.737:
	v_cmp_gt_i16_sdwa s[10:11], s75, v3 src0_sel:BYTE_0 src1_sel:DWORD
	s_and_b64 vcc, exec, s[10:11]
	s_cbranch_vccz .LBB23_745
; %bb.738:
	v_cvt_f32_f16_e32 v3, v2
	s_mov_b32 s8, 0x47800000
	v_mov_b32_e32 v5, 0x80
	v_and_b32_e32 v4, 0x7fffffff, v3
	v_cmp_gt_u32_e32 vcc, s8, v4
	s_and_saveexec_b64 s[8:9], vcc
	s_cbranch_execz .LBB23_744
; %bb.739:
	s_mov_b32 s10, 0x37ffffff
	v_cmp_lt_u32_e32 vcc, s10, v4
	s_mov_b64 s[10:11], 0
                                        ; implicit-def: $vgpr4
	s_and_saveexec_b64 s[12:13], vcc
	s_xor_b64 s[12:13], exec, s[12:13]
	s_cbranch_execz .LBB23_852
; %bb.740:
	v_bfe_u32 v4, v3, 21, 1
	s_mov_b32 s14, 0x88fffff
	v_add3_u32 v4, v3, v4, s14
	s_mov_b64 s[10:11], exec
	v_lshrrev_b32_e32 v4, 21, v4
	s_or_saveexec_b64 s[12:13], s[12:13]
                                        ; implicit-def: $sgpr14
	s_xor_b64 exec, exec, s[12:13]
	s_cbranch_execnz .LBB23_853
.LBB23_741:
	s_or_b64 exec, exec, s[12:13]
	v_mov_b32_e32 v5, s14
	s_and_saveexec_b64 s[12:13], s[10:11]
.LBB23_742:
	v_lshrrev_b32_e32 v3, 24, v3
	s_movk_i32 s10, 0x80
	v_and_or_b32 v5, v3, s10, v4
.LBB23_743:
	s_or_b64 exec, exec, s[12:13]
.LBB23_744:
	s_or_b64 exec, exec, s[8:9]
	s_mov_b64 s[8:9], 0
	global_store_byte v[0:1], v5, off
.LBB23_745:
	s_and_b64 vcc, exec, s[8:9]
	s_cbranch_vccz .LBB23_755
; %bb.746:
	v_cvt_f32_f16_e32 v3, v2
	s_mov_b32 s8, 0x43f00000
                                        ; implicit-def: $vgpr4
	v_and_b32_e32 v5, 0x7fffffff, v3
	v_cmp_gt_u32_e32 vcc, s8, v5
	s_and_saveexec_b64 s[8:9], vcc
	s_xor_b64 s[8:9], exec, s[8:9]
	s_cbranch_execz .LBB23_752
; %bb.747:
	s_mov_b32 s10, 0x3c7fffff
	v_cmp_lt_u32_e32 vcc, s10, v5
                                        ; implicit-def: $vgpr4
	s_and_saveexec_b64 s[10:11], vcc
	s_xor_b64 s[10:11], exec, s[10:11]
; %bb.748:
	v_bfe_u32 v4, v3, 20, 1
	s_mov_b32 s12, 0x407ffff
	v_add3_u32 v4, v3, v4, s12
	v_lshrrev_b32_e32 v5, 20, v4
	v_and_b32_e32 v4, 0xff00000, v4
	s_mov_b32 s12, 0x7f00000
	v_mov_b32_e32 v6, 0x7e
	v_cmp_ne_u32_e32 vcc, s12, v4
	v_cndmask_b32_e32 v4, v6, v5, vcc
; %bb.749:
	s_andn2_saveexec_b64 s[10:11], s[10:11]
; %bb.750:
	s_mov_b32 s12, 0x46800000
	v_add_f32_e64 v4, |v3|, s12
; %bb.751:
	s_or_b64 exec, exec, s[10:11]
                                        ; implicit-def: $vgpr5
.LBB23_752:
	s_andn2_saveexec_b64 s[8:9], s[8:9]
; %bb.753:
	s_mov_b32 s10, 0x7f800000
	v_mov_b32_e32 v4, 0x7e
	v_mov_b32_e32 v6, 0x7f
	v_cmp_lt_u32_e32 vcc, s10, v5
	v_cndmask_b32_e32 v4, v4, v6, vcc
; %bb.754:
	s_or_b64 exec, exec, s[8:9]
	v_lshrrev_b32_e32 v3, 24, v3
	s_movk_i32 s8, 0x80
	v_and_or_b32 v3, v3, s8, v4
	global_store_byte v[0:1], v3, off
.LBB23_755:
	s_mov_b64 s[8:9], 0
.LBB23_756:
	s_andn2_b64 vcc, exec, s[8:9]
	s_cbranch_vccnz .LBB23_766
; %bb.757:
	v_cvt_f32_f16_e32 v3, v2
	s_mov_b32 s8, 0x47800000
                                        ; implicit-def: $vgpr4
	v_and_b32_e32 v5, 0x7fffffff, v3
	v_cmp_gt_u32_e32 vcc, s8, v5
	s_and_saveexec_b64 s[8:9], vcc
	s_xor_b64 s[8:9], exec, s[8:9]
	s_cbranch_execz .LBB23_763
; %bb.758:
	s_mov_b32 s10, 0x387fffff
	v_cmp_lt_u32_e32 vcc, s10, v5
                                        ; implicit-def: $vgpr4
	s_and_saveexec_b64 s[10:11], vcc
	s_xor_b64 s[10:11], exec, s[10:11]
; %bb.759:
	v_bfe_u32 v4, v3, 21, 1
	s_mov_b32 s12, 0x80fffff
	v_add3_u32 v4, v3, v4, s12
	v_lshrrev_b32_e32 v4, 21, v4
; %bb.760:
	s_andn2_saveexec_b64 s[10:11], s[10:11]
; %bb.761:
	s_mov_b32 s12, 0x43000000
	v_add_f32_e64 v4, |v3|, s12
; %bb.762:
	s_or_b64 exec, exec, s[10:11]
                                        ; implicit-def: $vgpr5
.LBB23_763:
	s_andn2_saveexec_b64 s[8:9], s[8:9]
; %bb.764:
	s_mov_b32 s10, 0x7f800000
	v_mov_b32_e32 v4, 0x7c
	v_mov_b32_e32 v6, 0x7f
	v_cmp_lt_u32_e32 vcc, s10, v5
	v_cndmask_b32_e32 v4, v4, v6, vcc
; %bb.765:
	s_or_b64 exec, exec, s[8:9]
	v_lshrrev_b32_e32 v3, 24, v3
	s_movk_i32 s8, 0x80
	v_and_or_b32 v3, v3, s8, v4
	global_store_byte v[0:1], v3, off
.LBB23_766:
	s_mov_b64 s[10:11], 0
	s_mov_b64 s[8:9], -1
.LBB23_767:
	s_andn2_b64 vcc, exec, s[10:11]
	s_cbranch_vccnz .LBB23_775
; %bb.768:
	v_mov_b32_e32 v3, 14
	v_cmp_gt_i16_sdwa s[12:13], s75, v3 src0_sel:BYTE_0 src1_sel:DWORD
	s_mov_b64 s[10:11], -1
	s_and_b64 vcc, exec, s[12:13]
	s_cbranch_vccz .LBB23_772
; %bb.769:
	v_mov_b32_e32 v3, 15
	v_cmp_eq_u16_sdwa s[10:11], s75, v3 src0_sel:BYTE_0 src1_sel:DWORD
	s_mov_b64 s[0:1], -1
	s_and_b64 vcc, exec, s[10:11]
	s_cbranch_vccz .LBB23_771
; %bb.770:
	v_cvt_f32_f16_e32 v3, v2
	s_movk_i32 s0, 0x7fff
	v_mov_b32_e32 v4, 0x7fc0
	v_cmp_o_f16_e32 vcc, v2, v2
	v_bfe_u32 v5, v3, 16, 1
	v_add3_u32 v3, v3, v5, s0
	v_lshrrev_b32_e32 v3, 16, v3
	v_cndmask_b32_e32 v3, v4, v3, vcc
	global_store_short v[0:1], v3, off
	s_mov_b64 s[8:9], -1
	s_mov_b64 s[0:1], 0
.LBB23_771:
	s_mov_b64 s[10:11], 0
.LBB23_772:
	s_and_b64 vcc, exec, s[10:11]
	s_cbranch_vccz .LBB23_775
; %bb.773:
	v_mov_b32_e32 v3, 11
	v_cmp_eq_u16_sdwa s[10:11], s75, v3 src0_sel:BYTE_0 src1_sel:DWORD
	s_mov_b64 s[0:1], -1
	s_and_b64 vcc, exec, s[10:11]
	s_cbranch_vccz .LBB23_775
; %bb.774:
	v_and_b32_e32 v3, 0x7fff, v2
	v_cmp_ne_u16_e32 vcc, 0, v3
	v_cndmask_b32_e64 v3, 0, 1, vcc
	s_mov_b64 s[8:9], -1
	s_mov_b64 s[0:1], 0
	global_store_byte v[0:1], v3, off
.LBB23_775:
	s_mov_b64 s[10:11], 0
.LBB23_776:
	s_and_b64 vcc, exec, s[10:11]
	s_cbranch_vccz .LBB23_815
; %bb.777:
	v_mov_b32_e32 v3, 5
	v_cmp_lt_i16_sdwa s[10:11], s75, v3 src0_sel:BYTE_0 src1_sel:DWORD
	s_mov_b64 s[8:9], -1
	s_and_b64 vcc, exec, s[10:11]
	s_cbranch_vccnz .LBB23_798
; %bb.778:
	v_mov_b32_e32 v3, 8
	v_cmp_lt_i16_sdwa s[10:11], s75, v3 src0_sel:BYTE_0 src1_sel:DWORD
	s_and_b64 vcc, exec, s[10:11]
	s_cbranch_vccnz .LBB23_788
; %bb.779:
	v_mov_b32_e32 v3, 9
	v_cmp_lt_i16_sdwa s[10:11], s75, v3 src0_sel:BYTE_0 src1_sel:DWORD
	s_and_b64 vcc, exec, s[10:11]
	s_cbranch_vccnz .LBB23_785
; %bb.780:
	v_cmp_gt_i16_sdwa s[10:11], s75, v3 src0_sel:BYTE_0 src1_sel:DWORD
	s_and_b64 vcc, exec, s[10:11]
	s_cbranch_vccz .LBB23_782
; %bb.781:
	v_cvt_f32_f16_e32 v3, v2
	v_mov_b32_e32 v6, 0
	v_mov_b32_e32 v7, v6
	s_mov_b64 s[8:9], 0
	v_cvt_f64_f32_e32 v[4:5], v3
	global_store_dwordx4 v[0:1], v[4:7], off
.LBB23_782:
	s_andn2_b64 vcc, exec, s[8:9]
	s_cbranch_vccnz .LBB23_784
; %bb.783:
	v_cvt_f32_f16_e32 v4, v2
	v_mov_b32_e32 v5, 0
	global_store_dwordx2 v[0:1], v[4:5], off
.LBB23_784:
	s_mov_b64 s[8:9], 0
.LBB23_785:
	s_andn2_b64 vcc, exec, s[8:9]
	s_cbranch_vccnz .LBB23_787
; %bb.786:
	v_and_b32_e32 v3, 0xffff, v2
	global_store_dword v[0:1], v3, off
.LBB23_787:
	s_mov_b64 s[8:9], 0
.LBB23_788:
	s_andn2_b64 vcc, exec, s[8:9]
	s_cbranch_vccnz .LBB23_797
; %bb.789:
	v_mov_b32_e32 v3, 6
	v_cmp_lt_i16_sdwa s[10:11], s75, v3 src0_sel:BYTE_0 src1_sel:DWORD
	s_mov_b64 s[8:9], -1
	s_and_b64 vcc, exec, s[10:11]
	s_cbranch_vccnz .LBB23_795
; %bb.790:
	v_cmp_gt_i16_sdwa s[10:11], s75, v3 src0_sel:BYTE_0 src1_sel:DWORD
	s_and_b64 vcc, exec, s[10:11]
	s_cbranch_vccz .LBB23_792
; %bb.791:
	v_cvt_f32_f16_e32 v3, v2
	s_mov_b64 s[8:9], 0
	v_cvt_f64_f32_e32 v[4:5], v3
	global_store_dwordx2 v[0:1], v[4:5], off
.LBB23_792:
	s_andn2_b64 vcc, exec, s[8:9]
	s_cbranch_vccnz .LBB23_794
; %bb.793:
	v_cvt_f32_f16_e32 v3, v2
	global_store_dword v[0:1], v3, off
.LBB23_794:
	s_mov_b64 s[8:9], 0
.LBB23_795:
	s_andn2_b64 vcc, exec, s[8:9]
	s_cbranch_vccnz .LBB23_797
; %bb.796:
	global_store_short v[0:1], v2, off
.LBB23_797:
	s_mov_b64 s[8:9], 0
.LBB23_798:
	s_andn2_b64 vcc, exec, s[8:9]
	s_cbranch_vccnz .LBB23_814
; %bb.799:
	v_mov_b32_e32 v3, 2
	v_cmp_lt_i16_sdwa s[10:11], s75, v3 src0_sel:BYTE_0 src1_sel:DWORD
	s_mov_b64 s[8:9], -1
	s_and_b64 vcc, exec, s[10:11]
	s_cbranch_vccnz .LBB23_809
; %bb.800:
	v_mov_b32_e32 v3, 3
	v_cmp_lt_i16_sdwa s[10:11], s75, v3 src0_sel:BYTE_0 src1_sel:DWORD
	s_and_b64 vcc, exec, s[10:11]
	s_cbranch_vccnz .LBB23_806
; %bb.801:
	v_cmp_gt_i16_sdwa s[10:11], s75, v3 src0_sel:BYTE_0 src1_sel:DWORD
	s_and_b64 vcc, exec, s[10:11]
	s_cbranch_vccz .LBB23_803
; %bb.802:
	v_cvt_f32_f16_e32 v3, v2
	s_mov_b64 s[8:9], 0
	v_cvt_i32_f32_e32 v4, v3
	v_ashrrev_i32_e32 v5, 31, v4
	global_store_dwordx2 v[0:1], v[4:5], off
.LBB23_803:
	s_andn2_b64 vcc, exec, s[8:9]
	s_cbranch_vccnz .LBB23_805
; %bb.804:
	v_cvt_f32_f16_e32 v3, v2
	v_cvt_i32_f32_e32 v3, v3
	global_store_dword v[0:1], v3, off
.LBB23_805:
	s_mov_b64 s[8:9], 0
.LBB23_806:
	s_andn2_b64 vcc, exec, s[8:9]
	s_cbranch_vccnz .LBB23_808
; %bb.807:
	v_cvt_i16_f16_e32 v3, v2
	global_store_short v[0:1], v3, off
.LBB23_808:
	s_mov_b64 s[8:9], 0
.LBB23_809:
	s_andn2_b64 vcc, exec, s[8:9]
	s_cbranch_vccnz .LBB23_814
; %bb.810:
	v_mov_b32_e32 v3, 0
	v_cmp_gt_i16_sdwa s[10:11], s75, v3 src0_sel:BYTE_0 src1_sel:DWORD
	s_mov_b64 s[8:9], -1
	s_and_b64 vcc, exec, s[10:11]
	s_cbranch_vccz .LBB23_812
; %bb.811:
	v_cvt_i16_f16_e32 v3, v2
	s_mov_b64 s[8:9], 0
	global_store_byte v[0:1], v3, off
.LBB23_812:
	s_andn2_b64 vcc, exec, s[8:9]
	s_cbranch_vccnz .LBB23_814
; %bb.813:
	v_cvt_f32_f16_e32 v2, v2
	v_cvt_i32_f32_e32 v2, v2
	global_store_byte v[0:1], v2, off
.LBB23_814:
	s_mov_b64 s[8:9], -1
.LBB23_815:
	s_andn2_b64 vcc, exec, s[8:9]
	s_cbranch_vccnz .LBB23_817
; %bb.816:
	v_add_u32_e32 v8, 0x80, v8
	s_mov_b64 s[8:9], -1
	s_branch .LBB23_819
.LBB23_817:
	s_mov_b64 s[8:9], 0
.LBB23_818:
                                        ; implicit-def: $vgpr8
.LBB23_819:
	s_andn2_b64 s[10:11], s[60:61], exec
	s_and_b64 s[0:1], s[0:1], exec
	s_or_b64 s[68:69], s[10:11], s[0:1]
	s_andn2_b64 s[0:1], s[58:59], exec
	s_and_b64 s[2:3], s[2:3], exec
	s_or_b64 s[66:67], s[0:1], s[2:3]
	s_orn2_b64 s[2:3], s[8:9], exec
.LBB23_820:
	s_or_b64 exec, exec, s[64:65]
	s_mov_b64 s[0:1], 0
	s_mov_b64 s[8:9], 0
	;; [unrolled: 1-line block ×3, first 2 shown]
                                        ; implicit-def: $vgpr2_vgpr3
                                        ; implicit-def: $vgpr0
                                        ; implicit-def: $vgpr5
	s_and_saveexec_b64 s[64:65], s[2:3]
	s_cbranch_execz .LBB23_920
; %bb.821:
	v_cmp_gt_i32_e32 vcc, s72, v8
	s_mov_b64 s[2:3], 0
	s_mov_b64 s[12:13], s[66:67]
                                        ; implicit-def: $vgpr2_vgpr3
                                        ; implicit-def: $vgpr0
                                        ; implicit-def: $vgpr5
	s_and_saveexec_b64 s[70:71], vcc
	s_cbranch_execz .LBB23_919
; %bb.822:
	s_andn2_b64 vcc, exec, s[40:41]
	s_cbranch_vccnz .LBB23_828
; %bb.823:
	s_mov_b32 s72, 0
	s_andn2_b64 vcc, exec, s[50:51]
	v_mov_b32_e32 v2, 0
	v_mov_b32_e32 v0, 0
	s_cbranch_vccnz .LBB23_834
; %bb.824:
	s_add_i32 s78, s73, 1
	s_cmp_eq_u32 s74, 2
	s_cbranch_scc1 .LBB23_829
; %bb.825:
	s_and_b32 s72, s78, 28
	s_mov_b32 s73, 0
	v_mov_b32_e32 v0, 0
	s_mov_b64 s[50:51], s[34:35]
	v_mov_b32_e32 v3, v8
	v_mov_b32_e32 v2, 0
.LBB23_826:                             ; =>This Inner Loop Header: Depth=1
	s_load_dwordx8 s[16:23], s[50:51], 0x4
	s_load_dwordx4 s[0:3], s[50:51], 0x24
	s_load_dwordx8 s[8:15], s[48:49], 0x0
	s_add_u32 s50, s50, 48
	s_addc_u32 s51, s51, 0
	s_waitcnt vmcnt(0) lgkmcnt(0)
	v_mul_hi_u32 v1, s17, v3
	v_add_u32_e32 v1, v3, v1
	v_lshrrev_b32_e32 v1, s18, v1
	v_mul_lo_u32 v4, v1, s16
	v_mul_hi_u32 v5, s20, v1
	v_sub_u32_e32 v3, v3, v4
	v_add_u32_e32 v4, v1, v5
	v_lshrrev_b32_e32 v4, s21, v4
	v_mul_lo_u32 v6, v4, s19
	v_mul_hi_u32 v7, s23, v4
	v_sub_u32_e32 v1, v1, v6
	v_add_u32_e32 v6, v4, v7
	v_mul_lo_u32 v5, v3, s9
	v_mul_lo_u32 v3, v3, s8
	;; [unrolled: 1-line block ×4, first 2 shown]
	v_lshrrev_b32_e32 v6, s0, v6
	v_add3_u32 v0, v3, v0, v1
	v_mul_hi_u32 v3, s2, v6
	v_add_u32_e32 v3, v6, v3
	v_lshrrev_b32_e32 v3, s3, v3
	s_add_i32 s73, s73, 4
	v_add3_u32 v1, v5, v2, v7
	v_mul_lo_u32 v2, v6, s22
	v_mul_lo_u32 v5, v3, s1
	s_add_u32 s48, s48, 32
	v_sub_u32_e32 v2, v4, v2
	v_sub_u32_e32 v5, v6, v5
	s_addc_u32 s49, s49, 0
	v_mul_lo_u32 v4, v2, s12
	v_mul_lo_u32 v2, v2, s13
	;; [unrolled: 1-line block ×4, first 2 shown]
	s_cmp_eq_u32 s72, s73
	v_add3_u32 v2, v2, v1, v5
	v_add3_u32 v0, v4, v0, v6
	s_cbranch_scc0 .LBB23_826
; %bb.827:
	v_mov_b32_e32 v1, v2
	s_branch .LBB23_830
.LBB23_828:
	s_mov_b64 s[0:1], -1
                                        ; implicit-def: $vgpr2
                                        ; implicit-def: $vgpr0
	s_branch .LBB23_835
.LBB23_829:
	s_mov_b32 s73, s72
	s_waitcnt vmcnt(0)
	v_pk_mov_b32 v[0:1], s[72:73], s[72:73] op_sel:[0,1]
                                        ; implicit-def: $vgpr2
	v_mov_b32_e32 v3, v8
.LBB23_830:
	s_and_b32 s8, s78, 3
	s_cmp_eq_u32 s8, 0
	s_cbranch_scc1 .LBB23_834
; %bb.831:
	s_lshl_b32 s0, s72, 3
	s_add_u32 s0, s0, s34
	s_addc_u32 s1, s35, 0
	s_add_u32 s0, s0, 0xc4
	s_addc_u32 s1, s1, 0
	s_mul_i32 s2, s72, 12
	s_add_u32 s2, s34, s2
	s_addc_u32 s3, s35, 0
.LBB23_832:                             ; =>This Inner Loop Header: Depth=1
	s_load_dwordx2 s[10:11], s[2:3], 0x4
	s_load_dword s9, s[2:3], 0xc
	s_load_dwordx2 s[12:13], s[0:1], 0x0
	v_mov_b32_e32 v2, v1
	s_add_u32 s2, s2, 12
	s_waitcnt lgkmcnt(0)
	v_mul_hi_u32 v1, s11, v3
	v_add_u32_e32 v1, v3, v1
	v_lshrrev_b32_e32 v1, s9, v1
	s_addc_u32 s3, s3, 0
	v_mul_lo_u32 v4, v1, s10
	s_add_u32 s0, s0, 8
	v_sub_u32_e32 v6, v3, v4
	v_mov_b32_e32 v3, v1
	s_addc_u32 s1, s1, 0
	s_add_i32 s8, s8, -1
	v_mad_u64_u32 v[4:5], s[10:11], v6, s13, v[2:3]
	v_mad_u64_u32 v[0:1], s[10:11], v6, s12, v[0:1]
	s_cmp_lg_u32 s8, 0
	v_mov_b32_e32 v1, v4
	s_cbranch_scc1 .LBB23_832
; %bb.833:
	v_mov_b32_e32 v2, v1
.LBB23_834:
	s_mov_b64 s[0:1], 0
.LBB23_835:
	s_andn2_b64 vcc, exec, s[0:1]
	s_cbranch_vccnz .LBB23_838
; %bb.836:
	v_mul_hi_u32 v0, s29, v8
	v_add_u32_e32 v0, v8, v0
	s_waitcnt vmcnt(0)
	v_lshrrev_b32_e32 v1, s30, v0
	v_mul_lo_u32 v0, v1, s28
	v_sub_u32_e32 v0, v8, v0
	v_mul_lo_u32 v2, v0, s37
	s_andn2_b64 vcc, exec, s[44:45]
	v_mul_lo_u32 v0, v0, s36
	s_cbranch_vccnz .LBB23_838
; %bb.837:
	v_mul_hi_u32 v3, s46, v1
	v_add_u32_e32 v3, v1, v3
	v_lshrrev_b32_e32 v3, s47, v3
	v_mul_lo_u32 v3, v3, s31
	v_sub_u32_e32 v3, v1, v3
	v_mad_u64_u32 v[0:1], s[0:1], v3, s38, v[0:1]
	v_mad_u64_u32 v[2:3], s[0:1], v3, s39, v[2:3]
.LBB23_838:
	s_waitcnt vmcnt(0)
	v_mov_b32_e32 v1, s27
	v_add_co_u32_e32 v2, vcc, s26, v2
	v_addc_co_u32_e32 v3, vcc, 0, v1, vcc
	v_cmp_lt_i16_e64 s[0:1], s77, 11
	s_and_b64 vcc, exec, s[0:1]
	s_cbranch_vccnz .LBB23_845
; %bb.839:
	v_cmp_gt_i16_e64 s[0:1], s77, 25
	s_mov_b64 s[2:3], 0
	s_and_b64 vcc, exec, s[0:1]
	s_cbranch_vccz .LBB23_846
; %bb.840:
	v_cmp_gt_i16_e64 s[0:1], s77, 28
	s_and_b64 vcc, exec, s[0:1]
	s_cbranch_vccz .LBB23_847
; %bb.841:
	v_cmp_gt_i16_e64 s[0:1], s77, 43
	;; [unrolled: 4-line block ×3, first 2 shown]
	s_and_b64 vcc, exec, s[0:1]
	s_cbranch_vccz .LBB23_851
; %bb.843:
	v_cmp_eq_u16_e64 s[0:1], s77, 46
	s_mov_b64 s[10:11], 0
	s_and_b64 vcc, exec, s[0:1]
	s_cbranch_vccz .LBB23_854
; %bb.844:
	global_load_dword v1, v[2:3], off
	s_mov_b64 s[0:1], 0
	s_mov_b64 s[8:9], -1
	s_waitcnt vmcnt(0)
	v_lshlrev_b32_e32 v1, 16, v1
	v_cvt_f16_f32_e32 v5, v1
	s_branch .LBB23_855
.LBB23_845:
	s_mov_b64 s[12:13], -1
	s_mov_b64 s[8:9], 0
	s_mov_b64 s[2:3], 0
	;; [unrolled: 1-line block ×3, first 2 shown]
                                        ; implicit-def: $vgpr5
	s_branch .LBB23_918
.LBB23_846:
	s_mov_b64 s[10:11], -1
	s_mov_b64 s[8:9], 0
	s_mov_b64 s[0:1], s[66:67]
                                        ; implicit-def: $vgpr5
	s_branch .LBB23_884
.LBB23_847:
	s_mov_b64 s[10:11], -1
	s_mov_b64 s[8:9], 0
	s_mov_b64 s[0:1], s[66:67]
                                        ; implicit-def: $vgpr5
	s_branch .LBB23_865
.LBB23_848:
	s_mov_b64 s[10:11], -1
	s_mov_b64 s[8:9], 0
	s_mov_b64 s[0:1], s[66:67]
                                        ; implicit-def: $vgpr5
	s_branch .LBB23_860
.LBB23_849:
	s_or_saveexec_b64 s[12:13], s[12:13]
                                        ; implicit-def: $sgpr14
	s_xor_b64 exec, exec, s[12:13]
	s_cbranch_execz .LBB23_728
.LBB23_850:
	s_mov_b32 s14, 0x46000000
	v_add_f32_e64 v4, |v3|, s14
	v_and_b32_e32 v4, 0xff, v4
	v_cmp_ne_u32_e32 vcc, 0, v4
	s_andn2_b64 s[10:11], s[10:11], exec
	s_and_b64 s[16:17], vcc, exec
	s_mov_b32 s14, 0
	s_or_b64 s[10:11], s[10:11], s[16:17]
	s_or_b64 exec, exec, s[12:13]
	v_mov_b32_e32 v5, s14
	s_and_saveexec_b64 s[12:13], s[10:11]
	s_cbranch_execnz .LBB23_729
	s_branch .LBB23_730
.LBB23_851:
	s_mov_b64 s[10:11], -1
	s_mov_b64 s[8:9], 0
	s_mov_b64 s[0:1], s[66:67]
                                        ; implicit-def: $vgpr5
	s_branch .LBB23_855
.LBB23_852:
	s_or_saveexec_b64 s[12:13], s[12:13]
                                        ; implicit-def: $sgpr14
	s_xor_b64 exec, exec, s[12:13]
	s_cbranch_execz .LBB23_741
.LBB23_853:
	s_mov_b32 s14, 0x42800000
	v_add_f32_e64 v4, |v3|, s14
	v_and_b32_e32 v4, 0xff, v4
	v_cmp_ne_u32_e32 vcc, 0, v4
	s_andn2_b64 s[10:11], s[10:11], exec
	s_and_b64 s[16:17], vcc, exec
	s_mov_b32 s14, 0
	s_or_b64 s[10:11], s[10:11], s[16:17]
	s_or_b64 exec, exec, s[12:13]
	v_mov_b32_e32 v5, s14
	s_and_saveexec_b64 s[12:13], s[10:11]
	s_cbranch_execnz .LBB23_742
	s_branch .LBB23_743
.LBB23_854:
	s_mov_b64 s[0:1], -1
                                        ; implicit-def: $vgpr5
	s_mov_b64 s[8:9], 0
.LBB23_855:
	s_and_b64 vcc, exec, s[10:11]
	s_cbranch_vccz .LBB23_859
; %bb.856:
	v_cmp_eq_u16_e64 s[0:1], s77, 44
	s_and_b64 vcc, exec, s[0:1]
	s_cbranch_vccz .LBB23_858
; %bb.857:
	global_load_ubyte v1, v[2:3], off
	s_movk_i32 s8, 0xff
	v_mov_b32_e32 v5, 0x7e00
	s_mov_b64 s[0:1], 0
	s_waitcnt vmcnt(0)
	v_lshlrev_b32_e32 v4, 23, v1
	v_cvt_f16_f32_e32 v4, v4
	v_cmp_ne_u32_e32 vcc, s8, v1
	s_mov_b64 s[8:9], -1
	v_cndmask_b32_e32 v4, v5, v4, vcc
	v_cmp_ne_u32_e32 vcc, 0, v1
	v_cndmask_b32_e32 v5, 0, v4, vcc
	s_branch .LBB23_859
.LBB23_858:
	s_mov_b64 s[0:1], -1
                                        ; implicit-def: $vgpr5
.LBB23_859:
	s_mov_b64 s[10:11], 0
.LBB23_860:
	s_and_b64 vcc, exec, s[10:11]
	s_cbranch_vccz .LBB23_864
; %bb.861:
	v_cmp_eq_u16_e64 s[0:1], s77, 29
	s_and_b64 vcc, exec, s[0:1]
	s_cbranch_vccz .LBB23_863
; %bb.862:
	global_load_dwordx2 v[4:5], v[2:3], off
	s_mov_b64 s[0:1], 0
	s_mov_b64 s[8:9], -1
	s_mov_b64 s[10:11], 0
	s_waitcnt vmcnt(0)
	v_ffbh_u32_e32 v1, v5
	v_min_u32_e32 v1, 32, v1
	v_lshlrev_b64 v[4:5], v1, v[4:5]
	v_min_u32_e32 v4, 1, v4
	v_or_b32_e32 v4, v5, v4
	v_cvt_f32_u32_e32 v4, v4
	v_sub_u32_e32 v1, 32, v1
	v_ldexp_f32 v1, v4, v1
	v_cvt_f16_f32_e32 v5, v1
	s_branch .LBB23_865
.LBB23_863:
	s_mov_b64 s[0:1], -1
                                        ; implicit-def: $vgpr5
.LBB23_864:
	s_mov_b64 s[10:11], 0
.LBB23_865:
	s_and_b64 vcc, exec, s[10:11]
	s_cbranch_vccz .LBB23_883
; %bb.866:
	v_cmp_lt_i16_e64 s[8:9], s77, 27
	s_and_b64 vcc, exec, s[8:9]
	s_cbranch_vccnz .LBB23_869
; %bb.867:
	v_cmp_gt_i16_e64 s[8:9], s77, 27
	s_and_b64 vcc, exec, s[8:9]
	s_cbranch_vccz .LBB23_870
; %bb.868:
	global_load_dword v1, v[2:3], off
	s_mov_b64 s[8:9], 0
	s_waitcnt vmcnt(0)
	v_cvt_f32_u32_e32 v1, v1
	v_cvt_f16_f32_e32 v5, v1
	s_branch .LBB23_871
.LBB23_869:
	s_mov_b64 s[8:9], -1
                                        ; implicit-def: $vgpr5
	s_branch .LBB23_874
.LBB23_870:
	s_mov_b64 s[8:9], -1
                                        ; implicit-def: $vgpr5
.LBB23_871:
	s_andn2_b64 vcc, exec, s[8:9]
	s_cbranch_vccnz .LBB23_873
; %bb.872:
	global_load_ushort v1, v[2:3], off
	s_waitcnt vmcnt(0)
	v_cvt_f16_u16_e32 v5, v1
.LBB23_873:
	s_mov_b64 s[8:9], 0
.LBB23_874:
	s_andn2_b64 vcc, exec, s[8:9]
	s_cbranch_vccnz .LBB23_882
; %bb.875:
	global_load_ubyte v1, v[2:3], off
	s_movk_i32 s8, 0x7f
                                        ; implicit-def: $sgpr14
	s_waitcnt vmcnt(0)
	v_cmp_lt_i16_e32 vcc, s8, v1
	s_mov_b64 s[8:9], 0
	s_and_saveexec_b64 s[10:11], vcc
	s_xor_b64 s[10:11], exec, s[10:11]
	s_cbranch_execz .LBB23_896
; %bb.876:
	s_movk_i32 s8, 0x80
	v_cmp_eq_u16_e32 vcc, s8, v1
	s_mov_b64 s[8:9], -1
                                        ; implicit-def: $sgpr14
	s_and_saveexec_b64 s[12:13], vcc
; %bb.877:
	s_movk_i32 s14, 0x7e00
	s_xor_b64 s[8:9], exec, -1
; %bb.878:
	s_or_b64 exec, exec, s[12:13]
	s_and_b64 s[8:9], s[8:9], exec
	s_or_saveexec_b64 s[10:11], s[10:11]
	v_mov_b32_e32 v5, s14
	s_xor_b64 exec, exec, s[10:11]
	s_cbranch_execnz .LBB23_897
.LBB23_879:
	s_or_b64 exec, exec, s[10:11]
	s_and_saveexec_b64 s[10:11], s[8:9]
	s_cbranch_execz .LBB23_881
.LBB23_880:
	v_lshlrev_b32_e32 v4, 24, v1
	v_and_b32_e32 v1, 0xffff, v1
	v_and_b32_e32 v5, 7, v1
	v_ffbh_u32_e32 v7, v5
	v_min_u32_e32 v7, 32, v7
	v_subrev_u32_e32 v8, 28, v7
	v_bfe_u32 v6, v1, 3, 4
	v_lshlrev_b32_e32 v1, v8, v1
	v_sub_u32_e32 v7, 29, v7
	v_and_b32_e32 v1, 7, v1
	v_cmp_eq_u32_e32 vcc, 0, v6
	v_cndmask_b32_e32 v6, v6, v7, vcc
	v_cndmask_b32_e32 v1, v5, v1, vcc
	v_mov_b32_e32 v5, 0x3b800000
	v_lshlrev_b32_e32 v1, 20, v1
	v_and_b32_e32 v4, 0x80000000, v4
	v_lshl_add_u32 v5, v6, 23, v5
	v_or3_b32 v1, v4, v5, v1
	v_cvt_f16_f32_e32 v5, v1
.LBB23_881:
	s_or_b64 exec, exec, s[10:11]
.LBB23_882:
	s_mov_b64 s[8:9], -1
.LBB23_883:
	s_mov_b64 s[10:11], 0
.LBB23_884:
	s_and_b64 vcc, exec, s[10:11]
	s_cbranch_vccz .LBB23_917
; %bb.885:
	v_cmp_gt_i16_e64 s[2:3], s77, 22
	s_and_b64 vcc, exec, s[2:3]
	s_cbranch_vccz .LBB23_895
; %bb.886:
	v_cmp_lt_i16_e64 s[2:3], s77, 24
	s_and_b64 vcc, exec, s[2:3]
	s_cbranch_vccnz .LBB23_898
; %bb.887:
	v_cmp_gt_i16_e64 s[2:3], s77, 24
	s_and_b64 vcc, exec, s[2:3]
	s_cbranch_vccz .LBB23_899
; %bb.888:
	global_load_ubyte v1, v[2:3], off
	s_movk_i32 s2, 0x7f
                                        ; implicit-def: $sgpr12
	s_waitcnt vmcnt(0)
	v_cmp_lt_i16_e32 vcc, s2, v1
	s_mov_b64 s[2:3], 0
	s_and_saveexec_b64 s[8:9], vcc
	s_xor_b64 s[8:9], exec, s[8:9]
	s_cbranch_execz .LBB23_911
; %bb.889:
	s_movk_i32 s2, 0x80
	v_cmp_eq_u16_e32 vcc, s2, v1
	s_mov_b64 s[2:3], -1
                                        ; implicit-def: $sgpr12
	s_and_saveexec_b64 s[10:11], vcc
; %bb.890:
	s_movk_i32 s12, 0x7e00
	s_xor_b64 s[2:3], exec, -1
; %bb.891:
	s_or_b64 exec, exec, s[10:11]
	s_and_b64 s[2:3], s[2:3], exec
	s_or_saveexec_b64 s[8:9], s[8:9]
	v_mov_b32_e32 v5, s12
	s_xor_b64 exec, exec, s[8:9]
	s_cbranch_execnz .LBB23_912
.LBB23_892:
	s_or_b64 exec, exec, s[8:9]
	s_and_saveexec_b64 s[8:9], s[2:3]
	s_cbranch_execz .LBB23_894
.LBB23_893:
	v_lshlrev_b32_e32 v4, 24, v1
	v_and_b32_e32 v1, 0xffff, v1
	v_and_b32_e32 v5, 3, v1
	v_ffbh_u32_e32 v7, v5
	v_min_u32_e32 v7, 32, v7
	v_subrev_u32_e32 v8, 29, v7
	v_bfe_u32 v6, v1, 2, 5
	v_lshlrev_b32_e32 v1, v8, v1
	v_sub_u32_e32 v7, 30, v7
	v_and_b32_e32 v1, 3, v1
	v_cmp_eq_u32_e32 vcc, 0, v6
	v_cndmask_b32_e32 v6, v6, v7, vcc
	v_cndmask_b32_e32 v1, v5, v1, vcc
	v_mov_b32_e32 v5, 0x37800000
	v_lshlrev_b32_e32 v1, 21, v1
	v_and_b32_e32 v4, 0x80000000, v4
	v_lshl_add_u32 v5, v6, 23, v5
	v_or3_b32 v1, v4, v5, v1
	v_cvt_f16_f32_e32 v5, v1
.LBB23_894:
	s_or_b64 exec, exec, s[8:9]
	s_mov_b64 s[2:3], 0
	s_branch .LBB23_900
.LBB23_895:
	s_mov_b64 s[2:3], -1
                                        ; implicit-def: $vgpr5
	s_branch .LBB23_906
.LBB23_896:
	s_or_saveexec_b64 s[10:11], s[10:11]
	v_mov_b32_e32 v5, s14
	s_xor_b64 exec, exec, s[10:11]
	s_cbranch_execz .LBB23_879
.LBB23_897:
	v_cmp_ne_u16_e32 vcc, 0, v1
	s_andn2_b64 s[8:9], s[8:9], exec
	s_and_b64 s[12:13], vcc, exec
	s_or_b64 s[8:9], s[8:9], s[12:13]
	v_mov_b32_e32 v5, v1
	s_or_b64 exec, exec, s[10:11]
	s_and_saveexec_b64 s[10:11], s[8:9]
	s_cbranch_execnz .LBB23_880
	s_branch .LBB23_881
.LBB23_898:
	s_mov_b64 s[2:3], -1
                                        ; implicit-def: $vgpr5
	s_branch .LBB23_903
.LBB23_899:
	s_mov_b64 s[2:3], -1
                                        ; implicit-def: $vgpr5
.LBB23_900:
	s_and_b64 vcc, exec, s[2:3]
	s_cbranch_vccz .LBB23_902
; %bb.901:
	global_load_ubyte v1, v[2:3], off
	s_mov_b32 s2, 0x7f800000
	s_waitcnt vmcnt(0)
	v_lshlrev_b32_e32 v1, 24, v1
	v_and_b32_e32 v4, 0x7f000000, v1
	v_ffbh_u32_e32 v5, v4
	v_min_u32_e32 v5, 32, v5
	v_sub_u32_e64 v5, v5, 4 clamp
	v_lshlrev_b32_e32 v7, v5, v4
	v_lshlrev_b32_e32 v5, 23, v5
	v_lshrrev_b32_e32 v7, 4, v7
	v_add_u32_e32 v6, 0x1000000, v4
	v_sub_u32_e32 v5, v7, v5
	v_ashrrev_i32_e32 v6, 8, v6
	v_add_u32_e32 v5, 0x3c000000, v5
	v_and_or_b32 v5, v6, s2, v5
	v_cmp_ne_u32_e32 vcc, 0, v4
	v_cndmask_b32_e32 v4, 0, v5, vcc
	s_brev_b32 s2, 1
	v_and_or_b32 v1, v1, s2, v4
	v_cvt_f16_f32_e32 v5, v1
.LBB23_902:
	s_mov_b64 s[2:3], 0
.LBB23_903:
	s_andn2_b64 vcc, exec, s[2:3]
	s_cbranch_vccnz .LBB23_905
; %bb.904:
	global_load_ubyte v1, v[2:3], off
	s_movk_i32 s2, 0x7f00
	s_brev_b32 s3, 16
	s_waitcnt vmcnt(0)
	v_lshlrev_b16_e32 v4, 8, v1
	v_lshlrev_b32_e32 v1, 25, v1
	v_lshrrev_b32_e32 v5, 4, v1
	v_and_or_b32 v6, v4, s2, 0.5
	v_or_b32_e32 v5, 0x70000000, v5
	v_add_f32_e32 v6, -0.5, v6
	v_mul_f32_e32 v5, 0x7800000, v5
	v_cmp_gt_u32_e32 vcc, s3, v1
	v_bfe_i32 v4, v4, 0, 16
	v_cndmask_b32_e32 v1, v5, v6, vcc
	s_brev_b32 s2, 1
	v_and_or_b32 v1, v4, s2, v1
	v_cvt_f16_f32_e32 v5, v1
.LBB23_905:
	s_mov_b64 s[2:3], 0
	s_mov_b64 s[8:9], -1
.LBB23_906:
	s_andn2_b64 vcc, exec, s[2:3]
	s_mov_b64 s[2:3], 0
	s_cbranch_vccnz .LBB23_917
; %bb.907:
	v_cmp_gt_i16_e64 s[2:3], s77, 14
	s_and_b64 vcc, exec, s[2:3]
	s_cbranch_vccz .LBB23_910
; %bb.908:
	v_cmp_eq_u16_e64 s[0:1], s77, 15
	s_and_b64 vcc, exec, s[0:1]
	s_cbranch_vccz .LBB23_913
; %bb.909:
	global_load_ushort v1, v[2:3], off
	s_mov_b64 s[0:1], 0
	s_mov_b64 s[8:9], -1
	s_waitcnt vmcnt(0)
	v_lshlrev_b32_e32 v1, 16, v1
	v_cvt_f16_f32_e32 v5, v1
	s_branch .LBB23_914
.LBB23_910:
	s_mov_b64 s[10:11], -1
                                        ; implicit-def: $vgpr5
	s_branch .LBB23_915
.LBB23_911:
	s_or_saveexec_b64 s[8:9], s[8:9]
	v_mov_b32_e32 v5, s12
	s_xor_b64 exec, exec, s[8:9]
	s_cbranch_execz .LBB23_892
.LBB23_912:
	v_cmp_ne_u16_e32 vcc, 0, v1
	s_andn2_b64 s[2:3], s[2:3], exec
	s_and_b64 s[10:11], vcc, exec
	s_or_b64 s[2:3], s[2:3], s[10:11]
	v_mov_b32_e32 v5, v1
	s_or_b64 exec, exec, s[8:9]
	s_and_saveexec_b64 s[8:9], s[2:3]
	s_cbranch_execnz .LBB23_893
	s_branch .LBB23_894
.LBB23_913:
	s_mov_b64 s[0:1], -1
                                        ; implicit-def: $vgpr5
.LBB23_914:
	s_mov_b64 s[10:11], 0
.LBB23_915:
	s_mov_b64 s[2:3], 0
	s_and_b64 vcc, exec, s[10:11]
	s_cbranch_vccz .LBB23_917
; %bb.916:
	v_cmp_ne_u16_e64 s[10:11], s77, 11
	s_andn2_b64 s[0:1], s[0:1], exec
	s_and_b64 s[10:11], s[10:11], exec
	s_mov_b64 s[2:3], -1
	s_or_b64 s[0:1], s[0:1], s[10:11]
                                        ; implicit-def: $vgpr5
.LBB23_917:
	s_mov_b64 s[12:13], 0
.LBB23_918:
	s_and_b64 s[10:11], s[8:9], exec
	s_and_b64 s[8:9], s[12:13], exec
	s_andn2_b64 s[12:13], s[66:67], exec
	s_and_b64 s[0:1], s[0:1], exec
	s_and_b64 s[2:3], s[2:3], exec
	s_or_b64 s[12:13], s[12:13], s[0:1]
.LBB23_919:
	s_or_b64 exec, exec, s[70:71]
	s_and_b64 s[0:1], s[2:3], exec
	s_andn2_b64 s[2:3], s[66:67], exec
	s_and_b64 s[12:13], s[12:13], exec
	s_and_b64 s[10:11], s[10:11], exec
	;; [unrolled: 1-line block ×3, first 2 shown]
	s_or_b64 s[66:67], s[2:3], s[12:13]
.LBB23_920:
	s_or_b64 exec, exec, s[64:65]
	s_andn2_b64 s[2:3], s[60:61], exec
	s_and_b64 s[12:13], s[68:69], exec
	s_or_b64 s[60:61], s[2:3], s[12:13]
	s_and_b64 s[2:3], s[0:1], exec
	s_andn2_b64 s[0:1], s[58:59], exec
	s_and_b64 s[12:13], s[66:67], exec
	s_and_b64 s[10:11], s[10:11], exec
	;; [unrolled: 1-line block ×3, first 2 shown]
	s_or_b64 s[58:59], s[0:1], s[12:13]
.LBB23_921:
	s_or_b64 exec, exec, s[62:63]
	s_andn2_b64 s[0:1], s[52:53], exec
	s_and_b64 s[12:13], s[60:61], exec
	s_or_b64 s[52:53], s[0:1], s[12:13]
	s_and_b64 s[0:1], s[10:11], exec
	s_and_b64 s[10:11], s[8:9], exec
	;; [unrolled: 1-line block ×3, first 2 shown]
	s_andn2_b64 s[2:3], s[54:55], exec
	s_and_b64 s[8:9], s[58:59], exec
	s_or_b64 s[54:55], s[2:3], s[8:9]
	s_or_b64 exec, exec, s[56:57]
	s_mov_b64 s[2:3], 0
	s_and_saveexec_b64 s[8:9], s[54:55]
	s_cbranch_execz .LBB23_276
.LBB23_922:
	s_mov_b64 s[2:3], exec
	s_andn2_b64 s[60:61], s[60:61], exec
	s_trap 2
                                        ; implicit-def: $vgpr5
	s_or_b64 exec, exec, s[8:9]
	s_and_saveexec_b64 s[8:9], s[60:61]
	s_xor_b64 s[8:9], exec, s[8:9]
	s_cbranch_execnz .LBB23_277
.LBB23_923:
	s_or_b64 exec, exec, s[8:9]
	s_and_saveexec_b64 s[8:9], s[10:11]
	s_cbranch_execz .LBB23_969
.LBB23_924:
	v_cmp_lt_i16_e64 s[10:11], s77, 5
	s_and_b64 vcc, exec, s[10:11]
	s_cbranch_vccnz .LBB23_929
; %bb.925:
	v_cmp_lt_i16_e64 s[10:11], s77, 8
	s_and_b64 vcc, exec, s[10:11]
	s_cbranch_vccnz .LBB23_930
; %bb.926:
	;; [unrolled: 4-line block ×3, first 2 shown]
	v_cmp_gt_i16_e64 s[10:11], s77, 9
	s_and_b64 vcc, exec, s[10:11]
	s_cbranch_vccz .LBB23_932
; %bb.928:
	global_load_dwordx2 v[4:5], v[2:3], off
	s_mov_b64 s[10:11], 0
	s_waitcnt vmcnt(0)
	v_cvt_f32_f64_e32 v1, v[4:5]
	v_cvt_f16_f32_e32 v5, v1
	s_branch .LBB23_933
.LBB23_929:
                                        ; implicit-def: $vgpr5
	s_branch .LBB23_950
.LBB23_930:
                                        ; implicit-def: $vgpr5
	s_branch .LBB23_939
.LBB23_931:
	s_mov_b64 s[10:11], -1
                                        ; implicit-def: $vgpr5
	s_branch .LBB23_936
.LBB23_932:
	s_mov_b64 s[10:11], -1
                                        ; implicit-def: $vgpr5
.LBB23_933:
	s_andn2_b64 vcc, exec, s[10:11]
	s_cbranch_vccnz .LBB23_935
; %bb.934:
	global_load_dword v1, v[2:3], off
	s_waitcnt vmcnt(0)
	v_cvt_f16_f32_e32 v5, v1
.LBB23_935:
	s_mov_b64 s[10:11], 0
.LBB23_936:
	s_andn2_b64 vcc, exec, s[10:11]
	s_cbranch_vccnz .LBB23_938
; %bb.937:
	global_load_dword v5, v[2:3], off
.LBB23_938:
	s_cbranch_execnz .LBB23_949
.LBB23_939:
	v_cmp_lt_i16_e64 s[10:11], s77, 6
	s_and_b64 vcc, exec, s[10:11]
	s_cbranch_vccnz .LBB23_942
; %bb.940:
	v_cmp_gt_i16_e64 s[10:11], s77, 6
	s_and_b64 vcc, exec, s[10:11]
	s_cbranch_vccz .LBB23_943
; %bb.941:
	global_load_dwordx2 v[4:5], v[2:3], off
	s_mov_b64 s[10:11], 0
	s_waitcnt vmcnt(0)
	v_cvt_f32_f64_e32 v1, v[4:5]
	v_cvt_f16_f32_e32 v5, v1
	s_branch .LBB23_944
.LBB23_942:
	s_mov_b64 s[10:11], -1
                                        ; implicit-def: $vgpr5
	s_branch .LBB23_947
.LBB23_943:
	s_mov_b64 s[10:11], -1
                                        ; implicit-def: $vgpr5
.LBB23_944:
	s_andn2_b64 vcc, exec, s[10:11]
	s_cbranch_vccnz .LBB23_946
; %bb.945:
	global_load_dword v1, v[2:3], off
	s_waitcnt vmcnt(0)
	v_cvt_f16_f32_e32 v5, v1
.LBB23_946:
	s_mov_b64 s[10:11], 0
.LBB23_947:
	s_andn2_b64 vcc, exec, s[10:11]
	s_cbranch_vccnz .LBB23_949
; %bb.948:
	global_load_ushort v5, v[2:3], off
.LBB23_949:
	s_cbranch_execnz .LBB23_968
.LBB23_950:
	v_cmp_lt_i16_e64 s[10:11], s77, 2
	s_and_b64 vcc, exec, s[10:11]
	s_cbranch_vccnz .LBB23_954
; %bb.951:
	v_cmp_lt_i16_e64 s[10:11], s77, 3
	s_and_b64 vcc, exec, s[10:11]
	s_cbranch_vccnz .LBB23_955
; %bb.952:
	v_cmp_gt_i16_e64 s[10:11], s77, 3
	s_and_b64 vcc, exec, s[10:11]
	s_cbranch_vccz .LBB23_956
; %bb.953:
	global_load_dwordx2 v[4:5], v[2:3], off
	s_mov_b64 s[10:11], 0
	s_waitcnt vmcnt(0)
	v_xor_b32_e32 v6, v4, v5
	v_ffbh_i32_e32 v1, v5
	v_ashrrev_i32_e32 v6, 31, v6
	v_add_u32_e32 v1, -1, v1
	v_add_u32_e32 v6, 32, v6
	v_min_u32_e32 v1, v1, v6
	v_lshlrev_b64 v[4:5], v1, v[4:5]
	v_min_u32_e32 v4, 1, v4
	v_or_b32_e32 v4, v5, v4
	v_cvt_f32_i32_e32 v4, v4
	v_sub_u32_e32 v1, 32, v1
	v_ldexp_f32 v1, v4, v1
	v_cvt_f16_f32_e32 v5, v1
	s_branch .LBB23_957
.LBB23_954:
                                        ; implicit-def: $vgpr5
	s_branch .LBB23_963
.LBB23_955:
	s_mov_b64 s[10:11], -1
                                        ; implicit-def: $vgpr5
	s_branch .LBB23_960
.LBB23_956:
	s_mov_b64 s[10:11], -1
                                        ; implicit-def: $vgpr5
.LBB23_957:
	s_andn2_b64 vcc, exec, s[10:11]
	s_cbranch_vccnz .LBB23_959
; %bb.958:
	global_load_dword v1, v[2:3], off
	s_waitcnt vmcnt(0)
	v_cvt_f32_i32_e32 v1, v1
	v_cvt_f16_f32_e32 v5, v1
.LBB23_959:
	s_mov_b64 s[10:11], 0
.LBB23_960:
	s_andn2_b64 vcc, exec, s[10:11]
	s_cbranch_vccnz .LBB23_962
; %bb.961:
	global_load_ushort v1, v[2:3], off
	s_waitcnt vmcnt(0)
	v_cvt_f16_i16_e32 v5, v1
.LBB23_962:
	s_cbranch_execnz .LBB23_968
.LBB23_963:
	v_cmp_gt_i16_e64 s[10:11], s77, 0
	s_and_b64 vcc, exec, s[10:11]
	s_cbranch_vccz .LBB23_965
; %bb.964:
	global_load_sbyte v1, v[2:3], off
	s_mov_b64 s[10:11], 0
	s_waitcnt vmcnt(0)
	v_cvt_f16_i16_e32 v5, v1
	s_branch .LBB23_966
.LBB23_965:
	s_mov_b64 s[10:11], -1
                                        ; implicit-def: $vgpr5
.LBB23_966:
	s_andn2_b64 vcc, exec, s[10:11]
	s_cbranch_vccnz .LBB23_968
; %bb.967:
	global_load_ubyte v1, v[2:3], off
	s_waitcnt vmcnt(0)
	v_cvt_f16_u16_e32 v5, v1
.LBB23_968:
	s_or_b64 s[0:1], s[0:1], exec
.LBB23_969:
	s_or_b64 exec, exec, s[8:9]
	s_mov_b64 s[12:13], 0
	s_mov_b64 s[10:11], 0
                                        ; implicit-def: $vgpr4
                                        ; implicit-def: $vgpr2_vgpr3
                                        ; implicit-def: $vgpr1
	s_and_saveexec_b64 s[8:9], s[0:1]
	s_cbranch_execz .LBB23_987
; %bb.970:
	s_waitcnt vmcnt(0)
	v_cmp_nge_f16_e64 s[0:1], v5, -s76
	v_cmp_nge_f16_e32 vcc, s76, v5
	s_or_b64 vcc, s[0:1], vcc
	v_cndmask_b32_e32 v1, 0, v5, vcc
	v_mov_b32_e32 v3, s25
	v_add_co_u32_e32 v2, vcc, s24, v0
	v_mov_b32_e32 v0, 0xff
	v_addc_co_u32_e32 v3, vcc, 0, v3, vcc
	v_and_b32_e32 v4, s75, v0
	v_cmp_gt_i16_e32 vcc, 11, v4
	s_cbranch_vccnz .LBB23_990
; %bb.971:
	v_cmp_lt_i16_e32 vcc, 25, v4
	s_mov_b64 s[12:13], -1
	s_mov_b64 s[0:1], s[52:53]
	s_cbranch_vccz .LBB23_1008
; %bb.972:
	v_cmp_lt_i16_e32 vcc, 28, v4
	s_mov_b64 s[10:11], -1
	s_mov_b64 s[0:1], s[52:53]
	s_cbranch_vccz .LBB23_992
; %bb.973:
	v_cmp_lt_i16_e32 vcc, 43, v4
	s_mov_b64 s[0:1], s[52:53]
	s_cbranch_vccz .LBB23_984
; %bb.974:
	v_cmp_lt_i16_e32 vcc, 45, v4
	s_mov_b64 s[0:1], s[52:53]
	s_cbranch_vccz .LBB23_978
; %bb.975:
	v_cmp_eq_u16_e32 vcc, 46, v4
	s_mov_b64 s[0:1], -1
	s_cbranch_vccz .LBB23_977
; %bb.976:
	v_cvt_f32_f16_e32 v0, v1
	s_movk_i32 s0, 0x7fff
	v_mov_b32_e32 v5, 0x7fc0
	v_cmp_o_f16_e32 vcc, v1, v1
	v_bfe_u32 v6, v0, 16, 1
	v_add3_u32 v0, v0, v6, s0
	v_lshrrev_b32_e32 v0, 16, v0
	v_cndmask_b32_e32 v0, v5, v0, vcc
	global_store_dword v[2:3], v0, off
	s_mov_b64 s[0:1], 0
.LBB23_977:
	s_mov_b64 s[10:11], 0
.LBB23_978:
	s_and_b64 vcc, exec, s[10:11]
	s_cbranch_vccz .LBB23_983
; %bb.979:
	v_cmp_eq_u16_e32 vcc, 44, v4
	s_mov_b64 s[0:1], -1
	s_cbranch_vccz .LBB23_983
; %bb.980:
	v_cvt_f32_f16_e32 v0, v1
	s_movk_i32 s0, 0xff
	v_mov_b32_e32 v6, 0xff
	v_bfe_u32 v5, v0, 23, 8
	v_cmp_ne_u32_e32 vcc, s0, v5
	s_and_saveexec_b64 s[10:11], vcc
; %bb.981:
	s_mov_b32 s0, 0x3fffff
	v_lshrrev_b32_e32 v6, 23, v0
	v_and_b32_e32 v7, 0x400000, v0
	v_and_or_b32 v0, v0, s0, v5
	v_cmp_ne_u32_e32 vcc, 0, v7
	v_cmp_ne_u32_e64 s[0:1], 0, v0
	s_and_b64 s[0:1], vcc, s[0:1]
	v_cndmask_b32_e64 v0, 0, 1, s[0:1]
	v_add_u32_e32 v6, v6, v0
; %bb.982:
	s_or_b64 exec, exec, s[10:11]
	s_mov_b64 s[0:1], 0
	global_store_byte v[2:3], v6, off
.LBB23_983:
	s_mov_b64 s[10:11], 0
.LBB23_984:
	s_and_b64 vcc, exec, s[10:11]
	s_cbranch_vccz .LBB23_991
; %bb.985:
	v_cmp_eq_u16_e32 vcc, 29, v4
	s_mov_b64 s[0:1], -1
	s_cbranch_vccz .LBB23_991
; %bb.986:
	v_cvt_f32_f16_e32 v0, v1
	v_mov_b32_e32 v7, 0
	s_mov_b64 s[0:1], 0
	s_mov_b64 s[10:11], 0
	v_cvt_u32_f32_e32 v6, v0
	global_store_dwordx2 v[2:3], v[6:7], off
	s_branch .LBB23_992
.LBB23_987:
	s_or_b64 exec, exec, s[8:9]
	s_and_saveexec_b64 s[0:1], s[52:53]
	s_cbranch_execnz .LBB23_1050
.LBB23_988:
	s_or_b64 exec, exec, s[0:1]
	s_and_saveexec_b64 s[0:1], s[12:13]
	s_xor_b64 s[0:1], exec, s[0:1]
	s_cbranch_execz .LBB23_1051
.LBB23_989:
	s_waitcnt vmcnt(0)
	v_and_b32_e32 v0, 0x7fff, v1
	v_cmp_ne_u16_e32 vcc, 0, v0
	v_cndmask_b32_e64 v0, 0, 1, vcc
	global_store_byte v[2:3], v0, off
	s_or_b64 exec, exec, s[0:1]
	s_and_saveexec_b64 s[0:1], s[10:11]
	s_xor_b64 s[0:1], exec, s[0:1]
	s_cbranch_execz .LBB23_1089
	s_branch .LBB23_1052
.LBB23_990:
	s_mov_b64 s[10:11], -1
	s_mov_b64 s[0:1], s[52:53]
	s_branch .LBB23_1049
.LBB23_991:
	s_mov_b64 s[10:11], 0
.LBB23_992:
	s_and_b64 vcc, exec, s[10:11]
	s_cbranch_vccz .LBB23_1007
; %bb.993:
	v_cmp_gt_i16_e32 vcc, 27, v4
	s_mov_b64 s[10:11], -1
	s_cbranch_vccnz .LBB23_999
; %bb.994:
	v_cmp_lt_i16_e32 vcc, 27, v4
	s_cbranch_vccz .LBB23_996
; %bb.995:
	v_cvt_f32_f16_e32 v0, v1
	s_mov_b64 s[10:11], 0
	v_cvt_u32_f32_e32 v0, v0
	global_store_dword v[2:3], v0, off
.LBB23_996:
	s_andn2_b64 vcc, exec, s[10:11]
	s_cbranch_vccnz .LBB23_998
; %bb.997:
	v_cvt_u16_f16_e32 v0, v1
	global_store_short v[2:3], v0, off
.LBB23_998:
	s_mov_b64 s[10:11], 0
.LBB23_999:
	s_andn2_b64 vcc, exec, s[10:11]
	s_cbranch_vccnz .LBB23_1007
; %bb.1000:
	v_cvt_f32_f16_e32 v0, v1
	s_mov_b32 s10, 0x43800000
	v_mov_b32_e32 v6, 0x80
	v_and_b32_e32 v5, 0x7fffffff, v0
	v_cmp_gt_u32_e32 vcc, s10, v5
	s_and_saveexec_b64 s[10:11], vcc
	s_cbranch_execz .LBB23_1006
; %bb.1001:
	s_mov_b32 s12, 0x3bffffff
	v_cmp_lt_u32_e32 vcc, s12, v5
	s_mov_b64 s[12:13], 0
                                        ; implicit-def: $vgpr5
	s_and_saveexec_b64 s[14:15], vcc
	s_xor_b64 s[14:15], exec, s[14:15]
	s_cbranch_execz .LBB23_1160
; %bb.1002:
	v_bfe_u32 v5, v0, 20, 1
	s_mov_b32 s16, 0x487ffff
	v_add3_u32 v5, v0, v5, s16
	s_mov_b64 s[12:13], exec
	v_lshrrev_b32_e32 v5, 20, v5
	s_or_saveexec_b64 s[14:15], s[14:15]
                                        ; implicit-def: $sgpr16
	s_xor_b64 exec, exec, s[14:15]
	s_cbranch_execnz .LBB23_1161
.LBB23_1003:
	s_or_b64 exec, exec, s[14:15]
	v_mov_b32_e32 v6, s16
	s_and_saveexec_b64 s[14:15], s[12:13]
.LBB23_1004:
	v_lshrrev_b32_e32 v0, 24, v0
	s_movk_i32 s12, 0x80
	v_and_or_b32 v6, v0, s12, v5
.LBB23_1005:
	s_or_b64 exec, exec, s[14:15]
.LBB23_1006:
	s_or_b64 exec, exec, s[10:11]
	global_store_byte v[2:3], v6, off
.LBB23_1007:
	s_mov_b64 s[12:13], 0
.LBB23_1008:
	s_mov_b64 s[10:11], 0
	s_and_b64 vcc, exec, s[12:13]
	s_cbranch_vccz .LBB23_1048
; %bb.1009:
	v_cmp_lt_i16_e32 vcc, 22, v4
	s_mov_b64 s[12:13], -1
	s_cbranch_vccz .LBB23_1041
; %bb.1010:
	v_cmp_gt_i16_e32 vcc, 24, v4
	s_cbranch_vccnz .LBB23_1030
; %bb.1011:
	v_cmp_lt_i16_e32 vcc, 24, v4
	s_cbranch_vccz .LBB23_1019
; %bb.1012:
	v_cvt_f32_f16_e32 v0, v1
	s_mov_b32 s12, 0x47800000
	v_mov_b32_e32 v6, 0x80
	v_and_b32_e32 v5, 0x7fffffff, v0
	v_cmp_gt_u32_e32 vcc, s12, v5
	s_and_saveexec_b64 s[12:13], vcc
	s_cbranch_execz .LBB23_1018
; %bb.1013:
	s_mov_b32 s14, 0x37ffffff
	v_cmp_lt_u32_e32 vcc, s14, v5
	s_mov_b64 s[14:15], 0
                                        ; implicit-def: $vgpr5
	s_and_saveexec_b64 s[16:17], vcc
	s_xor_b64 s[16:17], exec, s[16:17]
	s_cbranch_execz .LBB23_1285
; %bb.1014:
	v_bfe_u32 v5, v0, 21, 1
	s_mov_b32 s18, 0x88fffff
	v_add3_u32 v5, v0, v5, s18
	s_mov_b64 s[14:15], exec
	v_lshrrev_b32_e32 v5, 21, v5
	s_or_saveexec_b64 s[16:17], s[16:17]
                                        ; implicit-def: $sgpr18
	s_xor_b64 exec, exec, s[16:17]
	s_cbranch_execnz .LBB23_1286
.LBB23_1015:
	s_or_b64 exec, exec, s[16:17]
	v_mov_b32_e32 v6, s18
	s_and_saveexec_b64 s[16:17], s[14:15]
.LBB23_1016:
	v_lshrrev_b32_e32 v0, 24, v0
	s_movk_i32 s14, 0x80
	v_and_or_b32 v6, v0, s14, v5
.LBB23_1017:
	s_or_b64 exec, exec, s[16:17]
.LBB23_1018:
	s_or_b64 exec, exec, s[12:13]
	s_mov_b64 s[12:13], 0
	global_store_byte v[2:3], v6, off
.LBB23_1019:
	s_and_b64 vcc, exec, s[12:13]
	s_cbranch_vccz .LBB23_1029
; %bb.1020:
	v_cvt_f32_f16_e32 v0, v1
	s_mov_b32 s12, 0x43f00000
                                        ; implicit-def: $vgpr5
	v_and_b32_e32 v6, 0x7fffffff, v0
	v_cmp_gt_u32_e32 vcc, s12, v6
	s_and_saveexec_b64 s[12:13], vcc
	s_xor_b64 s[12:13], exec, s[12:13]
	s_cbranch_execz .LBB23_1026
; %bb.1021:
	s_mov_b32 s14, 0x3c7fffff
	v_cmp_lt_u32_e32 vcc, s14, v6
                                        ; implicit-def: $vgpr5
	s_and_saveexec_b64 s[14:15], vcc
	s_xor_b64 s[14:15], exec, s[14:15]
; %bb.1022:
	v_bfe_u32 v5, v0, 20, 1
	s_mov_b32 s16, 0x407ffff
	v_add3_u32 v5, v0, v5, s16
	v_lshrrev_b32_e32 v6, 20, v5
	v_and_b32_e32 v5, 0xff00000, v5
	s_mov_b32 s16, 0x7f00000
	v_mov_b32_e32 v7, 0x7e
	v_cmp_ne_u32_e32 vcc, s16, v5
	v_cndmask_b32_e32 v5, v7, v6, vcc
; %bb.1023:
	s_andn2_saveexec_b64 s[14:15], s[14:15]
; %bb.1024:
	s_mov_b32 s16, 0x46800000
	v_add_f32_e64 v5, |v0|, s16
; %bb.1025:
	s_or_b64 exec, exec, s[14:15]
                                        ; implicit-def: $vgpr6
.LBB23_1026:
	s_andn2_saveexec_b64 s[12:13], s[12:13]
; %bb.1027:
	s_mov_b32 s14, 0x7f800000
	v_mov_b32_e32 v5, 0x7e
	v_mov_b32_e32 v7, 0x7f
	v_cmp_lt_u32_e32 vcc, s14, v6
	v_cndmask_b32_e32 v5, v5, v7, vcc
; %bb.1028:
	s_or_b64 exec, exec, s[12:13]
	v_lshrrev_b32_e32 v0, 24, v0
	s_movk_i32 s12, 0x80
	v_and_or_b32 v0, v0, s12, v5
	global_store_byte v[2:3], v0, off
.LBB23_1029:
	s_mov_b64 s[12:13], 0
.LBB23_1030:
	s_andn2_b64 vcc, exec, s[12:13]
	s_cbranch_vccnz .LBB23_1040
; %bb.1031:
	v_cvt_f32_f16_e32 v0, v1
	s_mov_b32 s12, 0x47800000
                                        ; implicit-def: $vgpr5
	v_and_b32_e32 v6, 0x7fffffff, v0
	v_cmp_gt_u32_e32 vcc, s12, v6
	s_and_saveexec_b64 s[12:13], vcc
	s_xor_b64 s[12:13], exec, s[12:13]
	s_cbranch_execz .LBB23_1037
; %bb.1032:
	s_mov_b32 s14, 0x387fffff
	v_cmp_lt_u32_e32 vcc, s14, v6
                                        ; implicit-def: $vgpr5
	s_and_saveexec_b64 s[14:15], vcc
	s_xor_b64 s[14:15], exec, s[14:15]
; %bb.1033:
	v_bfe_u32 v5, v0, 21, 1
	s_mov_b32 s16, 0x80fffff
	v_add3_u32 v5, v0, v5, s16
	v_lshrrev_b32_e32 v5, 21, v5
; %bb.1034:
	s_andn2_saveexec_b64 s[14:15], s[14:15]
; %bb.1035:
	s_mov_b32 s16, 0x43000000
	v_add_f32_e64 v5, |v0|, s16
; %bb.1036:
	s_or_b64 exec, exec, s[14:15]
                                        ; implicit-def: $vgpr6
.LBB23_1037:
	s_andn2_saveexec_b64 s[12:13], s[12:13]
; %bb.1038:
	s_mov_b32 s14, 0x7f800000
	v_mov_b32_e32 v5, 0x7c
	v_mov_b32_e32 v7, 0x7f
	v_cmp_lt_u32_e32 vcc, s14, v6
	v_cndmask_b32_e32 v5, v5, v7, vcc
; %bb.1039:
	s_or_b64 exec, exec, s[12:13]
	v_lshrrev_b32_e32 v0, 24, v0
	s_movk_i32 s12, 0x80
	v_and_or_b32 v0, v0, s12, v5
	global_store_byte v[2:3], v0, off
.LBB23_1040:
	s_mov_b64 s[12:13], 0
.LBB23_1041:
	s_andn2_b64 vcc, exec, s[12:13]
	s_mov_b64 s[12:13], 0
	s_cbranch_vccnz .LBB23_1049
; %bb.1042:
	v_cmp_lt_i16_e32 vcc, 14, v4
	s_mov_b64 s[14:15], -1
	s_cbranch_vccz .LBB23_1046
; %bb.1043:
	v_cmp_eq_u16_e32 vcc, 15, v4
	s_mov_b64 s[0:1], -1
	s_cbranch_vccz .LBB23_1045
; %bb.1044:
	v_cvt_f32_f16_e32 v0, v1
	s_movk_i32 s0, 0x7fff
	v_mov_b32_e32 v5, 0x7fc0
	v_cmp_o_f16_e32 vcc, v1, v1
	v_bfe_u32 v6, v0, 16, 1
	v_add3_u32 v0, v0, v6, s0
	v_lshrrev_b32_e32 v0, 16, v0
	v_cndmask_b32_e32 v0, v5, v0, vcc
	global_store_short v[2:3], v0, off
	s_mov_b64 s[0:1], 0
.LBB23_1045:
	s_mov_b64 s[14:15], 0
.LBB23_1046:
	s_and_b64 vcc, exec, s[14:15]
	s_cbranch_vccz .LBB23_1049
; %bb.1047:
	v_cmp_ne_u16_e32 vcc, 11, v4
	s_andn2_b64 s[0:1], s[0:1], exec
	s_and_b64 s[14:15], vcc, exec
	s_mov_b64 s[12:13], -1
	s_or_b64 s[0:1], s[0:1], s[14:15]
	s_branch .LBB23_1049
.LBB23_1048:
	s_mov_b64 s[12:13], 0
.LBB23_1049:
	s_andn2_b64 s[14:15], s[52:53], exec
	s_and_b64 s[0:1], s[0:1], exec
	s_and_b64 s[10:11], s[10:11], exec
	;; [unrolled: 1-line block ×3, first 2 shown]
	s_or_b64 s[52:53], s[14:15], s[0:1]
	s_or_b64 exec, exec, s[8:9]
	s_and_saveexec_b64 s[0:1], s[52:53]
	s_cbranch_execz .LBB23_988
.LBB23_1050:
	s_or_b64 s[2:3], s[2:3], exec
	s_andn2_b64 s[12:13], s[12:13], exec
	s_trap 2
	s_or_b64 exec, exec, s[0:1]
	s_and_saveexec_b64 s[0:1], s[12:13]
	s_xor_b64 s[0:1], exec, s[0:1]
	s_cbranch_execnz .LBB23_989
.LBB23_1051:
	s_or_b64 exec, exec, s[0:1]
	s_and_saveexec_b64 s[0:1], s[10:11]
	s_xor_b64 s[0:1], exec, s[0:1]
	s_cbranch_execz .LBB23_1089
.LBB23_1052:
	v_cmp_gt_i16_e32 vcc, 5, v4
	s_mov_b64 s[8:9], -1
	s_cbranch_vccnz .LBB23_1073
; %bb.1053:
	v_cmp_gt_i16_e32 vcc, 8, v4
	s_cbranch_vccnz .LBB23_1063
; %bb.1054:
	v_cmp_gt_i16_e32 vcc, 9, v4
	s_cbranch_vccnz .LBB23_1060
; %bb.1055:
	v_cmp_lt_i16_e32 vcc, 9, v4
	s_cbranch_vccz .LBB23_1057
; %bb.1056:
	s_waitcnt vmcnt(0)
	v_cvt_f32_f16_e32 v0, v1
	v_mov_b32_e32 v8, 0
	v_mov_b32_e32 v9, v8
	s_mov_b64 s[8:9], 0
	v_cvt_f64_f32_e32 v[6:7], v0
	global_store_dwordx4 v[2:3], v[6:9], off
.LBB23_1057:
	s_andn2_b64 vcc, exec, s[8:9]
	s_cbranch_vccnz .LBB23_1059
; %bb.1058:
	s_waitcnt vmcnt(0)
	v_cvt_f32_f16_e32 v6, v1
	v_mov_b32_e32 v7, 0
	global_store_dwordx2 v[2:3], v[6:7], off
.LBB23_1059:
	s_mov_b64 s[8:9], 0
.LBB23_1060:
	s_andn2_b64 vcc, exec, s[8:9]
	s_cbranch_vccnz .LBB23_1062
; %bb.1061:
	s_waitcnt vmcnt(0)
	v_and_b32_e32 v0, 0xffff, v1
	global_store_dword v[2:3], v0, off
.LBB23_1062:
	s_mov_b64 s[8:9], 0
.LBB23_1063:
	s_andn2_b64 vcc, exec, s[8:9]
	s_cbranch_vccnz .LBB23_1072
; %bb.1064:
	v_cmp_gt_i16_e32 vcc, 6, v4
	s_mov_b64 s[8:9], -1
	s_cbranch_vccnz .LBB23_1070
; %bb.1065:
	v_cmp_lt_i16_e32 vcc, 6, v4
	s_cbranch_vccz .LBB23_1067
; %bb.1066:
	s_waitcnt vmcnt(0)
	v_cvt_f32_f16_e32 v0, v1
	s_mov_b64 s[8:9], 0
	v_cvt_f64_f32_e32 v[6:7], v0
	global_store_dwordx2 v[2:3], v[6:7], off
.LBB23_1067:
	s_andn2_b64 vcc, exec, s[8:9]
	s_cbranch_vccnz .LBB23_1069
; %bb.1068:
	s_waitcnt vmcnt(0)
	v_cvt_f32_f16_e32 v0, v1
	global_store_dword v[2:3], v0, off
.LBB23_1069:
	s_mov_b64 s[8:9], 0
.LBB23_1070:
	s_andn2_b64 vcc, exec, s[8:9]
	s_cbranch_vccnz .LBB23_1072
; %bb.1071:
	s_waitcnt vmcnt(0)
	global_store_short v[2:3], v1, off
.LBB23_1072:
	s_mov_b64 s[8:9], 0
.LBB23_1073:
	s_andn2_b64 vcc, exec, s[8:9]
	s_cbranch_vccnz .LBB23_1089
; %bb.1074:
	v_cmp_gt_i16_e32 vcc, 2, v4
	s_mov_b64 s[8:9], -1
	s_cbranch_vccnz .LBB23_1084
; %bb.1075:
	v_cmp_gt_i16_e32 vcc, 3, v4
	s_cbranch_vccnz .LBB23_1081
; %bb.1076:
	v_cmp_lt_i16_e32 vcc, 3, v4
	s_cbranch_vccz .LBB23_1078
; %bb.1077:
	s_waitcnt vmcnt(0)
	v_cvt_f32_f16_e32 v0, v1
	s_mov_b64 s[8:9], 0
	v_cvt_i32_f32_e32 v6, v0
	v_ashrrev_i32_e32 v7, 31, v6
	global_store_dwordx2 v[2:3], v[6:7], off
.LBB23_1078:
	s_andn2_b64 vcc, exec, s[8:9]
	s_cbranch_vccnz .LBB23_1080
; %bb.1079:
	s_waitcnt vmcnt(0)
	v_cvt_f32_f16_e32 v0, v1
	v_cvt_i32_f32_e32 v0, v0
	global_store_dword v[2:3], v0, off
.LBB23_1080:
	s_mov_b64 s[8:9], 0
.LBB23_1081:
	s_andn2_b64 vcc, exec, s[8:9]
	s_cbranch_vccnz .LBB23_1083
; %bb.1082:
	s_waitcnt vmcnt(0)
	v_cvt_i16_f16_e32 v0, v1
	global_store_short v[2:3], v0, off
.LBB23_1083:
	s_mov_b64 s[8:9], 0
.LBB23_1084:
	s_andn2_b64 vcc, exec, s[8:9]
	s_cbranch_vccnz .LBB23_1089
; %bb.1085:
	v_cmp_lt_i16_e32 vcc, 0, v4
	s_mov_b64 s[8:9], -1
	s_cbranch_vccz .LBB23_1087
; %bb.1086:
	s_waitcnt vmcnt(0)
	v_cvt_i16_f16_e32 v0, v1
	s_mov_b64 s[8:9], 0
	global_store_byte v[2:3], v0, off
.LBB23_1087:
	s_andn2_b64 vcc, exec, s[8:9]
	s_cbranch_vccnz .LBB23_1089
; %bb.1088:
	s_waitcnt vmcnt(0)
	v_cvt_f32_f16_e32 v0, v1
	v_cvt_i32_f32_e32 v0, v0
	global_store_byte v[2:3], v0, off
.LBB23_1089:
	s_or_b64 exec, exec, s[0:1]
	s_and_b64 s[28:29], s[2:3], exec
                                        ; implicit-def: $vgpr9
                                        ; implicit-def: $vgpr8
.LBB23_1090:
	s_or_saveexec_b64 s[30:31], s[42:43]
	s_mov_b64 s[0:1], 0
                                        ; implicit-def: $vgpr0_vgpr1
                                        ; implicit-def: $vgpr3
                                        ; implicit-def: $vgpr2
	s_xor_b64 exec, exec, s[30:31]
	s_cbranch_execz .LBB23_2114
; %bb.1091:
	v_cndmask_b32_e64 v0, 0, 1, s[40:41]
	v_cmp_ne_u32_e64 s[0:1], 1, v0
	s_andn2_b64 vcc, exec, s[40:41]
	s_cbranch_vccnz .LBB23_1098
; %bb.1092:
	s_mov_b32 s2, 0
	s_cmp_lg_u32 s33, 0
	v_mov_b32_e32 v14, 0
	v_mov_b32_e32 v6, 0
	s_cbranch_scc0 .LBB23_1097
; %bb.1093:
	s_min_u32 s38, s74, 15
	s_add_i32 s38, s38, 1
	s_cmp_eq_u32 s74, 2
	s_cbranch_scc1 .LBB23_1099
; %bb.1094:
	s_add_u32 s6, s34, 0xc4
	s_addc_u32 s7, s35, 0
	s_and_b32 s2, s38, 28
	s_mov_b32 s3, 0
	v_mov_b32_e32 v6, 0
	s_mov_b64 s[36:37], s[34:35]
	v_mov_b32_e32 v0, v8
	v_mov_b32_e32 v14, 0
.LBB23_1095:                            ; =>This Inner Loop Header: Depth=1
	s_load_dwordx8 s[16:23], s[36:37], 0x4
	s_load_dwordx4 s[24:27], s[36:37], 0x24
	s_load_dwordx8 s[8:15], s[6:7], 0x0
	s_add_u32 s36, s36, 48
	s_addc_u32 s37, s37, 0
	s_waitcnt vmcnt(0) lgkmcnt(0)
	v_mul_hi_u32 v1, s17, v0
	v_add_u32_e32 v1, v0, v1
	v_lshrrev_b32_e32 v1, s18, v1
	v_mul_lo_u32 v2, v1, s16
	v_mul_hi_u32 v3, s20, v1
	v_sub_u32_e32 v0, v0, v2
	v_add_u32_e32 v2, v1, v3
	v_lshrrev_b32_e32 v2, s21, v2
	v_mul_lo_u32 v4, v2, s19
	v_mul_hi_u32 v5, s23, v2
	v_sub_u32_e32 v1, v1, v4
	v_add_u32_e32 v4, v2, v5
	v_mul_lo_u32 v3, v0, s9
	v_mul_lo_u32 v0, v0, s8
	;; [unrolled: 1-line block ×4, first 2 shown]
	v_lshrrev_b32_e32 v4, s24, v4
	v_add3_u32 v1, v0, v6, v1
	v_add3_u32 v3, v3, v14, v5
	v_mul_lo_u32 v0, v4, s22
	v_mul_hi_u32 v5, s26, v4
	v_sub_u32_e32 v0, v2, v0
	v_add_u32_e32 v2, v4, v5
	v_mul_lo_u32 v5, v0, s12
	v_mul_lo_u32 v6, v0, s13
	v_lshrrev_b32_e32 v0, s27, v2
	s_add_i32 s3, s3, 4
	v_mul_lo_u32 v2, v0, s25
	s_add_u32 s6, s6, 32
	v_sub_u32_e32 v2, v4, v2
	s_addc_u32 s7, s7, 0
	v_mul_lo_u32 v4, v2, s14
	v_mul_lo_u32 v2, v2, s15
	s_cmp_lg_u32 s2, s3
	v_add3_u32 v14, v6, v3, v2
	v_add3_u32 v6, v5, v1, v4
	s_cbranch_scc1 .LBB23_1095
; %bb.1096:
	v_mov_b32_e32 v7, v14
	s_and_b32 s8, s38, 3
	s_cmp_eq_u32 s8, 0
	s_cbranch_scc0 .LBB23_1100
.LBB23_1097:
	s_cbranch_execz .LBB23_1103
	s_branch .LBB23_1105
.LBB23_1098:
                                        ; implicit-def: $vgpr14
                                        ; implicit-def: $vgpr6
	s_branch .LBB23_1103
.LBB23_1099:
	s_mov_b32 s3, s2
	v_pk_mov_b32 v[6:7], s[2:3], s[2:3] op_sel:[0,1]
                                        ; implicit-def: $vgpr14
	v_mov_b32_e32 v0, v8
	s_and_b32 s8, s38, 3
	s_cmp_eq_u32 s8, 0
	s_cbranch_scc1 .LBB23_1097
.LBB23_1100:
	s_lshl_b32 s3, s2, 3
	s_add_u32 s3, s3, s34
	s_addc_u32 s7, 0, s35
	s_add_u32 s6, s3, 0xc4
	s_addc_u32 s7, s7, 0
	s_mul_i32 s2, s2, 12
	s_add_u32 s2, s34, s2
	s_addc_u32 s3, 0, s35
.LBB23_1101:                            ; =>This Inner Loop Header: Depth=1
	s_load_dwordx2 s[10:11], s[2:3], 0x4
	s_load_dword s9, s[2:3], 0xc
	s_load_dwordx2 s[12:13], s[6:7], 0x0
	s_add_u32 s2, s2, 12
	s_addc_u32 s3, s3, 0
	s_waitcnt vmcnt(0) lgkmcnt(0)
	v_mul_hi_u32 v1, s11, v0
	v_add_u32_e32 v1, v0, v1
	v_lshrrev_b32_e32 v1, s9, v1
	v_mul_lo_u32 v3, v1, s10
	v_mov_b32_e32 v2, v7
	s_add_u32 s6, s6, 8
	v_sub_u32_e32 v4, v0, v3
	s_addc_u32 s7, s7, 0
	s_add_i32 s8, s8, -1
	v_mad_u64_u32 v[2:3], s[10:11], v4, s13, v[2:3]
	v_mad_u64_u32 v[6:7], s[10:11], v4, s12, v[6:7]
	s_cmp_lg_u32 s8, 0
	v_mov_b32_e32 v0, v1
	v_mov_b32_e32 v7, v2
	s_cbranch_scc1 .LBB23_1101
; %bb.1102:
	v_mov_b32_e32 v14, v7
	s_cbranch_execnz .LBB23_1105
.LBB23_1103:
	s_load_dwordx4 s[8:11], s[34:35], 0x4
	s_load_dwordx2 s[2:3], s[34:35], 0xc4
	s_cmp_lt_u32 s33, 2
	s_waitcnt lgkmcnt(0)
	v_mul_hi_u32 v0, s9, v8
	v_add_u32_e32 v0, v8, v0
	v_lshrrev_b32_e32 v0, s10, v0
	s_waitcnt vmcnt(0)
	v_mul_lo_u32 v1, v0, s8
	v_sub_u32_e32 v1, v8, v1
	v_mul_lo_u32 v14, v1, s3
	v_mul_lo_u32 v6, v1, s2
	s_cbranch_scc1 .LBB23_1105
; %bb.1104:
	s_load_dwordx4 s[8:11], s[34:35], 0x10
	s_load_dwordx2 s[2:3], s[34:35], 0xcc
	s_waitcnt lgkmcnt(0)
	v_mul_hi_u32 v1, s9, v0
	v_add_u32_e32 v1, v0, v1
	v_lshrrev_b32_e32 v1, s10, v1
	v_mul_lo_u32 v1, v1, s8
	v_sub_u32_e32 v0, v0, v1
	v_mad_u64_u32 v[6:7], s[6:7], v0, s2, v[6:7]
	v_mad_u64_u32 v[14:15], s[2:3], v0, s3, v[14:15]
.LBB23_1105:
	s_and_b64 vcc, exec, s[0:1]
	v_add_u32_e32 v0, 0x80, v8
	s_cbranch_vccnz .LBB23_1112
; %bb.1106:
	s_mov_b32 s2, 0
	s_cmp_lg_u32 s33, 0
	v_mov_b32_e32 v12, 0
	v_mov_b32_e32 v4, 0
	s_cbranch_scc0 .LBB23_1111
; %bb.1107:
	s_min_u32 s38, s74, 15
	s_add_i32 s38, s38, 1
	s_cmp_eq_u32 s74, 2
	s_cbranch_scc1 .LBB23_1113
; %bb.1108:
	s_add_u32 s6, s34, 0xc4
	s_addc_u32 s7, s35, 0
	s_and_b32 s2, s38, 28
	s_mov_b32 s3, 0
	v_mov_b32_e32 v4, 0
	s_mov_b64 s[36:37], s[34:35]
	s_waitcnt vmcnt(0)
	v_mov_b32_e32 v1, v0
	v_mov_b32_e32 v12, 0
.LBB23_1109:                            ; =>This Inner Loop Header: Depth=1
	s_load_dwordx8 s[16:23], s[36:37], 0x4
	s_load_dwordx4 s[24:27], s[36:37], 0x24
	s_load_dwordx8 s[8:15], s[6:7], 0x0
	s_add_u32 s36, s36, 48
	s_addc_u32 s37, s37, 0
	s_waitcnt lgkmcnt(0)
	v_mul_hi_u32 v2, s17, v1
	v_add_u32_e32 v2, v1, v2
	v_lshrrev_b32_e32 v2, s18, v2
	v_mul_lo_u32 v3, v2, s16
	v_mul_hi_u32 v5, s20, v2
	v_sub_u32_e32 v1, v1, v3
	v_add_u32_e32 v3, v2, v5
	v_lshrrev_b32_e32 v3, s21, v3
	v_mul_lo_u32 v7, v3, s19
	v_mul_hi_u32 v10, s23, v3
	v_sub_u32_e32 v2, v2, v7
	v_add_u32_e32 v7, v3, v10
	v_mul_lo_u32 v5, v1, s9
	v_mul_lo_u32 v1, v1, s8
	;; [unrolled: 1-line block ×4, first 2 shown]
	v_lshrrev_b32_e32 v7, s24, v7
	v_add3_u32 v2, v1, v4, v2
	v_add3_u32 v4, v5, v12, v10
	v_mul_lo_u32 v1, v7, s22
	v_mul_hi_u32 v5, s26, v7
	v_sub_u32_e32 v1, v3, v1
	v_add_u32_e32 v3, v7, v5
	v_mul_lo_u32 v5, v1, s12
	v_mul_lo_u32 v10, v1, s13
	v_lshrrev_b32_e32 v1, s27, v3
	s_add_i32 s3, s3, 4
	v_mul_lo_u32 v3, v1, s25
	s_add_u32 s6, s6, 32
	v_sub_u32_e32 v3, v7, v3
	s_addc_u32 s7, s7, 0
	v_mul_lo_u32 v7, v3, s14
	v_mul_lo_u32 v3, v3, s15
	s_cmp_lg_u32 s2, s3
	v_add3_u32 v12, v10, v4, v3
	v_add3_u32 v4, v5, v2, v7
	s_cbranch_scc1 .LBB23_1109
; %bb.1110:
	v_mov_b32_e32 v5, v12
	s_and_b32 s8, s38, 3
	s_cmp_eq_u32 s8, 0
	s_cbranch_scc0 .LBB23_1114
.LBB23_1111:
	s_cbranch_execz .LBB23_1117
	s_branch .LBB23_1119
.LBB23_1112:
                                        ; implicit-def: $vgpr12
                                        ; implicit-def: $vgpr4
	s_branch .LBB23_1117
.LBB23_1113:
	s_mov_b32 s3, s2
	s_waitcnt vmcnt(0)
	v_pk_mov_b32 v[4:5], s[2:3], s[2:3] op_sel:[0,1]
                                        ; implicit-def: $vgpr12
	v_mov_b32_e32 v1, v0
	s_and_b32 s8, s38, 3
	s_cmp_eq_u32 s8, 0
	s_cbranch_scc1 .LBB23_1111
.LBB23_1114:
	s_lshl_b32 s3, s2, 3
	s_add_u32 s3, s3, s34
	s_addc_u32 s7, 0, s35
	s_add_u32 s6, s3, 0xc4
	s_addc_u32 s7, s7, 0
	s_mul_i32 s2, s2, 12
	s_add_u32 s2, s34, s2
	s_addc_u32 s3, 0, s35
.LBB23_1115:                            ; =>This Inner Loop Header: Depth=1
	s_load_dwordx2 s[10:11], s[2:3], 0x4
	s_load_dword s9, s[2:3], 0xc
	s_load_dwordx2 s[12:13], s[6:7], 0x0
	s_add_u32 s2, s2, 12
	v_mov_b32_e32 v2, v5
	s_waitcnt lgkmcnt(0)
	v_mul_hi_u32 v3, s11, v1
	v_add_u32_e32 v3, v1, v3
	v_lshrrev_b32_e32 v3, s9, v3
	s_addc_u32 s3, s3, 0
	v_mul_lo_u32 v5, v3, s10
	s_add_u32 s6, s6, 8
	v_sub_u32_e32 v5, v1, v5
	s_addc_u32 s7, s7, 0
	s_add_i32 s8, s8, -1
	v_mov_b32_e32 v1, v3
	v_mad_u64_u32 v[2:3], s[10:11], v5, s13, v[2:3]
	v_mad_u64_u32 v[4:5], s[10:11], v5, s12, v[4:5]
	s_cmp_lg_u32 s8, 0
	v_mov_b32_e32 v5, v2
	s_cbranch_scc1 .LBB23_1115
; %bb.1116:
	v_mov_b32_e32 v12, v5
	s_cbranch_execnz .LBB23_1119
.LBB23_1117:
	s_load_dwordx4 s[8:11], s[34:35], 0x4
	s_load_dwordx2 s[2:3], s[34:35], 0xc4
	s_cmp_lt_u32 s33, 2
	s_waitcnt vmcnt(0) lgkmcnt(0)
	v_mul_hi_u32 v1, s9, v0
	v_add_u32_e32 v1, v0, v1
	v_lshrrev_b32_e32 v1, s10, v1
	v_mul_lo_u32 v2, v1, s8
	v_sub_u32_e32 v0, v0, v2
	v_mul_lo_u32 v12, v0, s3
	v_mul_lo_u32 v4, v0, s2
	s_cbranch_scc1 .LBB23_1119
; %bb.1118:
	s_load_dwordx4 s[8:11], s[34:35], 0x10
	s_load_dwordx2 s[2:3], s[34:35], 0xcc
	s_waitcnt lgkmcnt(0)
	v_mul_hi_u32 v0, s9, v1
	v_add_u32_e32 v0, v1, v0
	v_lshrrev_b32_e32 v0, s10, v0
	v_mul_lo_u32 v0, v0, s8
	v_sub_u32_e32 v0, v1, v0
	v_mad_u64_u32 v[4:5], s[6:7], v0, s2, v[4:5]
	v_mad_u64_u32 v[12:13], s[2:3], v0, s3, v[12:13]
.LBB23_1119:
	s_and_b64 vcc, exec, s[0:1]
	v_add_u32_e32 v0, 0x100, v8
	s_cbranch_vccnz .LBB23_1126
; %bb.1120:
	s_mov_b32 s2, 0
	s_cmp_lg_u32 s33, 0
	v_mov_b32_e32 v10, 0
	v_mov_b32_e32 v2, 0
	s_cbranch_scc0 .LBB23_1125
; %bb.1121:
	s_min_u32 s38, s74, 15
	s_add_i32 s38, s38, 1
	s_cmp_eq_u32 s74, 2
	s_cbranch_scc1 .LBB23_1127
; %bb.1122:
	s_add_u32 s6, s34, 0xc4
	s_addc_u32 s7, s35, 0
	s_and_b32 s2, s38, 28
	s_mov_b32 s3, 0
	v_mov_b32_e32 v2, 0
	s_mov_b64 s[36:37], s[34:35]
	s_waitcnt vmcnt(0)
	v_mov_b32_e32 v1, v0
	v_mov_b32_e32 v10, 0
.LBB23_1123:                            ; =>This Inner Loop Header: Depth=1
	s_load_dwordx8 s[16:23], s[36:37], 0x4
	s_load_dwordx4 s[24:27], s[36:37], 0x24
	s_load_dwordx8 s[8:15], s[6:7], 0x0
	s_add_u32 s36, s36, 48
	s_addc_u32 s37, s37, 0
	s_waitcnt lgkmcnt(0)
	v_mul_hi_u32 v3, s17, v1
	v_add_u32_e32 v3, v1, v3
	v_lshrrev_b32_e32 v3, s18, v3
	v_mul_lo_u32 v5, v3, s16
	v_mul_hi_u32 v7, s20, v3
	v_sub_u32_e32 v1, v1, v5
	v_add_u32_e32 v5, v3, v7
	v_lshrrev_b32_e32 v5, s21, v5
	v_mul_lo_u32 v8, v5, s19
	v_mul_hi_u32 v11, s23, v5
	v_sub_u32_e32 v3, v3, v8
	v_add_u32_e32 v8, v5, v11
	v_mul_lo_u32 v7, v1, s9
	v_mul_lo_u32 v1, v1, s8
	;; [unrolled: 1-line block ×4, first 2 shown]
	v_lshrrev_b32_e32 v8, s24, v8
	v_add3_u32 v2, v1, v2, v3
	v_add3_u32 v3, v7, v10, v11
	v_mul_lo_u32 v1, v8, s22
	v_mul_hi_u32 v7, s26, v8
	v_sub_u32_e32 v1, v5, v1
	v_add_u32_e32 v5, v8, v7
	v_mul_lo_u32 v7, v1, s12
	v_mul_lo_u32 v10, v1, s13
	v_lshrrev_b32_e32 v1, s27, v5
	s_add_i32 s3, s3, 4
	v_mul_lo_u32 v5, v1, s25
	s_add_u32 s6, s6, 32
	v_sub_u32_e32 v5, v8, v5
	s_addc_u32 s7, s7, 0
	v_mul_lo_u32 v8, v5, s14
	v_mul_lo_u32 v5, v5, s15
	s_cmp_lg_u32 s2, s3
	v_add3_u32 v10, v10, v3, v5
	v_add3_u32 v2, v7, v2, v8
	s_cbranch_scc1 .LBB23_1123
; %bb.1124:
	v_mov_b32_e32 v3, v10
	s_and_b32 s8, s38, 3
	s_cmp_eq_u32 s8, 0
	s_cbranch_scc0 .LBB23_1128
.LBB23_1125:
	s_cbranch_execz .LBB23_1131
	s_branch .LBB23_1133
.LBB23_1126:
                                        ; implicit-def: $vgpr10
                                        ; implicit-def: $vgpr2
	s_branch .LBB23_1131
.LBB23_1127:
	s_mov_b32 s3, s2
	v_pk_mov_b32 v[2:3], s[2:3], s[2:3] op_sel:[0,1]
                                        ; implicit-def: $vgpr10
	s_waitcnt vmcnt(0)
	v_mov_b32_e32 v1, v0
	s_and_b32 s8, s38, 3
	s_cmp_eq_u32 s8, 0
	s_cbranch_scc1 .LBB23_1125
.LBB23_1128:
	s_lshl_b32 s3, s2, 3
	s_add_u32 s3, s3, s34
	s_addc_u32 s7, 0, s35
	s_add_u32 s6, s3, 0xc4
	s_addc_u32 s7, s7, 0
	s_mul_i32 s2, s2, 12
	s_add_u32 s2, s34, s2
	s_addc_u32 s3, 0, s35
.LBB23_1129:                            ; =>This Inner Loop Header: Depth=1
	s_load_dwordx2 s[10:11], s[2:3], 0x4
	s_load_dword s9, s[2:3], 0xc
	s_load_dwordx2 s[12:13], s[6:7], 0x0
	v_mov_b32_e32 v8, v3
	s_add_u32 s2, s2, 12
	s_waitcnt lgkmcnt(0)
	v_mul_hi_u32 v3, s11, v1
	v_add_u32_e32 v3, v1, v3
	v_lshrrev_b32_e32 v3, s9, v3
	s_addc_u32 s3, s3, 0
	v_mul_lo_u32 v5, v3, s10
	s_add_u32 s6, s6, 8
	v_sub_u32_e32 v5, v1, v5
	s_addc_u32 s7, s7, 0
	s_add_i32 s8, s8, -1
	v_mov_b32_e32 v1, v3
	v_mad_u64_u32 v[10:11], s[10:11], v5, s13, v[8:9]
	v_mad_u64_u32 v[2:3], s[10:11], v5, s12, v[2:3]
	s_cmp_lg_u32 s8, 0
	v_mov_b32_e32 v3, v10
	s_cbranch_scc1 .LBB23_1129
; %bb.1130:
	v_mov_b32_e32 v10, v3
	s_cbranch_execnz .LBB23_1133
.LBB23_1131:
	s_load_dwordx4 s[8:11], s[34:35], 0x4
	s_load_dwordx2 s[2:3], s[34:35], 0xc4
	s_cmp_lt_u32 s33, 2
	s_waitcnt vmcnt(0) lgkmcnt(0)
	v_mul_hi_u32 v1, s9, v0
	v_add_u32_e32 v1, v0, v1
	v_lshrrev_b32_e32 v1, s10, v1
	v_mul_lo_u32 v2, v1, s8
	v_sub_u32_e32 v0, v0, v2
	v_mul_lo_u32 v10, v0, s3
	v_mul_lo_u32 v2, v0, s2
	s_cbranch_scc1 .LBB23_1133
; %bb.1132:
	s_load_dwordx4 s[8:11], s[34:35], 0x10
	s_load_dwordx2 s[2:3], s[34:35], 0xcc
	s_waitcnt lgkmcnt(0)
	v_mul_hi_u32 v0, s9, v1
	v_add_u32_e32 v0, v1, v0
	v_lshrrev_b32_e32 v0, s10, v0
	v_mul_lo_u32 v0, v0, s8
	v_sub_u32_e32 v0, v1, v0
	v_mad_u64_u32 v[2:3], s[6:7], v0, s2, v[2:3]
	v_mad_u64_u32 v[10:11], s[2:3], v0, s3, v[10:11]
.LBB23_1133:
	s_and_b64 vcc, exec, s[0:1]
	s_cbranch_vccnz .LBB23_1140
; %bb.1134:
	s_mov_b32 s6, 0
	s_cmp_lg_u32 s33, 0
	v_mov_b32_e32 v8, 0
	v_mov_b32_e32 v0, 0
	s_cbranch_scc0 .LBB23_1139
; %bb.1135:
	s_min_u32 s36, s74, 15
	s_add_i32 s36, s36, 1
	s_cmp_eq_u32 s74, 2
	s_cbranch_scc1 .LBB23_1141
; %bb.1136:
	s_add_u32 s24, s34, 0xc4
	s_addc_u32 s25, s35, 0
	s_and_b32 s6, s36, 28
	s_mov_b32 s7, 0
	v_mov_b32_e32 v0, 0
	s_mov_b64 s[26:27], s[34:35]
	v_mov_b32_e32 v3, v9
	v_mov_b32_e32 v8, 0
.LBB23_1137:                            ; =>This Inner Loop Header: Depth=1
	s_load_dwordx8 s[16:23], s[26:27], 0x4
	s_load_dwordx4 s[0:3], s[26:27], 0x24
	s_load_dwordx8 s[8:15], s[24:25], 0x0
	s_add_u32 s26, s26, 48
	s_addc_u32 s27, s27, 0
	s_waitcnt vmcnt(0) lgkmcnt(0)
	v_mul_hi_u32 v1, s17, v3
	v_add_u32_e32 v1, v3, v1
	v_lshrrev_b32_e32 v1, s18, v1
	v_mul_lo_u32 v5, v1, s16
	v_mul_hi_u32 v7, s20, v1
	v_sub_u32_e32 v3, v3, v5
	v_add_u32_e32 v5, v1, v7
	v_lshrrev_b32_e32 v5, s21, v5
	v_mul_lo_u32 v11, v5, s19
	v_mul_hi_u32 v13, s23, v5
	v_sub_u32_e32 v1, v1, v11
	v_add_u32_e32 v11, v5, v13
	v_mul_lo_u32 v7, v3, s9
	v_mul_lo_u32 v3, v3, s8
	;; [unrolled: 1-line block ×4, first 2 shown]
	v_lshrrev_b32_e32 v11, s0, v11
	v_add3_u32 v0, v3, v0, v1
	v_add3_u32 v1, v7, v8, v13
	v_mul_lo_u32 v3, v11, s22
	v_mul_hi_u32 v7, s2, v11
	v_sub_u32_e32 v3, v5, v3
	v_add_u32_e32 v5, v11, v7
	v_mul_lo_u32 v7, v3, s12
	v_mul_lo_u32 v8, v3, s13
	v_lshrrev_b32_e32 v3, s3, v5
	s_add_i32 s7, s7, 4
	v_mul_lo_u32 v5, v3, s1
	s_add_u32 s24, s24, 32
	v_sub_u32_e32 v5, v11, v5
	s_addc_u32 s25, s25, 0
	v_mul_lo_u32 v11, v5, s14
	v_mul_lo_u32 v5, v5, s15
	s_cmp_lg_u32 s6, s7
	v_add3_u32 v8, v8, v1, v5
	v_add3_u32 v0, v7, v0, v11
	s_cbranch_scc1 .LBB23_1137
; %bb.1138:
	v_mov_b32_e32 v1, v8
	s_and_b32 s7, s36, 3
	s_cmp_eq_u32 s7, 0
	s_cbranch_scc0 .LBB23_1142
.LBB23_1139:
	s_cbranch_execz .LBB23_1145
	s_branch .LBB23_1147
.LBB23_1140:
                                        ; implicit-def: $vgpr8
                                        ; implicit-def: $vgpr0
	s_branch .LBB23_1145
.LBB23_1141:
	s_mov_b32 s7, s6
	s_waitcnt vmcnt(0)
	v_pk_mov_b32 v[0:1], s[6:7], s[6:7] op_sel:[0,1]
                                        ; implicit-def: $vgpr8
	v_mov_b32_e32 v3, v9
	s_and_b32 s7, s36, 3
	s_cmp_eq_u32 s7, 0
	s_cbranch_scc1 .LBB23_1139
.LBB23_1142:
	s_lshl_b32 s0, s6, 3
	s_add_u32 s0, s0, s34
	s_addc_u32 s1, 0, s35
	s_add_u32 s0, s0, 0xc4
	s_addc_u32 s1, s1, 0
	s_mul_i32 s2, s6, 12
	s_add_u32 s2, s34, s2
	s_addc_u32 s3, 0, s35
.LBB23_1143:                            ; =>This Inner Loop Header: Depth=1
	s_load_dwordx2 s[8:9], s[2:3], 0x4
	s_load_dword s6, s[2:3], 0xc
	s_load_dwordx2 s[10:11], s[0:1], 0x0
	v_mov_b32_e32 v8, v1
	s_add_u32 s2, s2, 12
	s_waitcnt lgkmcnt(0)
	v_mul_hi_u32 v1, s9, v3
	v_add_u32_e32 v1, v3, v1
	v_lshrrev_b32_e32 v1, s6, v1
	s_addc_u32 s3, s3, 0
	v_mul_lo_u32 v5, v1, s8
	s_add_u32 s0, s0, 8
	v_sub_u32_e32 v5, v3, v5
	s_addc_u32 s1, s1, 0
	s_add_i32 s7, s7, -1
	v_mov_b32_e32 v3, v1
	v_mad_u64_u32 v[16:17], s[8:9], v5, s11, v[8:9]
	v_mad_u64_u32 v[0:1], s[8:9], v5, s10, v[0:1]
	s_cmp_lg_u32 s7, 0
	v_mov_b32_e32 v1, v16
	s_cbranch_scc1 .LBB23_1143
; %bb.1144:
	v_mov_b32_e32 v8, v1
	s_cbranch_execnz .LBB23_1147
.LBB23_1145:
	s_load_dwordx4 s[0:3], s[34:35], 0x4
	s_load_dwordx2 s[6:7], s[34:35], 0xc4
	s_cmp_lt_u32 s33, 2
	s_waitcnt lgkmcnt(0)
	v_mul_hi_u32 v0, s1, v9
	v_add_u32_e32 v0, v9, v0
	s_waitcnt vmcnt(0)
	v_lshrrev_b32_e32 v1, s2, v0
	v_mul_lo_u32 v0, v1, s0
	v_sub_u32_e32 v0, v9, v0
	v_mul_lo_u32 v8, v0, s7
	v_mul_lo_u32 v0, v0, s6
	s_cbranch_scc1 .LBB23_1147
; %bb.1146:
	s_load_dwordx4 s[0:3], s[34:35], 0x10
	s_load_dwordx2 s[6:7], s[34:35], 0xcc
	s_waitcnt lgkmcnt(0)
	v_mul_hi_u32 v3, s1, v1
	v_add_u32_e32 v3, v1, v3
	v_lshrrev_b32_e32 v3, s2, v3
	v_mul_lo_u32 v3, v3, s0
	v_sub_u32_e32 v3, v1, v3
	v_mad_u64_u32 v[0:1], s[0:1], v3, s6, v[0:1]
	v_mad_u64_u32 v[8:9], s[0:1], v3, s7, v[8:9]
.LBB23_1147:
	s_load_dword s18, s[4:5], 0x160
	s_load_dwordx4 s[8:11], s[34:35], 0x148
	s_waitcnt lgkmcnt(0)
	s_lshr_b32 s19, s18, 24
	s_waitcnt vmcnt(0)
	v_mov_b32_e32 v1, s11
	v_add_co_u32_e32 v14, vcc, s10, v14
	v_addc_co_u32_e32 v15, vcc, 0, v1, vcc
	v_cmp_lt_i16_e64 s[0:1], s19, 11
	s_and_b64 vcc, exec, s[0:1]
	s_cbranch_vccnz .LBB23_1154
; %bb.1148:
	v_cmp_gt_i16_e64 s[2:3], s19, 25
	s_mov_b64 s[4:5], 0
	s_and_b64 vcc, exec, s[2:3]
	s_cbranch_vccz .LBB23_1156
; %bb.1149:
	v_cmp_gt_i16_e64 s[2:3], s19, 28
	s_and_b64 vcc, exec, s[2:3]
	s_cbranch_vccz .LBB23_1157
; %bb.1150:
	v_cmp_gt_i16_e64 s[2:3], s19, 43
	;; [unrolled: 4-line block ×3, first 2 shown]
	s_and_b64 vcc, exec, s[2:3]
	s_cbranch_vccz .LBB23_1159
; %bb.1152:
	v_cmp_eq_u16_e64 s[2:3], s19, 46
	s_mov_b64 s[12:13], 0
	s_and_b64 vcc, exec, s[2:3]
	s_cbranch_vccz .LBB23_1162
; %bb.1153:
	global_load_dword v1, v[14:15], off
	s_mov_b64 s[2:3], 0
	s_mov_b64 s[6:7], -1
	s_waitcnt vmcnt(0)
	v_lshlrev_b32_e32 v1, 16, v1
	v_cvt_f16_f32_e32 v1, v1
	s_branch .LBB23_1163
.LBB23_1154:
	s_mov_b64 s[6:7], 0
                                        ; implicit-def: $vgpr1
	s_mov_b64 s[2:3], s[28:29]
	s_cbranch_execnz .LBB23_1226
.LBB23_1155:
	s_andn2_b64 vcc, exec, s[6:7]
	s_cbranch_vccz .LBB23_1271
	s_branch .LBB23_2112
.LBB23_1156:
	s_mov_b64 s[6:7], 0
	s_mov_b64 s[2:3], 0
                                        ; implicit-def: $vgpr1
	s_cbranch_execnz .LBB23_1191
	s_branch .LBB23_1222
.LBB23_1157:
	s_mov_b64 s[12:13], -1
	s_mov_b64 s[6:7], 0
	s_mov_b64 s[2:3], 0
                                        ; implicit-def: $vgpr1
	s_branch .LBB23_1172
.LBB23_1158:
	s_mov_b64 s[6:7], 0
	s_mov_b64 s[2:3], 0
                                        ; implicit-def: $vgpr1
	s_cbranch_execnz .LBB23_1168
	s_branch .LBB23_1171
.LBB23_1159:
	s_mov_b64 s[12:13], -1
	s_mov_b64 s[6:7], 0
	s_mov_b64 s[2:3], 0
                                        ; implicit-def: $vgpr1
	s_branch .LBB23_1163
.LBB23_1160:
	s_or_saveexec_b64 s[14:15], s[14:15]
                                        ; implicit-def: $sgpr16
	s_xor_b64 exec, exec, s[14:15]
	s_cbranch_execz .LBB23_1003
.LBB23_1161:
	s_mov_b32 s16, 0x46000000
	v_add_f32_e64 v5, |v0|, s16
	v_and_b32_e32 v5, 0xff, v5
	v_cmp_ne_u32_e32 vcc, 0, v5
	s_andn2_b64 s[12:13], s[12:13], exec
	s_and_b64 s[18:19], vcc, exec
	s_mov_b32 s16, 0
	s_or_b64 s[12:13], s[12:13], s[18:19]
	s_or_b64 exec, exec, s[14:15]
	v_mov_b32_e32 v6, s16
	s_and_saveexec_b64 s[14:15], s[12:13]
	s_cbranch_execnz .LBB23_1004
	s_branch .LBB23_1005
.LBB23_1162:
	s_mov_b64 s[2:3], -1
                                        ; implicit-def: $vgpr1
	s_mov_b64 s[6:7], 0
.LBB23_1163:
	s_and_b64 vcc, exec, s[12:13]
	s_cbranch_vccz .LBB23_1166
; %bb.1164:
	v_cmp_eq_u16_e64 s[2:3], s19, 44
	s_and_b64 vcc, exec, s[2:3]
	s_cbranch_vccz .LBB23_1167
; %bb.1165:
	global_load_ubyte v1, v[14:15], off
	s_movk_i32 s6, 0xff
	v_mov_b32_e32 v5, 0x7e00
	s_mov_b64 s[2:3], 0
	s_waitcnt vmcnt(0)
	v_lshlrev_b32_e32 v3, 23, v1
	v_cvt_f16_f32_e32 v3, v3
	v_cmp_ne_u32_e32 vcc, s6, v1
	s_mov_b64 s[6:7], -1
	v_cndmask_b32_e32 v3, v5, v3, vcc
	v_cmp_ne_u32_e32 vcc, 0, v1
	v_cndmask_b32_e32 v1, 0, v3, vcc
.LBB23_1166:
	s_branch .LBB23_1171
.LBB23_1167:
	s_mov_b64 s[2:3], -1
                                        ; implicit-def: $vgpr1
	s_branch .LBB23_1171
.LBB23_1168:
	v_cmp_eq_u16_e64 s[2:3], s19, 29
	s_and_b64 vcc, exec, s[2:3]
	s_cbranch_vccz .LBB23_1170
; %bb.1169:
	global_load_dwordx2 v[16:17], v[14:15], off
	s_mov_b64 s[2:3], 0
	s_mov_b64 s[6:7], -1
	s_mov_b64 s[12:13], 0
	s_waitcnt vmcnt(0)
	v_ffbh_u32_e32 v1, v17
	v_min_u32_e32 v1, 32, v1
	v_lshlrev_b64 v[16:17], v1, v[16:17]
	v_min_u32_e32 v3, 1, v16
	v_or_b32_e32 v3, v17, v3
	v_cvt_f32_u32_e32 v3, v3
	v_sub_u32_e32 v1, 32, v1
	v_ldexp_f32 v1, v3, v1
	v_cvt_f16_f32_e32 v1, v1
	s_branch .LBB23_1172
.LBB23_1170:
	s_mov_b64 s[2:3], -1
                                        ; implicit-def: $vgpr1
.LBB23_1171:
	s_mov_b64 s[12:13], 0
.LBB23_1172:
	s_and_b64 vcc, exec, s[12:13]
	s_cbranch_vccz .LBB23_1190
; %bb.1173:
	v_cmp_lt_i16_e64 s[6:7], s19, 27
	s_and_b64 vcc, exec, s[6:7]
	s_cbranch_vccnz .LBB23_1176
; %bb.1174:
	v_cmp_gt_i16_e64 s[6:7], s19, 27
	s_and_b64 vcc, exec, s[6:7]
	s_cbranch_vccz .LBB23_1177
; %bb.1175:
	global_load_dword v1, v[14:15], off
	s_mov_b64 s[6:7], 0
	s_waitcnt vmcnt(0)
	v_cvt_f32_u32_e32 v1, v1
	v_cvt_f16_f32_e32 v1, v1
	s_branch .LBB23_1178
.LBB23_1176:
	s_mov_b64 s[6:7], -1
                                        ; implicit-def: $vgpr1
	s_branch .LBB23_1181
.LBB23_1177:
	s_mov_b64 s[6:7], -1
                                        ; implicit-def: $vgpr1
.LBB23_1178:
	s_andn2_b64 vcc, exec, s[6:7]
	s_cbranch_vccnz .LBB23_1180
; %bb.1179:
	global_load_ushort v1, v[14:15], off
	s_waitcnt vmcnt(0)
	v_cvt_f16_u16_e32 v1, v1
.LBB23_1180:
	s_mov_b64 s[6:7], 0
.LBB23_1181:
	s_andn2_b64 vcc, exec, s[6:7]
	s_cbranch_vccnz .LBB23_1189
; %bb.1182:
	global_load_ubyte v3, v[14:15], off
	s_movk_i32 s6, 0x7f
                                        ; implicit-def: $sgpr16
	s_waitcnt vmcnt(0)
	v_cmp_lt_i16_e32 vcc, s6, v3
	s_mov_b64 s[6:7], 0
	s_and_saveexec_b64 s[12:13], vcc
	s_xor_b64 s[12:13], exec, s[12:13]
	s_cbranch_execz .LBB23_1202
; %bb.1183:
	s_movk_i32 s6, 0x80
	v_cmp_eq_u16_e32 vcc, s6, v3
	s_mov_b64 s[6:7], -1
                                        ; implicit-def: $sgpr16
	s_and_saveexec_b64 s[14:15], vcc
; %bb.1184:
	s_movk_i32 s16, 0x7e00
	s_xor_b64 s[6:7], exec, -1
; %bb.1185:
	s_or_b64 exec, exec, s[14:15]
	s_and_b64 s[6:7], s[6:7], exec
	s_or_saveexec_b64 s[12:13], s[12:13]
	v_mov_b32_e32 v1, s16
	s_xor_b64 exec, exec, s[12:13]
	s_cbranch_execnz .LBB23_1203
.LBB23_1186:
	s_or_b64 exec, exec, s[12:13]
	s_and_saveexec_b64 s[12:13], s[6:7]
	s_cbranch_execz .LBB23_1188
.LBB23_1187:
	v_lshlrev_b32_e32 v1, 24, v3
	v_and_b32_e32 v3, 0xffff, v3
	v_and_b32_e32 v5, 7, v3
	v_ffbh_u32_e32 v9, v5
	v_min_u32_e32 v9, 32, v9
	v_subrev_u32_e32 v11, 28, v9
	v_bfe_u32 v7, v3, 3, 4
	v_lshlrev_b32_e32 v3, v11, v3
	v_sub_u32_e32 v9, 29, v9
	v_and_b32_e32 v3, 7, v3
	v_cmp_eq_u32_e32 vcc, 0, v7
	v_cndmask_b32_e32 v7, v7, v9, vcc
	v_cndmask_b32_e32 v3, v5, v3, vcc
	v_mov_b32_e32 v5, 0x3b800000
	v_lshlrev_b32_e32 v3, 20, v3
	v_and_b32_e32 v1, 0x80000000, v1
	v_lshl_add_u32 v5, v7, 23, v5
	v_or3_b32 v1, v1, v5, v3
	v_cvt_f16_f32_e32 v1, v1
.LBB23_1188:
	s_or_b64 exec, exec, s[12:13]
.LBB23_1189:
	s_mov_b64 s[6:7], -1
.LBB23_1190:
	s_branch .LBB23_1222
.LBB23_1191:
	v_cmp_gt_i16_e64 s[4:5], s19, 22
	s_and_b64 vcc, exec, s[4:5]
	s_cbranch_vccz .LBB23_1201
; %bb.1192:
	v_cmp_lt_i16_e64 s[4:5], s19, 24
	s_and_b64 vcc, exec, s[4:5]
	s_cbranch_vccnz .LBB23_1204
; %bb.1193:
	v_cmp_gt_i16_e64 s[4:5], s19, 24
	s_and_b64 vcc, exec, s[4:5]
	s_cbranch_vccz .LBB23_1205
; %bb.1194:
	global_load_ubyte v3, v[14:15], off
	s_movk_i32 s4, 0x7f
                                        ; implicit-def: $sgpr14
	s_waitcnt vmcnt(0)
	v_cmp_lt_i16_e32 vcc, s4, v3
	s_mov_b64 s[4:5], 0
	s_and_saveexec_b64 s[6:7], vcc
	s_xor_b64 s[6:7], exec, s[6:7]
	s_cbranch_execz .LBB23_1216
; %bb.1195:
	s_movk_i32 s4, 0x80
	v_cmp_eq_u16_e32 vcc, s4, v3
	s_mov_b64 s[4:5], -1
                                        ; implicit-def: $sgpr14
	s_and_saveexec_b64 s[12:13], vcc
; %bb.1196:
	s_movk_i32 s14, 0x7e00
	s_xor_b64 s[4:5], exec, -1
; %bb.1197:
	s_or_b64 exec, exec, s[12:13]
	s_and_b64 s[4:5], s[4:5], exec
	s_or_saveexec_b64 s[6:7], s[6:7]
	v_mov_b32_e32 v1, s14
	s_xor_b64 exec, exec, s[6:7]
	s_cbranch_execnz .LBB23_1217
.LBB23_1198:
	s_or_b64 exec, exec, s[6:7]
	s_and_saveexec_b64 s[6:7], s[4:5]
	s_cbranch_execz .LBB23_1200
.LBB23_1199:
	v_lshlrev_b32_e32 v1, 24, v3
	v_and_b32_e32 v3, 0xffff, v3
	v_and_b32_e32 v5, 3, v3
	v_ffbh_u32_e32 v9, v5
	v_min_u32_e32 v9, 32, v9
	v_subrev_u32_e32 v11, 29, v9
	v_bfe_u32 v7, v3, 2, 5
	v_lshlrev_b32_e32 v3, v11, v3
	v_sub_u32_e32 v9, 30, v9
	v_and_b32_e32 v3, 3, v3
	v_cmp_eq_u32_e32 vcc, 0, v7
	v_cndmask_b32_e32 v7, v7, v9, vcc
	v_cndmask_b32_e32 v3, v5, v3, vcc
	v_mov_b32_e32 v5, 0x37800000
	v_lshlrev_b32_e32 v3, 21, v3
	v_and_b32_e32 v1, 0x80000000, v1
	v_lshl_add_u32 v5, v7, 23, v5
	v_or3_b32 v1, v1, v5, v3
	v_cvt_f16_f32_e32 v1, v1
.LBB23_1200:
	s_or_b64 exec, exec, s[6:7]
	s_mov_b64 s[4:5], 0
	s_branch .LBB23_1206
.LBB23_1201:
                                        ; implicit-def: $vgpr1
	s_mov_b64 s[4:5], 0
	s_branch .LBB23_1212
.LBB23_1202:
	s_or_saveexec_b64 s[12:13], s[12:13]
	v_mov_b32_e32 v1, s16
	s_xor_b64 exec, exec, s[12:13]
	s_cbranch_execz .LBB23_1186
.LBB23_1203:
	v_cmp_ne_u16_e32 vcc, 0, v3
	s_andn2_b64 s[6:7], s[6:7], exec
	s_and_b64 s[14:15], vcc, exec
	s_or_b64 s[6:7], s[6:7], s[14:15]
	v_mov_b32_e32 v1, v3
	s_or_b64 exec, exec, s[12:13]
	s_and_saveexec_b64 s[12:13], s[6:7]
	s_cbranch_execnz .LBB23_1187
	s_branch .LBB23_1188
.LBB23_1204:
	s_mov_b64 s[4:5], -1
                                        ; implicit-def: $vgpr1
	s_branch .LBB23_1209
.LBB23_1205:
	s_mov_b64 s[4:5], -1
                                        ; implicit-def: $vgpr1
.LBB23_1206:
	s_and_b64 vcc, exec, s[4:5]
	s_cbranch_vccz .LBB23_1208
; %bb.1207:
	global_load_ubyte v1, v[14:15], off
	s_mov_b32 s4, 0x7f800000
	s_waitcnt vmcnt(0)
	v_lshlrev_b32_e32 v1, 24, v1
	v_and_b32_e32 v3, 0x7f000000, v1
	v_ffbh_u32_e32 v5, v3
	v_min_u32_e32 v5, 32, v5
	v_sub_u32_e64 v5, v5, 4 clamp
	v_lshlrev_b32_e32 v9, v5, v3
	v_lshlrev_b32_e32 v5, 23, v5
	v_lshrrev_b32_e32 v9, 4, v9
	v_add_u32_e32 v7, 0x1000000, v3
	v_sub_u32_e32 v5, v9, v5
	v_ashrrev_i32_e32 v7, 8, v7
	v_add_u32_e32 v5, 0x3c000000, v5
	v_and_or_b32 v5, v7, s4, v5
	v_cmp_ne_u32_e32 vcc, 0, v3
	v_cndmask_b32_e32 v3, 0, v5, vcc
	s_brev_b32 s4, 1
	v_and_or_b32 v1, v1, s4, v3
	v_cvt_f16_f32_e32 v1, v1
.LBB23_1208:
	s_mov_b64 s[4:5], 0
.LBB23_1209:
	s_andn2_b64 vcc, exec, s[4:5]
	s_cbranch_vccnz .LBB23_1211
; %bb.1210:
	global_load_ubyte v1, v[14:15], off
	s_movk_i32 s4, 0x7f00
	s_brev_b32 s5, 16
	s_waitcnt vmcnt(0)
	v_lshlrev_b16_e32 v3, 8, v1
	v_lshlrev_b32_e32 v1, 25, v1
	v_lshrrev_b32_e32 v5, 4, v1
	v_and_or_b32 v7, v3, s4, 0.5
	v_or_b32_e32 v5, 0x70000000, v5
	v_add_f32_e32 v7, -0.5, v7
	v_mul_f32_e32 v5, 0x7800000, v5
	v_cmp_gt_u32_e32 vcc, s5, v1
	v_bfe_i32 v3, v3, 0, 16
	v_cndmask_b32_e32 v1, v5, v7, vcc
	s_brev_b32 s4, 1
	v_and_or_b32 v1, v3, s4, v1
	v_cvt_f16_f32_e32 v1, v1
.LBB23_1211:
	s_mov_b64 s[6:7], -1
	s_mov_b64 s[4:5], 0
	s_cbranch_execnz .LBB23_1222
.LBB23_1212:
	v_cmp_gt_i16_e64 s[4:5], s19, 14
	s_and_b64 vcc, exec, s[4:5]
	s_cbranch_vccz .LBB23_1215
; %bb.1213:
	v_cmp_eq_u16_e64 s[2:3], s19, 15
	s_and_b64 vcc, exec, s[2:3]
	s_cbranch_vccz .LBB23_1218
; %bb.1214:
	global_load_ushort v1, v[14:15], off
	s_mov_b64 s[2:3], 0
	s_mov_b64 s[6:7], -1
	s_waitcnt vmcnt(0)
	v_lshlrev_b32_e32 v1, 16, v1
	v_cvt_f16_f32_e32 v1, v1
	s_branch .LBB23_1219
.LBB23_1215:
	s_mov_b64 s[12:13], -1
                                        ; implicit-def: $vgpr1
	s_branch .LBB23_1220
.LBB23_1216:
	s_or_saveexec_b64 s[6:7], s[6:7]
	v_mov_b32_e32 v1, s14
	s_xor_b64 exec, exec, s[6:7]
	s_cbranch_execz .LBB23_1198
.LBB23_1217:
	v_cmp_ne_u16_e32 vcc, 0, v3
	s_andn2_b64 s[4:5], s[4:5], exec
	s_and_b64 s[12:13], vcc, exec
	s_or_b64 s[4:5], s[4:5], s[12:13]
	v_mov_b32_e32 v1, v3
	s_or_b64 exec, exec, s[6:7]
	s_and_saveexec_b64 s[6:7], s[4:5]
	s_cbranch_execnz .LBB23_1199
	s_branch .LBB23_1200
.LBB23_1218:
	s_mov_b64 s[2:3], -1
                                        ; implicit-def: $vgpr1
.LBB23_1219:
	s_mov_b64 s[12:13], 0
.LBB23_1220:
	s_mov_b64 s[4:5], 0
	s_and_b64 vcc, exec, s[12:13]
	s_cbranch_vccz .LBB23_1222
; %bb.1221:
	v_cmp_ne_u16_e64 s[2:3], s19, 11
	s_mov_b64 s[4:5], -1
                                        ; implicit-def: $vgpr1
.LBB23_1222:
	s_and_b64 vcc, exec, s[2:3]
	s_mov_b64 s[2:3], s[28:29]
	s_cbranch_vccnz .LBB23_1283
; %bb.1223:
	s_andn2_b64 vcc, exec, s[4:5]
	s_cbranch_vccnz .LBB23_1225
.LBB23_1224:
	global_load_ubyte v1, v[14:15], off
	v_mov_b32_e32 v3, 0x3c00
	s_mov_b64 s[6:7], -1
	s_waitcnt vmcnt(0)
	v_cmp_ne_u16_e32 vcc, 0, v1
	v_cndmask_b32_e32 v1, 0, v3, vcc
.LBB23_1225:
	s_branch .LBB23_1155
.LBB23_1226:
	v_cmp_lt_i16_e64 s[4:5], s19, 5
	s_and_b64 vcc, exec, s[4:5]
	s_cbranch_vccnz .LBB23_1231
; %bb.1227:
	v_cmp_lt_i16_e64 s[4:5], s19, 8
	s_and_b64 vcc, exec, s[4:5]
	s_cbranch_vccnz .LBB23_1232
; %bb.1228:
	;; [unrolled: 4-line block ×3, first 2 shown]
	v_cmp_gt_i16_e64 s[4:5], s19, 9
	s_and_b64 vcc, exec, s[4:5]
	s_cbranch_vccz .LBB23_1234
; %bb.1230:
	global_load_dwordx2 v[16:17], v[14:15], off
	s_mov_b64 s[4:5], 0
	s_waitcnt vmcnt(0)
	v_cvt_f32_f64_e32 v1, v[16:17]
	v_cvt_f16_f32_e32 v1, v1
	s_branch .LBB23_1235
.LBB23_1231:
                                        ; implicit-def: $vgpr1
	s_branch .LBB23_1252
.LBB23_1232:
                                        ; implicit-def: $vgpr1
	s_branch .LBB23_1241
.LBB23_1233:
	s_mov_b64 s[4:5], -1
                                        ; implicit-def: $vgpr1
	s_branch .LBB23_1238
.LBB23_1234:
	s_mov_b64 s[4:5], -1
                                        ; implicit-def: $vgpr1
.LBB23_1235:
	s_andn2_b64 vcc, exec, s[4:5]
	s_cbranch_vccnz .LBB23_1237
; %bb.1236:
	global_load_dword v1, v[14:15], off
	s_waitcnt vmcnt(0)
	v_cvt_f16_f32_e32 v1, v1
.LBB23_1237:
	s_mov_b64 s[4:5], 0
.LBB23_1238:
	s_andn2_b64 vcc, exec, s[4:5]
	s_cbranch_vccnz .LBB23_1240
; %bb.1239:
	global_load_dword v1, v[14:15], off
.LBB23_1240:
	s_cbranch_execnz .LBB23_1251
.LBB23_1241:
	v_cmp_lt_i16_e64 s[4:5], s19, 6
	s_and_b64 vcc, exec, s[4:5]
	s_cbranch_vccnz .LBB23_1244
; %bb.1242:
	v_cmp_gt_i16_e64 s[4:5], s19, 6
	s_and_b64 vcc, exec, s[4:5]
	s_cbranch_vccz .LBB23_1245
; %bb.1243:
	global_load_dwordx2 v[16:17], v[14:15], off
	s_mov_b64 s[4:5], 0
	s_waitcnt vmcnt(0)
	v_cvt_f32_f64_e32 v1, v[16:17]
	v_cvt_f16_f32_e32 v1, v1
	s_branch .LBB23_1246
.LBB23_1244:
	s_mov_b64 s[4:5], -1
                                        ; implicit-def: $vgpr1
	s_branch .LBB23_1249
.LBB23_1245:
	s_mov_b64 s[4:5], -1
                                        ; implicit-def: $vgpr1
.LBB23_1246:
	s_andn2_b64 vcc, exec, s[4:5]
	s_cbranch_vccnz .LBB23_1248
; %bb.1247:
	global_load_dword v1, v[14:15], off
	s_waitcnt vmcnt(0)
	v_cvt_f16_f32_e32 v1, v1
.LBB23_1248:
	s_mov_b64 s[4:5], 0
.LBB23_1249:
	s_andn2_b64 vcc, exec, s[4:5]
	s_cbranch_vccnz .LBB23_1251
; %bb.1250:
	global_load_ushort v1, v[14:15], off
.LBB23_1251:
	s_cbranch_execnz .LBB23_1270
.LBB23_1252:
	v_cmp_lt_i16_e64 s[4:5], s19, 2
	s_and_b64 vcc, exec, s[4:5]
	s_cbranch_vccnz .LBB23_1256
; %bb.1253:
	v_cmp_lt_i16_e64 s[4:5], s19, 3
	s_and_b64 vcc, exec, s[4:5]
	s_cbranch_vccnz .LBB23_1257
; %bb.1254:
	v_cmp_gt_i16_e64 s[4:5], s19, 3
	s_and_b64 vcc, exec, s[4:5]
	s_cbranch_vccz .LBB23_1258
; %bb.1255:
	global_load_dwordx2 v[16:17], v[14:15], off
	s_mov_b64 s[4:5], 0
	s_waitcnt vmcnt(0)
	v_xor_b32_e32 v3, v16, v17
	v_ffbh_i32_e32 v1, v17
	v_ashrrev_i32_e32 v3, 31, v3
	v_add_u32_e32 v1, -1, v1
	v_add_u32_e32 v3, 32, v3
	v_min_u32_e32 v1, v1, v3
	v_lshlrev_b64 v[16:17], v1, v[16:17]
	v_min_u32_e32 v3, 1, v16
	v_or_b32_e32 v3, v17, v3
	v_cvt_f32_i32_e32 v3, v3
	v_sub_u32_e32 v1, 32, v1
	v_ldexp_f32 v1, v3, v1
	v_cvt_f16_f32_e32 v1, v1
	s_branch .LBB23_1259
.LBB23_1256:
                                        ; implicit-def: $vgpr1
	s_branch .LBB23_1265
.LBB23_1257:
	s_mov_b64 s[4:5], -1
                                        ; implicit-def: $vgpr1
	s_branch .LBB23_1262
.LBB23_1258:
	s_mov_b64 s[4:5], -1
                                        ; implicit-def: $vgpr1
.LBB23_1259:
	s_andn2_b64 vcc, exec, s[4:5]
	s_cbranch_vccnz .LBB23_1261
; %bb.1260:
	global_load_dword v1, v[14:15], off
	s_waitcnt vmcnt(0)
	v_cvt_f32_i32_e32 v1, v1
	v_cvt_f16_f32_e32 v1, v1
.LBB23_1261:
	s_mov_b64 s[4:5], 0
.LBB23_1262:
	s_andn2_b64 vcc, exec, s[4:5]
	s_cbranch_vccnz .LBB23_1264
; %bb.1263:
	global_load_ushort v1, v[14:15], off
	s_waitcnt vmcnt(0)
	v_cvt_f16_i16_e32 v1, v1
.LBB23_1264:
	s_cbranch_execnz .LBB23_1270
.LBB23_1265:
	v_cmp_gt_i16_e64 s[4:5], s19, 0
	s_and_b64 vcc, exec, s[4:5]
	s_cbranch_vccz .LBB23_1267
; %bb.1266:
	global_load_sbyte v1, v[14:15], off
	s_mov_b64 s[4:5], 0
	s_waitcnt vmcnt(0)
	v_cvt_f16_i16_e32 v1, v1
	s_branch .LBB23_1268
.LBB23_1267:
	s_mov_b64 s[4:5], -1
                                        ; implicit-def: $vgpr1
.LBB23_1268:
	s_andn2_b64 vcc, exec, s[4:5]
	s_cbranch_vccnz .LBB23_1270
; %bb.1269:
	global_load_ubyte v1, v[14:15], off
	s_waitcnt vmcnt(0)
	v_cvt_f16_u16_e32 v1, v1
.LBB23_1270:
.LBB23_1271:
	v_mov_b32_e32 v3, s11
	v_add_co_u32_e32 v12, vcc, s10, v12
	v_addc_co_u32_e32 v13, vcc, 0, v3, vcc
	s_and_b64 vcc, exec, s[0:1]
	s_cbranch_vccnz .LBB23_1278
; %bb.1272:
	v_cmp_gt_i16_e64 s[4:5], s19, 25
	s_mov_b64 s[6:7], 0
	s_and_b64 vcc, exec, s[4:5]
	s_cbranch_vccz .LBB23_1280
; %bb.1273:
	v_cmp_gt_i16_e64 s[4:5], s19, 28
	s_and_b64 vcc, exec, s[4:5]
	s_cbranch_vccz .LBB23_1281
; %bb.1274:
	v_cmp_gt_i16_e64 s[4:5], s19, 43
	;; [unrolled: 4-line block ×3, first 2 shown]
	s_and_b64 vcc, exec, s[4:5]
	s_cbranch_vccz .LBB23_1284
; %bb.1276:
	v_cmp_eq_u16_e64 s[4:5], s19, 46
	s_mov_b64 s[14:15], 0
	s_and_b64 vcc, exec, s[4:5]
	s_cbranch_vccz .LBB23_1287
; %bb.1277:
	global_load_dword v3, v[12:13], off
	s_mov_b64 s[4:5], 0
	s_mov_b64 s[12:13], -1
	s_waitcnt vmcnt(0)
	v_lshlrev_b32_e32 v3, 16, v3
	v_cvt_f16_f32_e32 v3, v3
	s_branch .LBB23_1288
.LBB23_1278:
	s_mov_b64 s[12:13], 0
                                        ; implicit-def: $vgpr3
	s_cbranch_execnz .LBB23_1353
.LBB23_1279:
	s_andn2_b64 vcc, exec, s[12:13]
	s_cbranch_vccnz .LBB23_2112
	s_branch .LBB23_1400
.LBB23_1280:
	s_mov_b64 s[12:13], 0
	s_mov_b64 s[4:5], 0
                                        ; implicit-def: $vgpr3
	s_cbranch_execnz .LBB23_1317
	s_branch .LBB23_1349
.LBB23_1281:
	s_mov_b64 s[14:15], -1
	s_mov_b64 s[12:13], 0
	s_mov_b64 s[4:5], 0
                                        ; implicit-def: $vgpr3
	s_branch .LBB23_1298
.LBB23_1282:
	s_mov_b64 s[14:15], -1
	s_mov_b64 s[12:13], 0
	s_mov_b64 s[4:5], 0
                                        ; implicit-def: $vgpr3
	s_branch .LBB23_1293
.LBB23_1283:
	s_or_b64 s[2:3], s[28:29], exec
	s_trap 2
                                        ; implicit-def: $vgpr1
	s_cbranch_execz .LBB23_1224
	s_branch .LBB23_1225
.LBB23_1284:
	s_mov_b64 s[14:15], -1
	s_mov_b64 s[12:13], 0
	s_mov_b64 s[4:5], 0
                                        ; implicit-def: $vgpr3
	s_branch .LBB23_1288
.LBB23_1285:
	s_or_saveexec_b64 s[16:17], s[16:17]
                                        ; implicit-def: $sgpr18
	s_xor_b64 exec, exec, s[16:17]
	s_cbranch_execz .LBB23_1015
.LBB23_1286:
	s_mov_b32 s18, 0x42800000
	v_add_f32_e64 v5, |v0|, s18
	v_and_b32_e32 v5, 0xff, v5
	v_cmp_ne_u32_e32 vcc, 0, v5
	s_andn2_b64 s[14:15], s[14:15], exec
	s_and_b64 s[20:21], vcc, exec
	s_mov_b32 s18, 0
	s_or_b64 s[14:15], s[14:15], s[20:21]
	s_or_b64 exec, exec, s[16:17]
	v_mov_b32_e32 v6, s18
	s_and_saveexec_b64 s[16:17], s[14:15]
	s_cbranch_execnz .LBB23_1016
	s_branch .LBB23_1017
.LBB23_1287:
	s_mov_b64 s[4:5], -1
                                        ; implicit-def: $vgpr3
	s_mov_b64 s[12:13], 0
.LBB23_1288:
	s_and_b64 vcc, exec, s[14:15]
	s_cbranch_vccz .LBB23_1292
; %bb.1289:
	v_cmp_eq_u16_e64 s[4:5], s19, 44
	s_and_b64 vcc, exec, s[4:5]
	s_cbranch_vccz .LBB23_1291
; %bb.1290:
	global_load_ubyte v3, v[12:13], off
	s_movk_i32 s12, 0xff
	v_mov_b32_e32 v7, 0x7e00
	s_mov_b64 s[4:5], 0
	s_waitcnt vmcnt(0)
	v_lshlrev_b32_e32 v5, 23, v3
	v_cvt_f16_f32_e32 v5, v5
	v_cmp_ne_u32_e32 vcc, s12, v3
	s_mov_b64 s[12:13], -1
	v_cndmask_b32_e32 v5, v7, v5, vcc
	v_cmp_ne_u32_e32 vcc, 0, v3
	v_cndmask_b32_e32 v3, 0, v5, vcc
	s_branch .LBB23_1292
.LBB23_1291:
	s_mov_b64 s[4:5], -1
                                        ; implicit-def: $vgpr3
.LBB23_1292:
	s_mov_b64 s[14:15], 0
.LBB23_1293:
	s_and_b64 vcc, exec, s[14:15]
	s_cbranch_vccz .LBB23_1297
; %bb.1294:
	v_cmp_eq_u16_e64 s[4:5], s19, 29
	s_and_b64 vcc, exec, s[4:5]
	s_cbranch_vccz .LBB23_1296
; %bb.1295:
	global_load_dwordx2 v[14:15], v[12:13], off
	s_mov_b64 s[4:5], 0
	s_mov_b64 s[12:13], -1
	s_mov_b64 s[14:15], 0
	s_waitcnt vmcnt(0)
	v_ffbh_u32_e32 v3, v15
	v_min_u32_e32 v3, 32, v3
	v_lshlrev_b64 v[14:15], v3, v[14:15]
	v_min_u32_e32 v5, 1, v14
	v_or_b32_e32 v5, v15, v5
	v_cvt_f32_u32_e32 v5, v5
	v_sub_u32_e32 v3, 32, v3
	v_ldexp_f32 v3, v5, v3
	v_cvt_f16_f32_e32 v3, v3
	s_branch .LBB23_1298
.LBB23_1296:
	s_mov_b64 s[4:5], -1
                                        ; implicit-def: $vgpr3
.LBB23_1297:
	s_mov_b64 s[14:15], 0
.LBB23_1298:
	s_and_b64 vcc, exec, s[14:15]
	s_cbranch_vccz .LBB23_1316
; %bb.1299:
	v_cmp_lt_i16_e64 s[12:13], s19, 27
	s_and_b64 vcc, exec, s[12:13]
	s_cbranch_vccnz .LBB23_1302
; %bb.1300:
	v_cmp_gt_i16_e64 s[12:13], s19, 27
	s_and_b64 vcc, exec, s[12:13]
	s_cbranch_vccz .LBB23_1303
; %bb.1301:
	global_load_dword v3, v[12:13], off
	s_mov_b64 s[12:13], 0
	s_waitcnt vmcnt(0)
	v_cvt_f32_u32_e32 v3, v3
	v_cvt_f16_f32_e32 v3, v3
	s_branch .LBB23_1304
.LBB23_1302:
	s_mov_b64 s[12:13], -1
                                        ; implicit-def: $vgpr3
	s_branch .LBB23_1307
.LBB23_1303:
	s_mov_b64 s[12:13], -1
                                        ; implicit-def: $vgpr3
.LBB23_1304:
	s_andn2_b64 vcc, exec, s[12:13]
	s_cbranch_vccnz .LBB23_1306
; %bb.1305:
	global_load_ushort v3, v[12:13], off
	s_waitcnt vmcnt(0)
	v_cvt_f16_u16_e32 v3, v3
.LBB23_1306:
	s_mov_b64 s[12:13], 0
.LBB23_1307:
	s_andn2_b64 vcc, exec, s[12:13]
	s_cbranch_vccnz .LBB23_1315
; %bb.1308:
	global_load_ubyte v5, v[12:13], off
	s_movk_i32 s12, 0x7f
                                        ; implicit-def: $sgpr20
	s_waitcnt vmcnt(0)
	v_cmp_lt_i16_e32 vcc, s12, v5
	s_mov_b64 s[12:13], 0
	s_and_saveexec_b64 s[14:15], vcc
	s_xor_b64 s[14:15], exec, s[14:15]
	s_cbranch_execz .LBB23_1328
; %bb.1309:
	s_movk_i32 s12, 0x80
	v_cmp_eq_u16_e32 vcc, s12, v5
	s_mov_b64 s[12:13], -1
                                        ; implicit-def: $sgpr20
	s_and_saveexec_b64 s[16:17], vcc
; %bb.1310:
	s_movk_i32 s20, 0x7e00
	s_xor_b64 s[12:13], exec, -1
; %bb.1311:
	s_or_b64 exec, exec, s[16:17]
	s_and_b64 s[12:13], s[12:13], exec
	s_or_saveexec_b64 s[14:15], s[14:15]
	v_mov_b32_e32 v3, s20
	s_xor_b64 exec, exec, s[14:15]
	s_cbranch_execnz .LBB23_1329
.LBB23_1312:
	s_or_b64 exec, exec, s[14:15]
	s_and_saveexec_b64 s[14:15], s[12:13]
	s_cbranch_execz .LBB23_1314
.LBB23_1313:
	v_lshlrev_b32_e32 v3, 24, v5
	v_and_b32_e32 v5, 0xffff, v5
	v_and_b32_e32 v7, 7, v5
	v_ffbh_u32_e32 v11, v7
	v_min_u32_e32 v11, 32, v11
	v_subrev_u32_e32 v14, 28, v11
	v_bfe_u32 v9, v5, 3, 4
	v_lshlrev_b32_e32 v5, v14, v5
	v_sub_u32_e32 v11, 29, v11
	v_and_b32_e32 v5, 7, v5
	v_cmp_eq_u32_e32 vcc, 0, v9
	v_cndmask_b32_e32 v9, v9, v11, vcc
	v_cndmask_b32_e32 v5, v7, v5, vcc
	v_mov_b32_e32 v7, 0x3b800000
	v_lshlrev_b32_e32 v5, 20, v5
	v_and_b32_e32 v3, 0x80000000, v3
	v_lshl_add_u32 v7, v9, 23, v7
	v_or3_b32 v3, v3, v7, v5
	v_cvt_f16_f32_e32 v3, v3
.LBB23_1314:
	s_or_b64 exec, exec, s[14:15]
.LBB23_1315:
	s_mov_b64 s[12:13], -1
.LBB23_1316:
	s_branch .LBB23_1349
.LBB23_1317:
	v_cmp_gt_i16_e64 s[6:7], s19, 22
	s_and_b64 vcc, exec, s[6:7]
	s_cbranch_vccz .LBB23_1327
; %bb.1318:
	v_cmp_lt_i16_e64 s[6:7], s19, 24
	s_and_b64 vcc, exec, s[6:7]
	s_cbranch_vccnz .LBB23_1330
; %bb.1319:
	v_cmp_gt_i16_e64 s[6:7], s19, 24
	s_and_b64 vcc, exec, s[6:7]
	s_cbranch_vccz .LBB23_1331
; %bb.1320:
	global_load_ubyte v5, v[12:13], off
	s_movk_i32 s6, 0x7f
                                        ; implicit-def: $sgpr16
	s_waitcnt vmcnt(0)
	v_cmp_lt_i16_e32 vcc, s6, v5
	s_mov_b64 s[6:7], 0
	s_and_saveexec_b64 s[12:13], vcc
	s_xor_b64 s[12:13], exec, s[12:13]
	s_cbranch_execz .LBB23_1343
; %bb.1321:
	s_movk_i32 s6, 0x80
	v_cmp_eq_u16_e32 vcc, s6, v5
	s_mov_b64 s[6:7], -1
                                        ; implicit-def: $sgpr16
	s_and_saveexec_b64 s[14:15], vcc
; %bb.1322:
	s_movk_i32 s16, 0x7e00
	s_xor_b64 s[6:7], exec, -1
; %bb.1323:
	s_or_b64 exec, exec, s[14:15]
	s_and_b64 s[6:7], s[6:7], exec
	s_or_saveexec_b64 s[12:13], s[12:13]
	v_mov_b32_e32 v3, s16
	s_xor_b64 exec, exec, s[12:13]
	s_cbranch_execnz .LBB23_1344
.LBB23_1324:
	s_or_b64 exec, exec, s[12:13]
	s_and_saveexec_b64 s[12:13], s[6:7]
	s_cbranch_execz .LBB23_1326
.LBB23_1325:
	v_lshlrev_b32_e32 v3, 24, v5
	v_and_b32_e32 v5, 0xffff, v5
	v_and_b32_e32 v7, 3, v5
	v_ffbh_u32_e32 v11, v7
	v_min_u32_e32 v11, 32, v11
	v_subrev_u32_e32 v14, 29, v11
	v_bfe_u32 v9, v5, 2, 5
	v_lshlrev_b32_e32 v5, v14, v5
	v_sub_u32_e32 v11, 30, v11
	v_and_b32_e32 v5, 3, v5
	v_cmp_eq_u32_e32 vcc, 0, v9
	v_cndmask_b32_e32 v9, v9, v11, vcc
	v_cndmask_b32_e32 v5, v7, v5, vcc
	v_mov_b32_e32 v7, 0x37800000
	v_lshlrev_b32_e32 v5, 21, v5
	v_and_b32_e32 v3, 0x80000000, v3
	v_lshl_add_u32 v7, v9, 23, v7
	v_or3_b32 v3, v3, v7, v5
	v_cvt_f16_f32_e32 v3, v3
.LBB23_1326:
	s_or_b64 exec, exec, s[12:13]
	s_mov_b64 s[6:7], 0
	s_branch .LBB23_1332
.LBB23_1327:
	s_mov_b64 s[6:7], -1
                                        ; implicit-def: $vgpr3
	s_branch .LBB23_1338
.LBB23_1328:
	s_or_saveexec_b64 s[14:15], s[14:15]
	v_mov_b32_e32 v3, s20
	s_xor_b64 exec, exec, s[14:15]
	s_cbranch_execz .LBB23_1312
.LBB23_1329:
	v_cmp_ne_u16_e32 vcc, 0, v5
	s_andn2_b64 s[12:13], s[12:13], exec
	s_and_b64 s[16:17], vcc, exec
	s_or_b64 s[12:13], s[12:13], s[16:17]
	v_mov_b32_e32 v3, v5
	s_or_b64 exec, exec, s[14:15]
	s_and_saveexec_b64 s[14:15], s[12:13]
	s_cbranch_execnz .LBB23_1313
	s_branch .LBB23_1314
.LBB23_1330:
	s_mov_b64 s[6:7], -1
                                        ; implicit-def: $vgpr3
	s_branch .LBB23_1335
.LBB23_1331:
	s_mov_b64 s[6:7], -1
                                        ; implicit-def: $vgpr3
.LBB23_1332:
	s_and_b64 vcc, exec, s[6:7]
	s_cbranch_vccz .LBB23_1334
; %bb.1333:
	global_load_ubyte v3, v[12:13], off
	s_mov_b32 s6, 0x7f800000
	s_waitcnt vmcnt(0)
	v_lshlrev_b32_e32 v3, 24, v3
	v_and_b32_e32 v5, 0x7f000000, v3
	v_ffbh_u32_e32 v7, v5
	v_min_u32_e32 v7, 32, v7
	v_sub_u32_e64 v7, v7, 4 clamp
	v_lshlrev_b32_e32 v11, v7, v5
	v_lshlrev_b32_e32 v7, 23, v7
	v_lshrrev_b32_e32 v11, 4, v11
	v_add_u32_e32 v9, 0x1000000, v5
	v_sub_u32_e32 v7, v11, v7
	v_ashrrev_i32_e32 v9, 8, v9
	v_add_u32_e32 v7, 0x3c000000, v7
	v_and_or_b32 v7, v9, s6, v7
	v_cmp_ne_u32_e32 vcc, 0, v5
	v_cndmask_b32_e32 v5, 0, v7, vcc
	s_brev_b32 s6, 1
	v_and_or_b32 v3, v3, s6, v5
	v_cvt_f16_f32_e32 v3, v3
.LBB23_1334:
	s_mov_b64 s[6:7], 0
.LBB23_1335:
	s_andn2_b64 vcc, exec, s[6:7]
	s_cbranch_vccnz .LBB23_1337
; %bb.1336:
	global_load_ubyte v3, v[12:13], off
	s_movk_i32 s6, 0x7f00
	s_brev_b32 s7, 16
	s_waitcnt vmcnt(0)
	v_lshlrev_b16_e32 v5, 8, v3
	v_lshlrev_b32_e32 v3, 25, v3
	v_lshrrev_b32_e32 v7, 4, v3
	v_and_or_b32 v9, v5, s6, 0.5
	v_or_b32_e32 v7, 0x70000000, v7
	v_add_f32_e32 v9, -0.5, v9
	v_mul_f32_e32 v7, 0x7800000, v7
	v_cmp_gt_u32_e32 vcc, s7, v3
	v_bfe_i32 v5, v5, 0, 16
	v_cndmask_b32_e32 v3, v7, v9, vcc
	s_brev_b32 s6, 1
	v_and_or_b32 v3, v5, s6, v3
	v_cvt_f16_f32_e32 v3, v3
.LBB23_1337:
	s_mov_b64 s[6:7], 0
	s_mov_b64 s[12:13], -1
.LBB23_1338:
	s_andn2_b64 vcc, exec, s[6:7]
	s_mov_b64 s[6:7], 0
	s_cbranch_vccnz .LBB23_1349
; %bb.1339:
	v_cmp_gt_i16_e64 s[6:7], s19, 14
	s_and_b64 vcc, exec, s[6:7]
	s_cbranch_vccz .LBB23_1342
; %bb.1340:
	v_cmp_eq_u16_e64 s[4:5], s19, 15
	s_and_b64 vcc, exec, s[4:5]
	s_cbranch_vccz .LBB23_1345
; %bb.1341:
	global_load_ushort v3, v[12:13], off
	s_mov_b64 s[4:5], 0
	s_mov_b64 s[12:13], -1
	s_waitcnt vmcnt(0)
	v_lshlrev_b32_e32 v3, 16, v3
	v_cvt_f16_f32_e32 v3, v3
	s_branch .LBB23_1346
.LBB23_1342:
	s_mov_b64 s[14:15], -1
                                        ; implicit-def: $vgpr3
	s_branch .LBB23_1347
.LBB23_1343:
	s_or_saveexec_b64 s[12:13], s[12:13]
	v_mov_b32_e32 v3, s16
	s_xor_b64 exec, exec, s[12:13]
	s_cbranch_execz .LBB23_1324
.LBB23_1344:
	v_cmp_ne_u16_e32 vcc, 0, v5
	s_andn2_b64 s[6:7], s[6:7], exec
	s_and_b64 s[14:15], vcc, exec
	s_or_b64 s[6:7], s[6:7], s[14:15]
	v_mov_b32_e32 v3, v5
	s_or_b64 exec, exec, s[12:13]
	s_and_saveexec_b64 s[12:13], s[6:7]
	s_cbranch_execnz .LBB23_1325
	s_branch .LBB23_1326
.LBB23_1345:
	s_mov_b64 s[4:5], -1
                                        ; implicit-def: $vgpr3
.LBB23_1346:
	s_mov_b64 s[14:15], 0
.LBB23_1347:
	s_mov_b64 s[6:7], 0
	s_and_b64 vcc, exec, s[14:15]
	s_cbranch_vccz .LBB23_1349
; %bb.1348:
	v_cmp_ne_u16_e64 s[4:5], s19, 11
	s_mov_b64 s[6:7], -1
                                        ; implicit-def: $vgpr3
.LBB23_1349:
	s_and_b64 vcc, exec, s[4:5]
	s_cbranch_vccnz .LBB23_1412
; %bb.1350:
	s_andn2_b64 vcc, exec, s[6:7]
	s_cbranch_vccnz .LBB23_1352
.LBB23_1351:
	global_load_ubyte v3, v[12:13], off
	v_mov_b32_e32 v5, 0x3c00
	s_mov_b64 s[12:13], -1
	s_waitcnt vmcnt(0)
	v_cmp_ne_u16_e32 vcc, 0, v3
	v_cndmask_b32_e32 v3, 0, v5, vcc
.LBB23_1352:
	s_branch .LBB23_1279
.LBB23_1353:
	v_cmp_lt_i16_e64 s[4:5], s19, 5
	s_and_b64 vcc, exec, s[4:5]
	s_cbranch_vccnz .LBB23_1358
; %bb.1354:
	v_cmp_lt_i16_e64 s[4:5], s19, 8
	s_and_b64 vcc, exec, s[4:5]
	s_cbranch_vccnz .LBB23_1359
; %bb.1355:
	;; [unrolled: 4-line block ×3, first 2 shown]
	v_cmp_gt_i16_e64 s[4:5], s19, 9
	s_and_b64 vcc, exec, s[4:5]
	s_cbranch_vccz .LBB23_1361
; %bb.1357:
	global_load_dwordx2 v[14:15], v[12:13], off
	s_mov_b64 s[4:5], 0
	s_waitcnt vmcnt(0)
	v_cvt_f32_f64_e32 v3, v[14:15]
	v_cvt_f16_f32_e32 v3, v3
	s_branch .LBB23_1362
.LBB23_1358:
                                        ; implicit-def: $vgpr3
	s_branch .LBB23_1380
.LBB23_1359:
	s_mov_b64 s[4:5], -1
                                        ; implicit-def: $vgpr3
	s_branch .LBB23_1368
.LBB23_1360:
	s_mov_b64 s[4:5], -1
                                        ; implicit-def: $vgpr3
	s_branch .LBB23_1365
.LBB23_1361:
	s_mov_b64 s[4:5], -1
                                        ; implicit-def: $vgpr3
.LBB23_1362:
	s_andn2_b64 vcc, exec, s[4:5]
	s_cbranch_vccnz .LBB23_1364
; %bb.1363:
	global_load_dword v3, v[12:13], off
	s_waitcnt vmcnt(0)
	v_cvt_f16_f32_e32 v3, v3
.LBB23_1364:
	s_mov_b64 s[4:5], 0
.LBB23_1365:
	s_andn2_b64 vcc, exec, s[4:5]
	s_cbranch_vccnz .LBB23_1367
; %bb.1366:
	global_load_dword v3, v[12:13], off
.LBB23_1367:
	s_mov_b64 s[4:5], 0
.LBB23_1368:
	s_andn2_b64 vcc, exec, s[4:5]
	s_cbranch_vccnz .LBB23_1379
; %bb.1369:
	v_cmp_lt_i16_e64 s[4:5], s19, 6
	s_and_b64 vcc, exec, s[4:5]
	s_cbranch_vccnz .LBB23_1372
; %bb.1370:
	v_cmp_gt_i16_e64 s[4:5], s19, 6
	s_and_b64 vcc, exec, s[4:5]
	s_cbranch_vccz .LBB23_1373
; %bb.1371:
	global_load_dwordx2 v[14:15], v[12:13], off
	s_mov_b64 s[4:5], 0
	s_waitcnt vmcnt(0)
	v_cvt_f32_f64_e32 v3, v[14:15]
	v_cvt_f16_f32_e32 v3, v3
	s_branch .LBB23_1374
.LBB23_1372:
	s_mov_b64 s[4:5], -1
                                        ; implicit-def: $vgpr3
	s_branch .LBB23_1377
.LBB23_1373:
	s_mov_b64 s[4:5], -1
                                        ; implicit-def: $vgpr3
.LBB23_1374:
	s_andn2_b64 vcc, exec, s[4:5]
	s_cbranch_vccnz .LBB23_1376
; %bb.1375:
	global_load_dword v3, v[12:13], off
	s_waitcnt vmcnt(0)
	v_cvt_f16_f32_e32 v3, v3
.LBB23_1376:
	s_mov_b64 s[4:5], 0
.LBB23_1377:
	s_andn2_b64 vcc, exec, s[4:5]
	s_cbranch_vccnz .LBB23_1379
; %bb.1378:
	global_load_ushort v3, v[12:13], off
.LBB23_1379:
	s_cbranch_execnz .LBB23_1399
.LBB23_1380:
	v_cmp_lt_i16_e64 s[4:5], s19, 2
	s_and_b64 vcc, exec, s[4:5]
	s_cbranch_vccnz .LBB23_1384
; %bb.1381:
	v_cmp_lt_i16_e64 s[4:5], s19, 3
	s_and_b64 vcc, exec, s[4:5]
	s_cbranch_vccnz .LBB23_1385
; %bb.1382:
	v_cmp_gt_i16_e64 s[4:5], s19, 3
	s_and_b64 vcc, exec, s[4:5]
	s_cbranch_vccz .LBB23_1386
; %bb.1383:
	global_load_dwordx2 v[14:15], v[12:13], off
	s_mov_b64 s[4:5], 0
	s_waitcnt vmcnt(0)
	v_xor_b32_e32 v5, v14, v15
	v_ffbh_i32_e32 v3, v15
	v_ashrrev_i32_e32 v5, 31, v5
	v_add_u32_e32 v3, -1, v3
	v_add_u32_e32 v5, 32, v5
	v_min_u32_e32 v3, v3, v5
	v_lshlrev_b64 v[14:15], v3, v[14:15]
	v_min_u32_e32 v5, 1, v14
	v_or_b32_e32 v5, v15, v5
	v_cvt_f32_i32_e32 v5, v5
	v_sub_u32_e32 v3, 32, v3
	v_ldexp_f32 v3, v5, v3
	v_cvt_f16_f32_e32 v3, v3
	s_branch .LBB23_1387
.LBB23_1384:
	s_mov_b64 s[4:5], -1
                                        ; implicit-def: $vgpr3
	s_branch .LBB23_1393
.LBB23_1385:
	s_mov_b64 s[4:5], -1
                                        ; implicit-def: $vgpr3
	s_branch .LBB23_1390
.LBB23_1386:
	s_mov_b64 s[4:5], -1
                                        ; implicit-def: $vgpr3
.LBB23_1387:
	s_andn2_b64 vcc, exec, s[4:5]
	s_cbranch_vccnz .LBB23_1389
; %bb.1388:
	global_load_dword v3, v[12:13], off
	s_waitcnt vmcnt(0)
	v_cvt_f32_i32_e32 v3, v3
	v_cvt_f16_f32_e32 v3, v3
.LBB23_1389:
	s_mov_b64 s[4:5], 0
.LBB23_1390:
	s_andn2_b64 vcc, exec, s[4:5]
	s_cbranch_vccnz .LBB23_1392
; %bb.1391:
	global_load_ushort v3, v[12:13], off
	s_waitcnt vmcnt(0)
	v_cvt_f16_i16_e32 v3, v3
.LBB23_1392:
	s_mov_b64 s[4:5], 0
.LBB23_1393:
	s_andn2_b64 vcc, exec, s[4:5]
	s_cbranch_vccnz .LBB23_1399
; %bb.1394:
	v_cmp_gt_i16_e64 s[4:5], s19, 0
	s_and_b64 vcc, exec, s[4:5]
	s_cbranch_vccz .LBB23_1396
; %bb.1395:
	global_load_sbyte v3, v[12:13], off
	s_mov_b64 s[4:5], 0
	s_waitcnt vmcnt(0)
	v_cvt_f16_i16_e32 v3, v3
	s_branch .LBB23_1397
.LBB23_1396:
	s_mov_b64 s[4:5], -1
                                        ; implicit-def: $vgpr3
.LBB23_1397:
	s_andn2_b64 vcc, exec, s[4:5]
	s_cbranch_vccnz .LBB23_1399
; %bb.1398:
	global_load_ubyte v3, v[12:13], off
	s_waitcnt vmcnt(0)
	v_cvt_f16_u16_e32 v3, v3
.LBB23_1399:
.LBB23_1400:
	v_mov_b32_e32 v5, s11
	v_add_co_u32_e32 v10, vcc, s10, v10
	v_addc_co_u32_e32 v11, vcc, 0, v5, vcc
	s_and_b64 vcc, exec, s[0:1]
	s_cbranch_vccnz .LBB23_1407
; %bb.1401:
	v_cmp_gt_i16_e64 s[4:5], s19, 25
	s_mov_b64 s[6:7], 0
	s_and_b64 vcc, exec, s[4:5]
	s_cbranch_vccz .LBB23_1409
; %bb.1402:
	v_cmp_gt_i16_e64 s[4:5], s19, 28
	s_and_b64 vcc, exec, s[4:5]
	s_cbranch_vccz .LBB23_1410
; %bb.1403:
	v_cmp_gt_i16_e64 s[4:5], s19, 43
	;; [unrolled: 4-line block ×3, first 2 shown]
	s_and_b64 vcc, exec, s[4:5]
	s_cbranch_vccz .LBB23_1413
; %bb.1405:
	v_cmp_eq_u16_e64 s[4:5], s19, 46
	s_mov_b64 s[14:15], 0
	s_and_b64 vcc, exec, s[4:5]
	s_cbranch_vccz .LBB23_1414
; %bb.1406:
	global_load_dword v5, v[10:11], off
	s_mov_b64 s[4:5], 0
	s_mov_b64 s[12:13], -1
	s_waitcnt vmcnt(0)
	v_lshlrev_b32_e32 v5, 16, v5
	v_cvt_f16_f32_e32 v12, v5
	s_branch .LBB23_1415
.LBB23_1407:
	s_mov_b64 s[12:13], 0
                                        ; implicit-def: $vgpr12
	s_cbranch_execnz .LBB23_1481
.LBB23_1408:
	s_andn2_b64 vcc, exec, s[12:13]
	s_cbranch_vccnz .LBB23_2112
	s_branch .LBB23_1529
.LBB23_1409:
	s_mov_b64 s[14:15], -1
	s_mov_b64 s[12:13], 0
	s_mov_b64 s[4:5], 0
                                        ; implicit-def: $vgpr12
	s_branch .LBB23_1444
.LBB23_1410:
	s_mov_b64 s[14:15], -1
	s_mov_b64 s[12:13], 0
	s_mov_b64 s[4:5], 0
                                        ; implicit-def: $vgpr12
	s_branch .LBB23_1425
.LBB23_1411:
	s_mov_b64 s[14:15], -1
	s_mov_b64 s[12:13], 0
	s_mov_b64 s[4:5], 0
                                        ; implicit-def: $vgpr12
	s_branch .LBB23_1420
.LBB23_1412:
	s_trap 2
	s_or_b64 s[2:3], s[2:3], exec
                                        ; implicit-def: $vgpr3
	s_cbranch_execz .LBB23_1351
	s_branch .LBB23_1352
.LBB23_1413:
	s_mov_b64 s[14:15], -1
	s_mov_b64 s[12:13], 0
	s_mov_b64 s[4:5], 0
                                        ; implicit-def: $vgpr12
	s_branch .LBB23_1415
.LBB23_1414:
	s_mov_b64 s[4:5], -1
                                        ; implicit-def: $vgpr12
	s_mov_b64 s[12:13], 0
.LBB23_1415:
	s_and_b64 vcc, exec, s[14:15]
	s_cbranch_vccz .LBB23_1419
; %bb.1416:
	v_cmp_eq_u16_e64 s[4:5], s19, 44
	s_and_b64 vcc, exec, s[4:5]
	s_cbranch_vccz .LBB23_1418
; %bb.1417:
	global_load_ubyte v5, v[10:11], off
	s_movk_i32 s12, 0xff
	v_mov_b32_e32 v9, 0x7e00
	s_mov_b64 s[4:5], 0
	s_waitcnt vmcnt(0)
	v_lshlrev_b32_e32 v7, 23, v5
	v_cvt_f16_f32_e32 v7, v7
	v_cmp_ne_u32_e32 vcc, s12, v5
	s_mov_b64 s[12:13], -1
	v_cndmask_b32_e32 v7, v9, v7, vcc
	v_cmp_ne_u32_e32 vcc, 0, v5
	v_cndmask_b32_e32 v12, 0, v7, vcc
	s_branch .LBB23_1419
.LBB23_1418:
	s_mov_b64 s[4:5], -1
                                        ; implicit-def: $vgpr12
.LBB23_1419:
	s_mov_b64 s[14:15], 0
.LBB23_1420:
	s_and_b64 vcc, exec, s[14:15]
	s_cbranch_vccz .LBB23_1424
; %bb.1421:
	v_cmp_eq_u16_e64 s[4:5], s19, 29
	s_and_b64 vcc, exec, s[4:5]
	s_cbranch_vccz .LBB23_1423
; %bb.1422:
	global_load_dwordx2 v[12:13], v[10:11], off
	s_mov_b64 s[4:5], 0
	s_mov_b64 s[12:13], -1
	s_mov_b64 s[14:15], 0
	s_waitcnt vmcnt(0)
	v_ffbh_u32_e32 v5, v13
	v_min_u32_e32 v5, 32, v5
	v_lshlrev_b64 v[12:13], v5, v[12:13]
	v_min_u32_e32 v7, 1, v12
	v_or_b32_e32 v7, v13, v7
	v_cvt_f32_u32_e32 v7, v7
	v_sub_u32_e32 v5, 32, v5
	v_ldexp_f32 v5, v7, v5
	v_cvt_f16_f32_e32 v12, v5
	s_branch .LBB23_1425
.LBB23_1423:
	s_mov_b64 s[4:5], -1
                                        ; implicit-def: $vgpr12
.LBB23_1424:
	s_mov_b64 s[14:15], 0
.LBB23_1425:
	s_and_b64 vcc, exec, s[14:15]
	s_cbranch_vccz .LBB23_1443
; %bb.1426:
	v_cmp_lt_i16_e64 s[12:13], s19, 27
	s_and_b64 vcc, exec, s[12:13]
	s_cbranch_vccnz .LBB23_1429
; %bb.1427:
	v_cmp_gt_i16_e64 s[12:13], s19, 27
	s_and_b64 vcc, exec, s[12:13]
	s_cbranch_vccz .LBB23_1430
; %bb.1428:
	global_load_dword v5, v[10:11], off
	s_mov_b64 s[12:13], 0
	s_waitcnt vmcnt(0)
	v_cvt_f32_u32_e32 v5, v5
	v_cvt_f16_f32_e32 v12, v5
	s_branch .LBB23_1431
.LBB23_1429:
	s_mov_b64 s[12:13], -1
                                        ; implicit-def: $vgpr12
	s_branch .LBB23_1434
.LBB23_1430:
	s_mov_b64 s[12:13], -1
                                        ; implicit-def: $vgpr12
.LBB23_1431:
	s_andn2_b64 vcc, exec, s[12:13]
	s_cbranch_vccnz .LBB23_1433
; %bb.1432:
	global_load_ushort v5, v[10:11], off
	s_waitcnt vmcnt(0)
	v_cvt_f16_u16_e32 v12, v5
.LBB23_1433:
	s_mov_b64 s[12:13], 0
.LBB23_1434:
	s_andn2_b64 vcc, exec, s[12:13]
	s_cbranch_vccnz .LBB23_1442
; %bb.1435:
	global_load_ubyte v5, v[10:11], off
	s_movk_i32 s12, 0x7f
                                        ; implicit-def: $sgpr20
	s_waitcnt vmcnt(0)
	v_cmp_lt_i16_e32 vcc, s12, v5
	s_mov_b64 s[12:13], 0
	s_and_saveexec_b64 s[14:15], vcc
	s_xor_b64 s[14:15], exec, s[14:15]
	s_cbranch_execz .LBB23_1456
; %bb.1436:
	s_movk_i32 s12, 0x80
	v_cmp_eq_u16_e32 vcc, s12, v5
	s_mov_b64 s[12:13], -1
                                        ; implicit-def: $sgpr20
	s_and_saveexec_b64 s[16:17], vcc
; %bb.1437:
	s_movk_i32 s20, 0x7e00
	s_xor_b64 s[12:13], exec, -1
; %bb.1438:
	s_or_b64 exec, exec, s[16:17]
	s_and_b64 s[12:13], s[12:13], exec
	s_or_saveexec_b64 s[14:15], s[14:15]
	v_mov_b32_e32 v12, s20
	s_xor_b64 exec, exec, s[14:15]
	s_cbranch_execnz .LBB23_1457
.LBB23_1439:
	s_or_b64 exec, exec, s[14:15]
	s_and_saveexec_b64 s[14:15], s[12:13]
	s_cbranch_execz .LBB23_1441
.LBB23_1440:
	v_lshlrev_b32_e32 v7, 24, v5
	v_and_b32_e32 v5, 0xffff, v5
	v_and_b32_e32 v9, 7, v5
	v_ffbh_u32_e32 v13, v9
	v_min_u32_e32 v13, 32, v13
	v_subrev_u32_e32 v14, 28, v13
	v_bfe_u32 v12, v5, 3, 4
	v_lshlrev_b32_e32 v5, v14, v5
	v_sub_u32_e32 v13, 29, v13
	v_and_b32_e32 v5, 7, v5
	v_cmp_eq_u32_e32 vcc, 0, v12
	v_cndmask_b32_e32 v12, v12, v13, vcc
	v_cndmask_b32_e32 v5, v9, v5, vcc
	v_mov_b32_e32 v9, 0x3b800000
	v_lshlrev_b32_e32 v5, 20, v5
	v_and_b32_e32 v7, 0x80000000, v7
	v_lshl_add_u32 v9, v12, 23, v9
	v_or3_b32 v5, v7, v9, v5
	v_cvt_f16_f32_e32 v12, v5
.LBB23_1441:
	s_or_b64 exec, exec, s[14:15]
.LBB23_1442:
	s_mov_b64 s[12:13], -1
.LBB23_1443:
	s_mov_b64 s[14:15], 0
.LBB23_1444:
	s_and_b64 vcc, exec, s[14:15]
	s_cbranch_vccz .LBB23_1477
; %bb.1445:
	v_cmp_gt_i16_e64 s[6:7], s19, 22
	s_and_b64 vcc, exec, s[6:7]
	s_cbranch_vccz .LBB23_1455
; %bb.1446:
	v_cmp_lt_i16_e64 s[6:7], s19, 24
	s_and_b64 vcc, exec, s[6:7]
	s_cbranch_vccnz .LBB23_1458
; %bb.1447:
	v_cmp_gt_i16_e64 s[6:7], s19, 24
	s_and_b64 vcc, exec, s[6:7]
	s_cbranch_vccz .LBB23_1459
; %bb.1448:
	global_load_ubyte v5, v[10:11], off
	s_movk_i32 s6, 0x7f
                                        ; implicit-def: $sgpr16
	s_waitcnt vmcnt(0)
	v_cmp_lt_i16_e32 vcc, s6, v5
	s_mov_b64 s[6:7], 0
	s_and_saveexec_b64 s[12:13], vcc
	s_xor_b64 s[12:13], exec, s[12:13]
	s_cbranch_execz .LBB23_1471
; %bb.1449:
	s_movk_i32 s6, 0x80
	v_cmp_eq_u16_e32 vcc, s6, v5
	s_mov_b64 s[6:7], -1
                                        ; implicit-def: $sgpr16
	s_and_saveexec_b64 s[14:15], vcc
; %bb.1450:
	s_movk_i32 s16, 0x7e00
	s_xor_b64 s[6:7], exec, -1
; %bb.1451:
	s_or_b64 exec, exec, s[14:15]
	s_and_b64 s[6:7], s[6:7], exec
	s_or_saveexec_b64 s[12:13], s[12:13]
	v_mov_b32_e32 v12, s16
	s_xor_b64 exec, exec, s[12:13]
	s_cbranch_execnz .LBB23_1472
.LBB23_1452:
	s_or_b64 exec, exec, s[12:13]
	s_and_saveexec_b64 s[12:13], s[6:7]
	s_cbranch_execz .LBB23_1454
.LBB23_1453:
	v_lshlrev_b32_e32 v7, 24, v5
	v_and_b32_e32 v5, 0xffff, v5
	v_and_b32_e32 v9, 3, v5
	v_ffbh_u32_e32 v13, v9
	v_min_u32_e32 v13, 32, v13
	v_subrev_u32_e32 v14, 29, v13
	v_bfe_u32 v12, v5, 2, 5
	v_lshlrev_b32_e32 v5, v14, v5
	v_sub_u32_e32 v13, 30, v13
	v_and_b32_e32 v5, 3, v5
	v_cmp_eq_u32_e32 vcc, 0, v12
	v_cndmask_b32_e32 v12, v12, v13, vcc
	v_cndmask_b32_e32 v5, v9, v5, vcc
	v_mov_b32_e32 v9, 0x37800000
	v_lshlrev_b32_e32 v5, 21, v5
	v_and_b32_e32 v7, 0x80000000, v7
	v_lshl_add_u32 v9, v12, 23, v9
	v_or3_b32 v5, v7, v9, v5
	v_cvt_f16_f32_e32 v12, v5
.LBB23_1454:
	s_or_b64 exec, exec, s[12:13]
	s_mov_b64 s[6:7], 0
	s_branch .LBB23_1460
.LBB23_1455:
	s_mov_b64 s[6:7], -1
                                        ; implicit-def: $vgpr12
	s_branch .LBB23_1466
.LBB23_1456:
	s_or_saveexec_b64 s[14:15], s[14:15]
	v_mov_b32_e32 v12, s20
	s_xor_b64 exec, exec, s[14:15]
	s_cbranch_execz .LBB23_1439
.LBB23_1457:
	v_cmp_ne_u16_e32 vcc, 0, v5
	s_andn2_b64 s[12:13], s[12:13], exec
	s_and_b64 s[16:17], vcc, exec
	s_or_b64 s[12:13], s[12:13], s[16:17]
	v_mov_b32_e32 v12, v5
	s_or_b64 exec, exec, s[14:15]
	s_and_saveexec_b64 s[14:15], s[12:13]
	s_cbranch_execnz .LBB23_1440
	s_branch .LBB23_1441
.LBB23_1458:
	s_mov_b64 s[6:7], -1
                                        ; implicit-def: $vgpr12
	s_branch .LBB23_1463
.LBB23_1459:
	s_mov_b64 s[6:7], -1
                                        ; implicit-def: $vgpr12
.LBB23_1460:
	s_and_b64 vcc, exec, s[6:7]
	s_cbranch_vccz .LBB23_1462
; %bb.1461:
	global_load_ubyte v5, v[10:11], off
	s_mov_b32 s6, 0x7f800000
	s_waitcnt vmcnt(0)
	v_lshlrev_b32_e32 v5, 24, v5
	v_and_b32_e32 v7, 0x7f000000, v5
	v_ffbh_u32_e32 v9, v7
	v_min_u32_e32 v9, 32, v9
	v_sub_u32_e64 v9, v9, 4 clamp
	v_lshlrev_b32_e32 v13, v9, v7
	v_lshlrev_b32_e32 v9, 23, v9
	v_lshrrev_b32_e32 v13, 4, v13
	v_add_u32_e32 v12, 0x1000000, v7
	v_sub_u32_e32 v9, v13, v9
	v_ashrrev_i32_e32 v12, 8, v12
	v_add_u32_e32 v9, 0x3c000000, v9
	v_and_or_b32 v9, v12, s6, v9
	v_cmp_ne_u32_e32 vcc, 0, v7
	v_cndmask_b32_e32 v7, 0, v9, vcc
	s_brev_b32 s6, 1
	v_and_or_b32 v5, v5, s6, v7
	v_cvt_f16_f32_e32 v12, v5
.LBB23_1462:
	s_mov_b64 s[6:7], 0
.LBB23_1463:
	s_andn2_b64 vcc, exec, s[6:7]
	s_cbranch_vccnz .LBB23_1465
; %bb.1464:
	global_load_ubyte v5, v[10:11], off
	s_movk_i32 s6, 0x7f00
	s_brev_b32 s7, 16
	s_waitcnt vmcnt(0)
	v_lshlrev_b16_e32 v7, 8, v5
	v_lshlrev_b32_e32 v5, 25, v5
	v_lshrrev_b32_e32 v9, 4, v5
	v_and_or_b32 v12, v7, s6, 0.5
	v_or_b32_e32 v9, 0x70000000, v9
	v_add_f32_e32 v12, -0.5, v12
	v_mul_f32_e32 v9, 0x7800000, v9
	v_cmp_gt_u32_e32 vcc, s7, v5
	v_bfe_i32 v7, v7, 0, 16
	v_cndmask_b32_e32 v5, v9, v12, vcc
	s_brev_b32 s6, 1
	v_and_or_b32 v5, v7, s6, v5
	v_cvt_f16_f32_e32 v12, v5
.LBB23_1465:
	s_mov_b64 s[6:7], 0
	s_mov_b64 s[12:13], -1
.LBB23_1466:
	s_andn2_b64 vcc, exec, s[6:7]
	s_mov_b64 s[6:7], 0
	s_cbranch_vccnz .LBB23_1477
; %bb.1467:
	v_cmp_gt_i16_e64 s[6:7], s19, 14
	s_and_b64 vcc, exec, s[6:7]
	s_cbranch_vccz .LBB23_1470
; %bb.1468:
	v_cmp_eq_u16_e64 s[4:5], s19, 15
	s_and_b64 vcc, exec, s[4:5]
	s_cbranch_vccz .LBB23_1473
; %bb.1469:
	global_load_ushort v5, v[10:11], off
	s_mov_b64 s[4:5], 0
	s_mov_b64 s[12:13], -1
	s_waitcnt vmcnt(0)
	v_lshlrev_b32_e32 v5, 16, v5
	v_cvt_f16_f32_e32 v12, v5
	s_branch .LBB23_1474
.LBB23_1470:
	s_mov_b64 s[14:15], -1
                                        ; implicit-def: $vgpr12
	s_branch .LBB23_1475
.LBB23_1471:
	s_or_saveexec_b64 s[12:13], s[12:13]
	v_mov_b32_e32 v12, s16
	s_xor_b64 exec, exec, s[12:13]
	s_cbranch_execz .LBB23_1452
.LBB23_1472:
	v_cmp_ne_u16_e32 vcc, 0, v5
	s_andn2_b64 s[6:7], s[6:7], exec
	s_and_b64 s[14:15], vcc, exec
	s_or_b64 s[6:7], s[6:7], s[14:15]
	v_mov_b32_e32 v12, v5
	s_or_b64 exec, exec, s[12:13]
	s_and_saveexec_b64 s[12:13], s[6:7]
	s_cbranch_execnz .LBB23_1453
	s_branch .LBB23_1454
.LBB23_1473:
	s_mov_b64 s[4:5], -1
                                        ; implicit-def: $vgpr12
.LBB23_1474:
	s_mov_b64 s[14:15], 0
.LBB23_1475:
	s_mov_b64 s[6:7], 0
	s_and_b64 vcc, exec, s[14:15]
	s_cbranch_vccz .LBB23_1477
; %bb.1476:
	v_cmp_ne_u16_e64 s[4:5], s19, 11
	s_mov_b64 s[6:7], -1
                                        ; implicit-def: $vgpr12
.LBB23_1477:
	s_and_b64 vcc, exec, s[4:5]
	s_cbranch_vccnz .LBB23_1540
; %bb.1478:
	s_andn2_b64 vcc, exec, s[6:7]
	s_cbranch_vccnz .LBB23_1480
.LBB23_1479:
	global_load_ubyte v5, v[10:11], off
	v_mov_b32_e32 v7, 0x3c00
	s_mov_b64 s[12:13], -1
	s_waitcnt vmcnt(0)
	v_cmp_ne_u16_e32 vcc, 0, v5
	v_cndmask_b32_e32 v12, 0, v7, vcc
.LBB23_1480:
	s_branch .LBB23_1408
.LBB23_1481:
	v_cmp_lt_i16_e64 s[4:5], s19, 5
	s_and_b64 vcc, exec, s[4:5]
	s_cbranch_vccnz .LBB23_1486
; %bb.1482:
	v_cmp_lt_i16_e64 s[4:5], s19, 8
	s_and_b64 vcc, exec, s[4:5]
	s_cbranch_vccnz .LBB23_1487
; %bb.1483:
	;; [unrolled: 4-line block ×3, first 2 shown]
	v_cmp_gt_i16_e64 s[4:5], s19, 9
	s_and_b64 vcc, exec, s[4:5]
	s_cbranch_vccz .LBB23_1489
; %bb.1485:
	global_load_dwordx2 v[12:13], v[10:11], off
	s_mov_b64 s[4:5], 0
	s_waitcnt vmcnt(0)
	v_cvt_f32_f64_e32 v5, v[12:13]
	v_cvt_f16_f32_e32 v12, v5
	s_branch .LBB23_1490
.LBB23_1486:
	s_mov_b64 s[4:5], -1
                                        ; implicit-def: $vgpr12
	s_branch .LBB23_1508
.LBB23_1487:
	s_mov_b64 s[4:5], -1
                                        ; implicit-def: $vgpr12
	s_branch .LBB23_1496
.LBB23_1488:
	s_mov_b64 s[4:5], -1
                                        ; implicit-def: $vgpr12
	s_branch .LBB23_1493
.LBB23_1489:
	s_mov_b64 s[4:5], -1
                                        ; implicit-def: $vgpr12
.LBB23_1490:
	s_andn2_b64 vcc, exec, s[4:5]
	s_cbranch_vccnz .LBB23_1492
; %bb.1491:
	global_load_dword v5, v[10:11], off
	s_waitcnt vmcnt(0)
	v_cvt_f16_f32_e32 v12, v5
.LBB23_1492:
	s_mov_b64 s[4:5], 0
.LBB23_1493:
	s_andn2_b64 vcc, exec, s[4:5]
	s_cbranch_vccnz .LBB23_1495
; %bb.1494:
	global_load_dword v12, v[10:11], off
.LBB23_1495:
	s_mov_b64 s[4:5], 0
.LBB23_1496:
	s_andn2_b64 vcc, exec, s[4:5]
	s_cbranch_vccnz .LBB23_1507
; %bb.1497:
	v_cmp_lt_i16_e64 s[4:5], s19, 6
	s_and_b64 vcc, exec, s[4:5]
	s_cbranch_vccnz .LBB23_1500
; %bb.1498:
	v_cmp_gt_i16_e64 s[4:5], s19, 6
	s_and_b64 vcc, exec, s[4:5]
	s_cbranch_vccz .LBB23_1501
; %bb.1499:
	global_load_dwordx2 v[12:13], v[10:11], off
	s_mov_b64 s[4:5], 0
	s_waitcnt vmcnt(0)
	v_cvt_f32_f64_e32 v5, v[12:13]
	v_cvt_f16_f32_e32 v12, v5
	s_branch .LBB23_1502
.LBB23_1500:
	s_mov_b64 s[4:5], -1
                                        ; implicit-def: $vgpr12
	s_branch .LBB23_1505
.LBB23_1501:
	s_mov_b64 s[4:5], -1
                                        ; implicit-def: $vgpr12
.LBB23_1502:
	s_andn2_b64 vcc, exec, s[4:5]
	s_cbranch_vccnz .LBB23_1504
; %bb.1503:
	global_load_dword v5, v[10:11], off
	s_waitcnt vmcnt(0)
	v_cvt_f16_f32_e32 v12, v5
.LBB23_1504:
	s_mov_b64 s[4:5], 0
.LBB23_1505:
	s_andn2_b64 vcc, exec, s[4:5]
	s_cbranch_vccnz .LBB23_1507
; %bb.1506:
	global_load_ushort v12, v[10:11], off
.LBB23_1507:
	s_mov_b64 s[4:5], 0
.LBB23_1508:
	s_andn2_b64 vcc, exec, s[4:5]
	s_cbranch_vccnz .LBB23_1528
; %bb.1509:
	v_cmp_lt_i16_e64 s[4:5], s19, 2
	s_and_b64 vcc, exec, s[4:5]
	s_cbranch_vccnz .LBB23_1513
; %bb.1510:
	v_cmp_lt_i16_e64 s[4:5], s19, 3
	s_and_b64 vcc, exec, s[4:5]
	s_cbranch_vccnz .LBB23_1514
; %bb.1511:
	v_cmp_gt_i16_e64 s[4:5], s19, 3
	s_and_b64 vcc, exec, s[4:5]
	s_cbranch_vccz .LBB23_1515
; %bb.1512:
	global_load_dwordx2 v[12:13], v[10:11], off
	s_mov_b64 s[4:5], 0
	s_waitcnt vmcnt(0)
	v_xor_b32_e32 v7, v12, v13
	v_ffbh_i32_e32 v5, v13
	v_ashrrev_i32_e32 v7, 31, v7
	v_add_u32_e32 v5, -1, v5
	v_add_u32_e32 v7, 32, v7
	v_min_u32_e32 v5, v5, v7
	v_lshlrev_b64 v[12:13], v5, v[12:13]
	v_min_u32_e32 v7, 1, v12
	v_or_b32_e32 v7, v13, v7
	v_cvt_f32_i32_e32 v7, v7
	v_sub_u32_e32 v5, 32, v5
	v_ldexp_f32 v5, v7, v5
	v_cvt_f16_f32_e32 v12, v5
	s_branch .LBB23_1516
.LBB23_1513:
	s_mov_b64 s[4:5], -1
                                        ; implicit-def: $vgpr12
	s_branch .LBB23_1522
.LBB23_1514:
	s_mov_b64 s[4:5], -1
                                        ; implicit-def: $vgpr12
	s_branch .LBB23_1519
.LBB23_1515:
	s_mov_b64 s[4:5], -1
                                        ; implicit-def: $vgpr12
.LBB23_1516:
	s_andn2_b64 vcc, exec, s[4:5]
	s_cbranch_vccnz .LBB23_1518
; %bb.1517:
	global_load_dword v5, v[10:11], off
	s_waitcnt vmcnt(0)
	v_cvt_f32_i32_e32 v5, v5
	v_cvt_f16_f32_e32 v12, v5
.LBB23_1518:
	s_mov_b64 s[4:5], 0
.LBB23_1519:
	s_andn2_b64 vcc, exec, s[4:5]
	s_cbranch_vccnz .LBB23_1521
; %bb.1520:
	global_load_ushort v5, v[10:11], off
	s_waitcnt vmcnt(0)
	v_cvt_f16_i16_e32 v12, v5
.LBB23_1521:
	s_mov_b64 s[4:5], 0
.LBB23_1522:
	s_andn2_b64 vcc, exec, s[4:5]
	s_cbranch_vccnz .LBB23_1528
; %bb.1523:
	v_cmp_gt_i16_e64 s[4:5], s19, 0
	s_and_b64 vcc, exec, s[4:5]
	s_cbranch_vccz .LBB23_1525
; %bb.1524:
	global_load_sbyte v5, v[10:11], off
	s_mov_b64 s[4:5], 0
	s_waitcnt vmcnt(0)
	v_cvt_f16_i16_e32 v12, v5
	s_branch .LBB23_1526
.LBB23_1525:
	s_mov_b64 s[4:5], -1
                                        ; implicit-def: $vgpr12
.LBB23_1526:
	s_andn2_b64 vcc, exec, s[4:5]
	s_cbranch_vccnz .LBB23_1528
; %bb.1527:
	global_load_ubyte v5, v[10:11], off
	s_waitcnt vmcnt(0)
	v_cvt_f16_u16_e32 v12, v5
.LBB23_1528:
.LBB23_1529:
	v_mov_b32_e32 v5, s11
	v_add_co_u32_e32 v8, vcc, s10, v8
	v_addc_co_u32_e32 v9, vcc, 0, v5, vcc
	s_and_b64 vcc, exec, s[0:1]
	s_cbranch_vccnz .LBB23_1536
; %bb.1530:
	v_cmp_gt_i16_e64 s[0:1], s19, 25
	s_mov_b64 s[4:5], 0
	s_and_b64 vcc, exec, s[0:1]
	s_cbranch_vccz .LBB23_1537
; %bb.1531:
	v_cmp_gt_i16_e64 s[0:1], s19, 28
	s_and_b64 vcc, exec, s[0:1]
	s_cbranch_vccz .LBB23_1538
; %bb.1532:
	v_cmp_gt_i16_e64 s[0:1], s19, 43
	s_and_b64 vcc, exec, s[0:1]
	s_cbranch_vccz .LBB23_1539
; %bb.1533:
	v_cmp_gt_i16_e64 s[0:1], s19, 45
	s_and_b64 vcc, exec, s[0:1]
	s_cbranch_vccz .LBB23_1541
; %bb.1534:
	v_cmp_eq_u16_e64 s[0:1], s19, 46
	s_mov_b64 s[10:11], 0
	s_and_b64 vcc, exec, s[0:1]
	s_cbranch_vccz .LBB23_1542
; %bb.1535:
	global_load_dword v5, v[8:9], off
	s_mov_b64 s[0:1], 0
	s_mov_b64 s[6:7], -1
	s_waitcnt vmcnt(0)
	v_lshlrev_b32_e32 v5, 16, v5
	v_cvt_f16_f32_e32 v10, v5
	s_branch .LBB23_1543
.LBB23_1536:
	s_mov_b64 s[0:1], -1
	s_mov_b64 s[6:7], 0
                                        ; implicit-def: $vgpr10
	s_branch .LBB23_1609
.LBB23_1537:
	s_mov_b64 s[10:11], -1
	s_mov_b64 s[6:7], 0
	s_mov_b64 s[0:1], 0
                                        ; implicit-def: $vgpr10
	s_branch .LBB23_1572
.LBB23_1538:
	s_mov_b64 s[10:11], -1
	s_mov_b64 s[6:7], 0
	s_mov_b64 s[0:1], 0
                                        ; implicit-def: $vgpr10
	s_branch .LBB23_1553
.LBB23_1539:
	s_mov_b64 s[10:11], -1
	s_mov_b64 s[6:7], 0
	s_mov_b64 s[0:1], 0
                                        ; implicit-def: $vgpr10
	s_branch .LBB23_1548
.LBB23_1540:
	s_trap 2
	s_or_b64 s[2:3], s[2:3], exec
                                        ; implicit-def: $vgpr12
	s_cbranch_execz .LBB23_1479
	s_branch .LBB23_1480
.LBB23_1541:
	s_mov_b64 s[10:11], -1
	s_mov_b64 s[6:7], 0
	s_mov_b64 s[0:1], 0
                                        ; implicit-def: $vgpr10
	s_branch .LBB23_1543
.LBB23_1542:
	s_mov_b64 s[0:1], -1
                                        ; implicit-def: $vgpr10
	s_mov_b64 s[6:7], 0
.LBB23_1543:
	s_and_b64 vcc, exec, s[10:11]
	s_cbranch_vccz .LBB23_1547
; %bb.1544:
	v_cmp_eq_u16_e64 s[0:1], s19, 44
	s_and_b64 vcc, exec, s[0:1]
	s_cbranch_vccz .LBB23_1546
; %bb.1545:
	global_load_ubyte v5, v[8:9], off
	s_movk_i32 s6, 0xff
	v_mov_b32_e32 v10, 0x7e00
	s_mov_b64 s[0:1], 0
	s_waitcnt vmcnt(0)
	v_lshlrev_b32_e32 v7, 23, v5
	v_cvt_f16_f32_e32 v7, v7
	v_cmp_ne_u32_e32 vcc, s6, v5
	s_mov_b64 s[6:7], -1
	v_cndmask_b32_e32 v7, v10, v7, vcc
	v_cmp_ne_u32_e32 vcc, 0, v5
	v_cndmask_b32_e32 v10, 0, v7, vcc
	s_branch .LBB23_1547
.LBB23_1546:
	s_mov_b64 s[0:1], -1
                                        ; implicit-def: $vgpr10
.LBB23_1547:
	s_mov_b64 s[10:11], 0
.LBB23_1548:
	s_and_b64 vcc, exec, s[10:11]
	s_cbranch_vccz .LBB23_1552
; %bb.1549:
	v_cmp_eq_u16_e64 s[0:1], s19, 29
	s_and_b64 vcc, exec, s[0:1]
	s_cbranch_vccz .LBB23_1551
; %bb.1550:
	global_load_dwordx2 v[10:11], v[8:9], off
	s_mov_b64 s[0:1], 0
	s_mov_b64 s[6:7], -1
	s_mov_b64 s[10:11], 0
	s_waitcnt vmcnt(0)
	v_ffbh_u32_e32 v5, v11
	v_min_u32_e32 v5, 32, v5
	v_lshlrev_b64 v[10:11], v5, v[10:11]
	v_min_u32_e32 v7, 1, v10
	v_or_b32_e32 v7, v11, v7
	v_cvt_f32_u32_e32 v7, v7
	v_sub_u32_e32 v5, 32, v5
	v_ldexp_f32 v5, v7, v5
	v_cvt_f16_f32_e32 v10, v5
	s_branch .LBB23_1553
.LBB23_1551:
	s_mov_b64 s[0:1], -1
                                        ; implicit-def: $vgpr10
.LBB23_1552:
	s_mov_b64 s[10:11], 0
.LBB23_1553:
	s_and_b64 vcc, exec, s[10:11]
	s_cbranch_vccz .LBB23_1571
; %bb.1554:
	v_cmp_lt_i16_e64 s[6:7], s19, 27
	s_and_b64 vcc, exec, s[6:7]
	s_cbranch_vccnz .LBB23_1557
; %bb.1555:
	v_cmp_gt_i16_e64 s[6:7], s19, 27
	s_and_b64 vcc, exec, s[6:7]
	s_cbranch_vccz .LBB23_1558
; %bb.1556:
	global_load_dword v5, v[8:9], off
	s_mov_b64 s[6:7], 0
	s_waitcnt vmcnt(0)
	v_cvt_f32_u32_e32 v5, v5
	v_cvt_f16_f32_e32 v10, v5
	s_branch .LBB23_1559
.LBB23_1557:
	s_mov_b64 s[6:7], -1
                                        ; implicit-def: $vgpr10
	s_branch .LBB23_1562
.LBB23_1558:
	s_mov_b64 s[6:7], -1
                                        ; implicit-def: $vgpr10
.LBB23_1559:
	s_andn2_b64 vcc, exec, s[6:7]
	s_cbranch_vccnz .LBB23_1561
; %bb.1560:
	global_load_ushort v5, v[8:9], off
	s_waitcnt vmcnt(0)
	v_cvt_f16_u16_e32 v10, v5
.LBB23_1561:
	s_mov_b64 s[6:7], 0
.LBB23_1562:
	s_andn2_b64 vcc, exec, s[6:7]
	s_cbranch_vccnz .LBB23_1570
; %bb.1563:
	global_load_ubyte v5, v[8:9], off
	s_movk_i32 s6, 0x7f
                                        ; implicit-def: $sgpr14
	s_waitcnt vmcnt(0)
	v_cmp_lt_i16_e32 vcc, s6, v5
	s_mov_b64 s[6:7], 0
	s_and_saveexec_b64 s[10:11], vcc
	s_xor_b64 s[10:11], exec, s[10:11]
	s_cbranch_execz .LBB23_1584
; %bb.1564:
	s_movk_i32 s6, 0x80
	v_cmp_eq_u16_e32 vcc, s6, v5
	s_mov_b64 s[6:7], -1
                                        ; implicit-def: $sgpr14
	s_and_saveexec_b64 s[12:13], vcc
; %bb.1565:
	s_movk_i32 s14, 0x7e00
	s_xor_b64 s[6:7], exec, -1
; %bb.1566:
	s_or_b64 exec, exec, s[12:13]
	s_and_b64 s[6:7], s[6:7], exec
	s_or_saveexec_b64 s[10:11], s[10:11]
	v_mov_b32_e32 v10, s14
	s_xor_b64 exec, exec, s[10:11]
	s_cbranch_execnz .LBB23_1585
.LBB23_1567:
	s_or_b64 exec, exec, s[10:11]
	s_and_saveexec_b64 s[10:11], s[6:7]
	s_cbranch_execz .LBB23_1569
.LBB23_1568:
	v_lshlrev_b32_e32 v7, 24, v5
	v_and_b32_e32 v5, 0xffff, v5
	v_and_b32_e32 v10, 7, v5
	v_ffbh_u32_e32 v13, v10
	v_min_u32_e32 v13, 32, v13
	v_subrev_u32_e32 v14, 28, v13
	v_bfe_u32 v11, v5, 3, 4
	v_lshlrev_b32_e32 v5, v14, v5
	v_sub_u32_e32 v13, 29, v13
	v_and_b32_e32 v5, 7, v5
	v_cmp_eq_u32_e32 vcc, 0, v11
	v_cndmask_b32_e32 v11, v11, v13, vcc
	v_cndmask_b32_e32 v5, v10, v5, vcc
	v_mov_b32_e32 v10, 0x3b800000
	v_lshlrev_b32_e32 v5, 20, v5
	v_and_b32_e32 v7, 0x80000000, v7
	v_lshl_add_u32 v10, v11, 23, v10
	v_or3_b32 v5, v7, v10, v5
	v_cvt_f16_f32_e32 v10, v5
.LBB23_1569:
	s_or_b64 exec, exec, s[10:11]
.LBB23_1570:
	s_mov_b64 s[6:7], -1
.LBB23_1571:
	s_mov_b64 s[10:11], 0
.LBB23_1572:
	s_and_b64 vcc, exec, s[10:11]
	s_cbranch_vccz .LBB23_1605
; %bb.1573:
	v_cmp_gt_i16_e64 s[4:5], s19, 22
	s_and_b64 vcc, exec, s[4:5]
	s_cbranch_vccz .LBB23_1583
; %bb.1574:
	v_cmp_lt_i16_e64 s[4:5], s19, 24
	s_and_b64 vcc, exec, s[4:5]
	s_cbranch_vccnz .LBB23_1586
; %bb.1575:
	v_cmp_gt_i16_e64 s[4:5], s19, 24
	s_and_b64 vcc, exec, s[4:5]
	s_cbranch_vccz .LBB23_1587
; %bb.1576:
	global_load_ubyte v5, v[8:9], off
	s_movk_i32 s4, 0x7f
                                        ; implicit-def: $sgpr12
	s_waitcnt vmcnt(0)
	v_cmp_lt_i16_e32 vcc, s4, v5
	s_mov_b64 s[4:5], 0
	s_and_saveexec_b64 s[6:7], vcc
	s_xor_b64 s[6:7], exec, s[6:7]
	s_cbranch_execz .LBB23_1599
; %bb.1577:
	s_movk_i32 s4, 0x80
	v_cmp_eq_u16_e32 vcc, s4, v5
	s_mov_b64 s[4:5], -1
                                        ; implicit-def: $sgpr12
	s_and_saveexec_b64 s[10:11], vcc
; %bb.1578:
	s_movk_i32 s12, 0x7e00
	s_xor_b64 s[4:5], exec, -1
; %bb.1579:
	s_or_b64 exec, exec, s[10:11]
	s_and_b64 s[4:5], s[4:5], exec
	s_or_saveexec_b64 s[6:7], s[6:7]
	v_mov_b32_e32 v10, s12
	s_xor_b64 exec, exec, s[6:7]
	s_cbranch_execnz .LBB23_1600
.LBB23_1580:
	s_or_b64 exec, exec, s[6:7]
	s_and_saveexec_b64 s[6:7], s[4:5]
	s_cbranch_execz .LBB23_1582
.LBB23_1581:
	v_lshlrev_b32_e32 v7, 24, v5
	v_and_b32_e32 v5, 0xffff, v5
	v_and_b32_e32 v10, 3, v5
	v_ffbh_u32_e32 v13, v10
	v_min_u32_e32 v13, 32, v13
	v_subrev_u32_e32 v14, 29, v13
	v_bfe_u32 v11, v5, 2, 5
	v_lshlrev_b32_e32 v5, v14, v5
	v_sub_u32_e32 v13, 30, v13
	v_and_b32_e32 v5, 3, v5
	v_cmp_eq_u32_e32 vcc, 0, v11
	v_cndmask_b32_e32 v11, v11, v13, vcc
	v_cndmask_b32_e32 v5, v10, v5, vcc
	v_mov_b32_e32 v10, 0x37800000
	v_lshlrev_b32_e32 v5, 21, v5
	v_and_b32_e32 v7, 0x80000000, v7
	v_lshl_add_u32 v10, v11, 23, v10
	v_or3_b32 v5, v7, v10, v5
	v_cvt_f16_f32_e32 v10, v5
.LBB23_1582:
	s_or_b64 exec, exec, s[6:7]
	s_mov_b64 s[4:5], 0
	s_branch .LBB23_1588
.LBB23_1583:
	s_mov_b64 s[4:5], -1
                                        ; implicit-def: $vgpr10
	s_branch .LBB23_1594
.LBB23_1584:
	s_or_saveexec_b64 s[10:11], s[10:11]
	v_mov_b32_e32 v10, s14
	s_xor_b64 exec, exec, s[10:11]
	s_cbranch_execz .LBB23_1567
.LBB23_1585:
	v_cmp_ne_u16_e32 vcc, 0, v5
	s_andn2_b64 s[6:7], s[6:7], exec
	s_and_b64 s[12:13], vcc, exec
	s_or_b64 s[6:7], s[6:7], s[12:13]
	v_mov_b32_e32 v10, v5
	s_or_b64 exec, exec, s[10:11]
	s_and_saveexec_b64 s[10:11], s[6:7]
	s_cbranch_execnz .LBB23_1568
	s_branch .LBB23_1569
.LBB23_1586:
	s_mov_b64 s[4:5], -1
                                        ; implicit-def: $vgpr10
	s_branch .LBB23_1591
.LBB23_1587:
	s_mov_b64 s[4:5], -1
                                        ; implicit-def: $vgpr10
.LBB23_1588:
	s_and_b64 vcc, exec, s[4:5]
	s_cbranch_vccz .LBB23_1590
; %bb.1589:
	global_load_ubyte v5, v[8:9], off
	s_mov_b32 s4, 0x7f800000
	s_waitcnt vmcnt(0)
	v_lshlrev_b32_e32 v5, 24, v5
	v_and_b32_e32 v7, 0x7f000000, v5
	v_ffbh_u32_e32 v10, v7
	v_min_u32_e32 v10, 32, v10
	v_sub_u32_e64 v10, v10, 4 clamp
	v_lshlrev_b32_e32 v13, v10, v7
	v_lshlrev_b32_e32 v10, 23, v10
	v_lshrrev_b32_e32 v13, 4, v13
	v_add_u32_e32 v11, 0x1000000, v7
	v_sub_u32_e32 v10, v13, v10
	v_ashrrev_i32_e32 v11, 8, v11
	v_add_u32_e32 v10, 0x3c000000, v10
	v_and_or_b32 v10, v11, s4, v10
	v_cmp_ne_u32_e32 vcc, 0, v7
	v_cndmask_b32_e32 v7, 0, v10, vcc
	s_brev_b32 s4, 1
	v_and_or_b32 v5, v5, s4, v7
	v_cvt_f16_f32_e32 v10, v5
.LBB23_1590:
	s_mov_b64 s[4:5], 0
.LBB23_1591:
	s_andn2_b64 vcc, exec, s[4:5]
	s_cbranch_vccnz .LBB23_1593
; %bb.1592:
	global_load_ubyte v5, v[8:9], off
	s_movk_i32 s4, 0x7f00
	s_brev_b32 s5, 16
	s_waitcnt vmcnt(0)
	v_lshlrev_b16_e32 v7, 8, v5
	v_lshlrev_b32_e32 v5, 25, v5
	v_lshrrev_b32_e32 v10, 4, v5
	v_and_or_b32 v11, v7, s4, 0.5
	v_or_b32_e32 v10, 0x70000000, v10
	v_add_f32_e32 v11, -0.5, v11
	v_mul_f32_e32 v10, 0x7800000, v10
	v_cmp_gt_u32_e32 vcc, s5, v5
	v_bfe_i32 v7, v7, 0, 16
	v_cndmask_b32_e32 v5, v10, v11, vcc
	s_brev_b32 s4, 1
	v_and_or_b32 v5, v7, s4, v5
	v_cvt_f16_f32_e32 v10, v5
.LBB23_1593:
	s_mov_b64 s[4:5], 0
	s_mov_b64 s[6:7], -1
.LBB23_1594:
	s_andn2_b64 vcc, exec, s[4:5]
	s_mov_b64 s[4:5], 0
	s_cbranch_vccnz .LBB23_1605
; %bb.1595:
	v_cmp_gt_i16_e64 s[4:5], s19, 14
	s_and_b64 vcc, exec, s[4:5]
	s_cbranch_vccz .LBB23_1598
; %bb.1596:
	v_cmp_eq_u16_e64 s[0:1], s19, 15
	s_and_b64 vcc, exec, s[0:1]
	s_cbranch_vccz .LBB23_1601
; %bb.1597:
	global_load_ushort v5, v[8:9], off
	s_mov_b64 s[0:1], 0
	s_mov_b64 s[6:7], -1
	s_waitcnt vmcnt(0)
	v_lshlrev_b32_e32 v5, 16, v5
	v_cvt_f16_f32_e32 v10, v5
	s_branch .LBB23_1602
.LBB23_1598:
	s_mov_b64 s[10:11], -1
                                        ; implicit-def: $vgpr10
	s_branch .LBB23_1603
.LBB23_1599:
	s_or_saveexec_b64 s[6:7], s[6:7]
	v_mov_b32_e32 v10, s12
	s_xor_b64 exec, exec, s[6:7]
	s_cbranch_execz .LBB23_1580
.LBB23_1600:
	v_cmp_ne_u16_e32 vcc, 0, v5
	s_andn2_b64 s[4:5], s[4:5], exec
	s_and_b64 s[10:11], vcc, exec
	s_or_b64 s[4:5], s[4:5], s[10:11]
	v_mov_b32_e32 v10, v5
	s_or_b64 exec, exec, s[6:7]
	s_and_saveexec_b64 s[6:7], s[4:5]
	s_cbranch_execnz .LBB23_1581
	s_branch .LBB23_1582
.LBB23_1601:
	s_mov_b64 s[0:1], -1
                                        ; implicit-def: $vgpr10
.LBB23_1602:
	s_mov_b64 s[10:11], 0
.LBB23_1603:
	s_mov_b64 s[4:5], 0
	s_and_b64 vcc, exec, s[10:11]
	s_cbranch_vccz .LBB23_1605
; %bb.1604:
	v_cmp_ne_u16_e64 s[0:1], s19, 11
	s_mov_b64 s[4:5], -1
                                        ; implicit-def: $vgpr10
.LBB23_1605:
	s_and_b64 vcc, exec, s[0:1]
	s_cbranch_vccnz .LBB23_1669
; %bb.1606:
	s_andn2_b64 vcc, exec, s[4:5]
	s_cbranch_vccnz .LBB23_1608
.LBB23_1607:
	global_load_ubyte v5, v[8:9], off
	v_mov_b32_e32 v7, 0x3c00
	s_mov_b64 s[6:7], -1
	s_waitcnt vmcnt(0)
	v_cmp_ne_u16_e32 vcc, 0, v5
	v_cndmask_b32_e32 v10, 0, v7, vcc
.LBB23_1608:
	s_mov_b64 s[0:1], 0
.LBB23_1609:
	s_and_b64 vcc, exec, s[0:1]
	s_cbranch_vccz .LBB23_1658
; %bb.1610:
	v_cmp_lt_i16_e64 s[0:1], s19, 5
	s_and_b64 vcc, exec, s[0:1]
	s_cbranch_vccnz .LBB23_1615
; %bb.1611:
	v_cmp_lt_i16_e64 s[0:1], s19, 8
	s_and_b64 vcc, exec, s[0:1]
	s_cbranch_vccnz .LBB23_1616
	;; [unrolled: 4-line block ×3, first 2 shown]
; %bb.1613:
	v_cmp_gt_i16_e64 s[0:1], s19, 9
	s_and_b64 vcc, exec, s[0:1]
	s_cbranch_vccz .LBB23_1618
; %bb.1614:
	global_load_dwordx2 v[10:11], v[8:9], off
	s_mov_b64 s[0:1], 0
	s_waitcnt vmcnt(0)
	v_cvt_f32_f64_e32 v5, v[10:11]
	v_cvt_f16_f32_e32 v10, v5
	s_branch .LBB23_1619
.LBB23_1615:
	s_mov_b64 s[0:1], -1
                                        ; implicit-def: $vgpr10
	s_branch .LBB23_1637
.LBB23_1616:
	s_mov_b64 s[0:1], -1
                                        ; implicit-def: $vgpr10
	s_branch .LBB23_1625
.LBB23_1617:
	s_mov_b64 s[0:1], -1
                                        ; implicit-def: $vgpr10
	s_branch .LBB23_1622
.LBB23_1618:
	s_mov_b64 s[0:1], -1
                                        ; implicit-def: $vgpr10
.LBB23_1619:
	s_andn2_b64 vcc, exec, s[0:1]
	s_cbranch_vccnz .LBB23_1621
; %bb.1620:
	global_load_dword v5, v[8:9], off
	s_waitcnt vmcnt(0)
	v_cvt_f16_f32_e32 v10, v5
.LBB23_1621:
	s_mov_b64 s[0:1], 0
.LBB23_1622:
	s_andn2_b64 vcc, exec, s[0:1]
	s_cbranch_vccnz .LBB23_1624
; %bb.1623:
	global_load_dword v10, v[8:9], off
.LBB23_1624:
	s_mov_b64 s[0:1], 0
.LBB23_1625:
	s_andn2_b64 vcc, exec, s[0:1]
	s_cbranch_vccnz .LBB23_1636
; %bb.1626:
	v_cmp_lt_i16_e64 s[0:1], s19, 6
	s_and_b64 vcc, exec, s[0:1]
	s_cbranch_vccnz .LBB23_1629
; %bb.1627:
	v_cmp_gt_i16_e64 s[0:1], s19, 6
	s_and_b64 vcc, exec, s[0:1]
	s_cbranch_vccz .LBB23_1630
; %bb.1628:
	global_load_dwordx2 v[10:11], v[8:9], off
	s_mov_b64 s[0:1], 0
	s_waitcnt vmcnt(0)
	v_cvt_f32_f64_e32 v5, v[10:11]
	v_cvt_f16_f32_e32 v10, v5
	s_branch .LBB23_1631
.LBB23_1629:
	s_mov_b64 s[0:1], -1
                                        ; implicit-def: $vgpr10
	s_branch .LBB23_1634
.LBB23_1630:
	s_mov_b64 s[0:1], -1
                                        ; implicit-def: $vgpr10
.LBB23_1631:
	s_andn2_b64 vcc, exec, s[0:1]
	s_cbranch_vccnz .LBB23_1633
; %bb.1632:
	global_load_dword v5, v[8:9], off
	s_waitcnt vmcnt(0)
	v_cvt_f16_f32_e32 v10, v5
.LBB23_1633:
	s_mov_b64 s[0:1], 0
.LBB23_1634:
	s_andn2_b64 vcc, exec, s[0:1]
	s_cbranch_vccnz .LBB23_1636
; %bb.1635:
	global_load_ushort v10, v[8:9], off
.LBB23_1636:
	s_mov_b64 s[0:1], 0
.LBB23_1637:
	s_andn2_b64 vcc, exec, s[0:1]
	s_cbranch_vccnz .LBB23_1657
; %bb.1638:
	v_cmp_lt_i16_e64 s[0:1], s19, 2
	s_and_b64 vcc, exec, s[0:1]
	s_cbranch_vccnz .LBB23_1642
; %bb.1639:
	v_cmp_lt_i16_e64 s[0:1], s19, 3
	s_and_b64 vcc, exec, s[0:1]
	s_cbranch_vccnz .LBB23_1643
; %bb.1640:
	v_cmp_gt_i16_e64 s[0:1], s19, 3
	s_and_b64 vcc, exec, s[0:1]
	s_cbranch_vccz .LBB23_1644
; %bb.1641:
	global_load_dwordx2 v[10:11], v[8:9], off
	s_mov_b64 s[0:1], 0
	s_waitcnt vmcnt(0)
	v_xor_b32_e32 v7, v10, v11
	v_ffbh_i32_e32 v5, v11
	v_ashrrev_i32_e32 v7, 31, v7
	v_add_u32_e32 v5, -1, v5
	v_add_u32_e32 v7, 32, v7
	v_min_u32_e32 v5, v5, v7
	v_lshlrev_b64 v[10:11], v5, v[10:11]
	v_min_u32_e32 v7, 1, v10
	v_or_b32_e32 v7, v11, v7
	v_cvt_f32_i32_e32 v7, v7
	v_sub_u32_e32 v5, 32, v5
	v_ldexp_f32 v5, v7, v5
	v_cvt_f16_f32_e32 v10, v5
	s_branch .LBB23_1645
.LBB23_1642:
	s_mov_b64 s[0:1], -1
                                        ; implicit-def: $vgpr10
	s_branch .LBB23_1651
.LBB23_1643:
	s_mov_b64 s[0:1], -1
                                        ; implicit-def: $vgpr10
	s_branch .LBB23_1648
.LBB23_1644:
	s_mov_b64 s[0:1], -1
                                        ; implicit-def: $vgpr10
.LBB23_1645:
	s_andn2_b64 vcc, exec, s[0:1]
	s_cbranch_vccnz .LBB23_1647
; %bb.1646:
	global_load_dword v5, v[8:9], off
	s_waitcnt vmcnt(0)
	v_cvt_f32_i32_e32 v5, v5
	v_cvt_f16_f32_e32 v10, v5
.LBB23_1647:
	s_mov_b64 s[0:1], 0
.LBB23_1648:
	s_andn2_b64 vcc, exec, s[0:1]
	s_cbranch_vccnz .LBB23_1650
; %bb.1649:
	global_load_ushort v5, v[8:9], off
	s_waitcnt vmcnt(0)
	v_cvt_f16_i16_e32 v10, v5
.LBB23_1650:
	s_mov_b64 s[0:1], 0
.LBB23_1651:
	s_andn2_b64 vcc, exec, s[0:1]
	s_cbranch_vccnz .LBB23_1657
; %bb.1652:
	v_cmp_gt_i16_e64 s[0:1], s19, 0
	s_and_b64 vcc, exec, s[0:1]
	s_cbranch_vccz .LBB23_1654
; %bb.1653:
	global_load_sbyte v5, v[8:9], off
	s_mov_b64 s[0:1], 0
	s_waitcnt vmcnt(0)
	v_cvt_f16_i16_e32 v10, v5
	s_branch .LBB23_1655
.LBB23_1654:
	s_mov_b64 s[0:1], -1
                                        ; implicit-def: $vgpr10
.LBB23_1655:
	s_andn2_b64 vcc, exec, s[0:1]
	s_cbranch_vccnz .LBB23_1657
; %bb.1656:
	global_load_ubyte v5, v[8:9], off
	s_waitcnt vmcnt(0)
	v_cvt_f16_u16_e32 v10, v5
.LBB23_1657:
	s_mov_b64 s[6:7], -1
.LBB23_1658:
	s_andn2_b64 vcc, exec, s[6:7]
	s_cbranch_vccnz .LBB23_2112
; %bb.1659:
	s_load_dword s15, s[34:35], 0x158
	v_mov_b32_e32 v5, s9
	s_lshr_b32 s14, s18, 16
	s_waitcnt vmcnt(0) lgkmcnt(0)
	v_cmp_nge_f16_e64 s[0:1], v1, -s15
	v_cmp_nge_f16_e32 vcc, s15, v1
	s_or_b64 vcc, s[0:1], vcc
	v_cndmask_b32_e32 v1, 0, v1, vcc
	v_add_co_u32_e32 v6, vcc, s8, v6
	v_addc_co_u32_e32 v7, vcc, 0, v5, vcc
	v_mov_b32_e32 v5, 11
	v_cmp_lt_i16_sdwa s[0:1], s14, v5 src0_sel:BYTE_0 src1_sel:DWORD
	s_and_b64 vcc, exec, s[0:1]
	s_cbranch_vccnz .LBB23_1666
; %bb.1660:
	v_mov_b32_e32 v5, 25
	v_cmp_gt_i16_sdwa s[0:1], s14, v5 src0_sel:BYTE_0 src1_sel:DWORD
	s_mov_b64 s[10:11], -1
	s_mov_b64 s[4:5], 0
	s_and_b64 vcc, exec, s[0:1]
	s_mov_b64 s[6:7], 0
	s_mov_b64 s[0:1], 0
	s_cbranch_vccz .LBB23_1698
; %bb.1661:
	v_mov_b32_e32 v5, 28
	v_cmp_gt_i16_sdwa s[0:1], s14, v5 src0_sel:BYTE_0 src1_sel:DWORD
	s_and_b64 vcc, exec, s[0:1]
	s_cbranch_vccz .LBB23_1667
; %bb.1662:
	v_mov_b32_e32 v5, 43
	v_cmp_gt_i16_sdwa s[0:1], s14, v5 src0_sel:BYTE_0 src1_sel:DWORD
	s_and_b64 vcc, exec, s[0:1]
	s_cbranch_vccz .LBB23_1668
; %bb.1663:
	v_mov_b32_e32 v5, 45
	v_cmp_gt_i16_sdwa s[0:1], s14, v5 src0_sel:BYTE_0 src1_sel:DWORD
	s_and_b64 vcc, exec, s[0:1]
	s_cbranch_vccz .LBB23_1670
; %bb.1664:
	v_mov_b32_e32 v5, 46
	v_cmp_eq_u16_sdwa s[6:7], s14, v5 src0_sel:BYTE_0 src1_sel:DWORD
	s_mov_b64 s[0:1], -1
	s_mov_b64 s[10:11], 0
	s_and_b64 vcc, exec, s[6:7]
	s_mov_b64 s[6:7], 0
	s_cbranch_vccz .LBB23_1671
; %bb.1665:
	v_cvt_f32_f16_e32 v5, v1
	s_movk_i32 s0, 0x7fff
	v_mov_b32_e32 v8, 0x7fc0
	v_cmp_o_f16_e32 vcc, v1, v1
	v_bfe_u32 v9, v5, 16, 1
	v_add3_u32 v5, v5, v9, s0
	v_lshrrev_b32_e32 v5, 16, v5
	v_cndmask_b32_e32 v5, v8, v5, vcc
	global_store_dword v[6:7], v5, off
	s_mov_b64 s[0:1], 0
	s_mov_b64 s[6:7], -1
	s_branch .LBB23_1671
.LBB23_1666:
	s_mov_b64 s[0:1], -1
	s_mov_b64 s[6:7], 0
	s_branch .LBB23_1742
.LBB23_1667:
	s_mov_b64 s[0:1], 0
	s_branch .LBB23_1681
.LBB23_1668:
	s_mov_b64 s[0:1], 0
	s_branch .LBB23_1677
.LBB23_1669:
	s_trap 2
	s_or_b64 s[2:3], s[2:3], exec
                                        ; implicit-def: $vgpr10
	s_cbranch_execz .LBB23_1607
	s_branch .LBB23_1608
.LBB23_1670:
	s_mov_b64 s[0:1], 0
.LBB23_1671:
	s_and_b64 vcc, exec, s[10:11]
	s_cbranch_vccz .LBB23_1676
; %bb.1672:
	v_mov_b32_e32 v5, 44
	v_cmp_eq_u16_sdwa s[10:11], s14, v5 src0_sel:BYTE_0 src1_sel:DWORD
	s_mov_b64 s[0:1], -1
	s_and_b64 vcc, exec, s[10:11]
	s_cbranch_vccz .LBB23_1676
; %bb.1673:
	v_cvt_f32_f16_e32 v5, v1
	s_movk_i32 s0, 0xff
	v_mov_b32_e32 v9, 0xff
	v_bfe_u32 v8, v5, 23, 8
	v_cmp_ne_u32_e32 vcc, s0, v8
	s_and_saveexec_b64 s[6:7], vcc
; %bb.1674:
	s_mov_b32 s0, 0x3fffff
	v_lshrrev_b32_e32 v9, 23, v5
	v_and_b32_e32 v11, 0x400000, v5
	v_and_or_b32 v5, v5, s0, v8
	v_cmp_ne_u32_e32 vcc, 0, v11
	v_cmp_ne_u32_e64 s[0:1], 0, v5
	s_and_b64 s[0:1], vcc, s[0:1]
	v_cndmask_b32_e64 v5, 0, 1, s[0:1]
	v_add_u32_e32 v9, v9, v5
; %bb.1675:
	s_or_b64 exec, exec, s[6:7]
	s_mov_b64 s[0:1], 0
	s_mov_b64 s[6:7], -1
	global_store_byte v[6:7], v9, off
.LBB23_1676:
	s_mov_b64 s[10:11], 0
.LBB23_1677:
	s_and_b64 vcc, exec, s[10:11]
	s_cbranch_vccz .LBB23_1680
; %bb.1678:
	v_mov_b32_e32 v5, 29
	v_cmp_eq_u16_sdwa s[10:11], s14, v5 src0_sel:BYTE_0 src1_sel:DWORD
	s_mov_b64 s[0:1], -1
	s_and_b64 vcc, exec, s[10:11]
	s_cbranch_vccz .LBB23_1680
; %bb.1679:
	v_cvt_f32_f16_e32 v5, v1
	v_mov_b32_e32 v9, 0
	s_mov_b64 s[0:1], 0
	s_mov_b64 s[6:7], -1
	v_cvt_u32_f32_e32 v8, v5
	s_mov_b64 s[10:11], 0
	global_store_dwordx2 v[6:7], v[8:9], off
	s_branch .LBB23_1681
.LBB23_1680:
	s_mov_b64 s[10:11], 0
.LBB23_1681:
	s_and_b64 vcc, exec, s[10:11]
	s_cbranch_vccz .LBB23_1697
; %bb.1682:
	v_mov_b32_e32 v5, 27
	v_cmp_lt_i16_sdwa s[10:11], s14, v5 src0_sel:BYTE_0 src1_sel:DWORD
	s_mov_b64 s[6:7], -1
	s_and_b64 vcc, exec, s[10:11]
	s_cbranch_vccnz .LBB23_1688
; %bb.1683:
	v_cmp_gt_i16_sdwa s[10:11], s14, v5 src0_sel:BYTE_0 src1_sel:DWORD
	s_and_b64 vcc, exec, s[10:11]
	s_cbranch_vccz .LBB23_1685
; %bb.1684:
	v_cvt_f32_f16_e32 v5, v1
	s_mov_b64 s[6:7], 0
	v_cvt_u32_f32_e32 v5, v5
	global_store_dword v[6:7], v5, off
.LBB23_1685:
	s_andn2_b64 vcc, exec, s[6:7]
	s_cbranch_vccnz .LBB23_1687
; %bb.1686:
	v_cvt_u16_f16_e32 v5, v1
	global_store_short v[6:7], v5, off
.LBB23_1687:
	s_mov_b64 s[6:7], 0
.LBB23_1688:
	s_andn2_b64 vcc, exec, s[6:7]
	s_cbranch_vccnz .LBB23_1696
; %bb.1689:
	v_cvt_f32_f16_e32 v5, v1
	s_mov_b32 s6, 0x43800000
	v_mov_b32_e32 v9, 0x80
	v_and_b32_e32 v8, 0x7fffffff, v5
	v_cmp_gt_u32_e32 vcc, s6, v8
	s_and_saveexec_b64 s[6:7], vcc
	s_cbranch_execz .LBB23_1695
; %bb.1690:
	s_mov_b32 s10, 0x3bffffff
	v_cmp_lt_u32_e32 vcc, s10, v8
	s_mov_b64 s[10:11], 0
                                        ; implicit-def: $vgpr8
	s_and_saveexec_b64 s[12:13], vcc
	s_xor_b64 s[12:13], exec, s[12:13]
	s_cbranch_execz .LBB23_1791
; %bb.1691:
	v_bfe_u32 v8, v5, 20, 1
	s_mov_b32 s16, 0x487ffff
	v_add3_u32 v8, v5, v8, s16
	s_mov_b64 s[10:11], exec
	v_lshrrev_b32_e32 v8, 20, v8
	s_or_saveexec_b64 s[12:13], s[12:13]
                                        ; implicit-def: $sgpr16
	s_xor_b64 exec, exec, s[12:13]
	s_cbranch_execnz .LBB23_1792
.LBB23_1692:
	s_or_b64 exec, exec, s[12:13]
	v_mov_b32_e32 v9, s16
	s_and_saveexec_b64 s[12:13], s[10:11]
.LBB23_1693:
	v_lshrrev_b32_e32 v5, 24, v5
	s_movk_i32 s10, 0x80
	v_and_or_b32 v9, v5, s10, v8
.LBB23_1694:
	s_or_b64 exec, exec, s[12:13]
.LBB23_1695:
	s_or_b64 exec, exec, s[6:7]
	global_store_byte v[6:7], v9, off
.LBB23_1696:
	s_mov_b64 s[6:7], -1
.LBB23_1697:
	s_mov_b64 s[10:11], 0
.LBB23_1698:
	s_and_b64 vcc, exec, s[10:11]
	s_cbranch_vccz .LBB23_1738
; %bb.1699:
	v_mov_b32_e32 v5, 22
	v_cmp_gt_i16_sdwa s[10:11], s14, v5 src0_sel:BYTE_0 src1_sel:DWORD
	s_mov_b64 s[4:5], -1
	s_and_b64 vcc, exec, s[10:11]
	s_cbranch_vccz .LBB23_1731
; %bb.1700:
	v_mov_b32_e32 v5, 24
	v_cmp_lt_i16_sdwa s[6:7], s14, v5 src0_sel:BYTE_0 src1_sel:DWORD
	s_and_b64 vcc, exec, s[6:7]
	s_cbranch_vccnz .LBB23_1720
; %bb.1701:
	v_cmp_gt_i16_sdwa s[6:7], s14, v5 src0_sel:BYTE_0 src1_sel:DWORD
	s_and_b64 vcc, exec, s[6:7]
	s_cbranch_vccz .LBB23_1709
; %bb.1702:
	v_cvt_f32_f16_e32 v5, v1
	s_mov_b32 s4, 0x47800000
	v_mov_b32_e32 v9, 0x80
	v_and_b32_e32 v8, 0x7fffffff, v5
	v_cmp_gt_u32_e32 vcc, s4, v8
	s_and_saveexec_b64 s[4:5], vcc
	s_cbranch_execz .LBB23_1708
; %bb.1703:
	s_mov_b32 s6, 0x37ffffff
	v_cmp_lt_u32_e32 vcc, s6, v8
	s_mov_b64 s[6:7], 0
                                        ; implicit-def: $vgpr8
	s_and_saveexec_b64 s[10:11], vcc
	s_xor_b64 s[10:11], exec, s[10:11]
	s_cbranch_execz .LBB23_1795
; %bb.1704:
	v_bfe_u32 v8, v5, 21, 1
	s_mov_b32 s12, 0x88fffff
	v_add3_u32 v8, v5, v8, s12
	s_mov_b64 s[6:7], exec
	v_lshrrev_b32_e32 v8, 21, v8
	s_or_saveexec_b64 s[10:11], s[10:11]
                                        ; implicit-def: $sgpr12
	s_xor_b64 exec, exec, s[10:11]
	s_cbranch_execnz .LBB23_1796
.LBB23_1705:
	s_or_b64 exec, exec, s[10:11]
	v_mov_b32_e32 v9, s12
	s_and_saveexec_b64 s[10:11], s[6:7]
.LBB23_1706:
	v_lshrrev_b32_e32 v5, 24, v5
	s_movk_i32 s6, 0x80
	v_and_or_b32 v9, v5, s6, v8
.LBB23_1707:
	s_or_b64 exec, exec, s[10:11]
.LBB23_1708:
	s_or_b64 exec, exec, s[4:5]
	s_mov_b64 s[4:5], 0
	global_store_byte v[6:7], v9, off
.LBB23_1709:
	s_and_b64 vcc, exec, s[4:5]
	s_cbranch_vccz .LBB23_1719
; %bb.1710:
	v_cvt_f32_f16_e32 v5, v1
	s_mov_b32 s4, 0x43f00000
                                        ; implicit-def: $vgpr8
	v_and_b32_e32 v9, 0x7fffffff, v5
	v_cmp_gt_u32_e32 vcc, s4, v9
	s_and_saveexec_b64 s[4:5], vcc
	s_xor_b64 s[4:5], exec, s[4:5]
	s_cbranch_execz .LBB23_1716
; %bb.1711:
	s_mov_b32 s6, 0x3c7fffff
	v_cmp_lt_u32_e32 vcc, s6, v9
                                        ; implicit-def: $vgpr8
	s_and_saveexec_b64 s[6:7], vcc
	s_xor_b64 s[6:7], exec, s[6:7]
; %bb.1712:
	v_bfe_u32 v8, v5, 20, 1
	s_mov_b32 s10, 0x407ffff
	v_add3_u32 v8, v5, v8, s10
	v_lshrrev_b32_e32 v9, 20, v8
	v_and_b32_e32 v8, 0xff00000, v8
	s_mov_b32 s10, 0x7f00000
	v_mov_b32_e32 v11, 0x7e
	v_cmp_ne_u32_e32 vcc, s10, v8
	v_cndmask_b32_e32 v8, v11, v9, vcc
; %bb.1713:
	s_andn2_saveexec_b64 s[6:7], s[6:7]
; %bb.1714:
	s_mov_b32 s10, 0x46800000
	v_add_f32_e64 v8, |v5|, s10
; %bb.1715:
	s_or_b64 exec, exec, s[6:7]
                                        ; implicit-def: $vgpr9
.LBB23_1716:
	s_andn2_saveexec_b64 s[4:5], s[4:5]
; %bb.1717:
	s_mov_b32 s6, 0x7f800000
	v_mov_b32_e32 v8, 0x7e
	v_mov_b32_e32 v11, 0x7f
	v_cmp_lt_u32_e32 vcc, s6, v9
	v_cndmask_b32_e32 v8, v8, v11, vcc
; %bb.1718:
	s_or_b64 exec, exec, s[4:5]
	v_lshrrev_b32_e32 v5, 24, v5
	s_movk_i32 s4, 0x80
	v_and_or_b32 v5, v5, s4, v8
	global_store_byte v[6:7], v5, off
.LBB23_1719:
	s_mov_b64 s[4:5], 0
.LBB23_1720:
	s_andn2_b64 vcc, exec, s[4:5]
	s_cbranch_vccnz .LBB23_1730
; %bb.1721:
	v_cvt_f32_f16_e32 v5, v1
	s_mov_b32 s4, 0x47800000
                                        ; implicit-def: $vgpr8
	v_and_b32_e32 v9, 0x7fffffff, v5
	v_cmp_gt_u32_e32 vcc, s4, v9
	s_and_saveexec_b64 s[4:5], vcc
	s_xor_b64 s[4:5], exec, s[4:5]
	s_cbranch_execz .LBB23_1727
; %bb.1722:
	s_mov_b32 s6, 0x387fffff
	v_cmp_lt_u32_e32 vcc, s6, v9
                                        ; implicit-def: $vgpr8
	s_and_saveexec_b64 s[6:7], vcc
	s_xor_b64 s[6:7], exec, s[6:7]
; %bb.1723:
	v_bfe_u32 v8, v5, 21, 1
	s_mov_b32 s10, 0x80fffff
	v_add3_u32 v8, v5, v8, s10
	v_lshrrev_b32_e32 v8, 21, v8
; %bb.1724:
	s_andn2_saveexec_b64 s[6:7], s[6:7]
; %bb.1725:
	s_mov_b32 s10, 0x43000000
	v_add_f32_e64 v8, |v5|, s10
; %bb.1726:
	s_or_b64 exec, exec, s[6:7]
                                        ; implicit-def: $vgpr9
.LBB23_1727:
	s_andn2_saveexec_b64 s[4:5], s[4:5]
; %bb.1728:
	s_mov_b32 s6, 0x7f800000
	v_mov_b32_e32 v8, 0x7c
	v_mov_b32_e32 v11, 0x7f
	v_cmp_lt_u32_e32 vcc, s6, v9
	v_cndmask_b32_e32 v8, v8, v11, vcc
; %bb.1729:
	s_or_b64 exec, exec, s[4:5]
	v_lshrrev_b32_e32 v5, 24, v5
	s_movk_i32 s4, 0x80
	v_and_or_b32 v5, v5, s4, v8
	global_store_byte v[6:7], v5, off
.LBB23_1730:
	s_mov_b64 s[4:5], 0
	s_mov_b64 s[6:7], -1
.LBB23_1731:
	s_andn2_b64 vcc, exec, s[4:5]
	s_mov_b64 s[4:5], 0
	s_cbranch_vccnz .LBB23_1738
; %bb.1732:
	v_mov_b32_e32 v5, 14
	v_cmp_gt_i16_sdwa s[4:5], s14, v5 src0_sel:BYTE_0 src1_sel:DWORD
	s_mov_b64 s[10:11], -1
	s_and_b64 vcc, exec, s[4:5]
	s_cbranch_vccz .LBB23_1736
; %bb.1733:
	v_mov_b32_e32 v5, 15
	v_cmp_eq_u16_sdwa s[4:5], s14, v5 src0_sel:BYTE_0 src1_sel:DWORD
	s_mov_b64 s[0:1], -1
	s_and_b64 vcc, exec, s[4:5]
	s_cbranch_vccz .LBB23_1735
; %bb.1734:
	v_cvt_f32_f16_e32 v5, v1
	s_movk_i32 s0, 0x7fff
	v_mov_b32_e32 v8, 0x7fc0
	v_cmp_o_f16_e32 vcc, v1, v1
	v_bfe_u32 v9, v5, 16, 1
	v_add3_u32 v5, v5, v9, s0
	v_lshrrev_b32_e32 v5, 16, v5
	v_cndmask_b32_e32 v5, v8, v5, vcc
	global_store_short v[6:7], v5, off
	s_mov_b64 s[0:1], 0
	s_mov_b64 s[6:7], -1
.LBB23_1735:
	s_mov_b64 s[10:11], 0
.LBB23_1736:
	s_mov_b64 s[4:5], 0
	s_and_b64 vcc, exec, s[10:11]
	s_cbranch_vccz .LBB23_1738
; %bb.1737:
	v_mov_b32_e32 v5, 11
	v_cmp_ne_u16_sdwa s[0:1], s14, v5 src0_sel:BYTE_0 src1_sel:DWORD
	s_mov_b64 s[4:5], -1
.LBB23_1738:
	s_and_b64 vcc, exec, s[0:1]
	s_cbranch_vccnz .LBB23_1794
; %bb.1739:
	s_andn2_b64 vcc, exec, s[4:5]
	s_cbranch_vccnz .LBB23_1741
.LBB23_1740:
	v_and_b32_e32 v5, 0x7fff, v1
	v_cmp_ne_u16_e32 vcc, 0, v5
	v_cndmask_b32_e64 v5, 0, 1, vcc
	s_mov_b64 s[6:7], -1
	global_store_byte v[6:7], v5, off
.LBB23_1741:
	s_mov_b64 s[0:1], 0
.LBB23_1742:
	s_and_b64 vcc, exec, s[0:1]
	s_cbranch_vccz .LBB23_1781
; %bb.1743:
	v_mov_b32_e32 v5, 5
	v_cmp_lt_i16_sdwa s[4:5], s14, v5 src0_sel:BYTE_0 src1_sel:DWORD
	s_mov_b64 s[0:1], -1
	s_and_b64 vcc, exec, s[4:5]
	s_cbranch_vccnz .LBB23_1764
; %bb.1744:
	v_mov_b32_e32 v5, 8
	v_cmp_lt_i16_sdwa s[4:5], s14, v5 src0_sel:BYTE_0 src1_sel:DWORD
	s_and_b64 vcc, exec, s[4:5]
	s_cbranch_vccnz .LBB23_1754
; %bb.1745:
	v_mov_b32_e32 v5, 9
	v_cmp_lt_i16_sdwa s[4:5], s14, v5 src0_sel:BYTE_0 src1_sel:DWORD
	s_and_b64 vcc, exec, s[4:5]
	s_cbranch_vccnz .LBB23_1751
; %bb.1746:
	v_cmp_gt_i16_sdwa s[4:5], s14, v5 src0_sel:BYTE_0 src1_sel:DWORD
	s_and_b64 vcc, exec, s[4:5]
	s_cbranch_vccz .LBB23_1748
; %bb.1747:
	v_cvt_f32_f16_e32 v5, v1
	v_mov_b32_e32 v16, 0
	v_mov_b32_e32 v17, v16
	s_mov_b64 s[0:1], 0
	v_cvt_f64_f32_e32 v[14:15], v5
	global_store_dwordx4 v[6:7], v[14:17], off
.LBB23_1748:
	s_andn2_b64 vcc, exec, s[0:1]
	s_cbranch_vccnz .LBB23_1750
; %bb.1749:
	v_cvt_f32_f16_e32 v8, v1
	v_mov_b32_e32 v9, 0
	global_store_dwordx2 v[6:7], v[8:9], off
.LBB23_1750:
	s_mov_b64 s[0:1], 0
.LBB23_1751:
	s_andn2_b64 vcc, exec, s[0:1]
	s_cbranch_vccnz .LBB23_1753
; %bb.1752:
	v_and_b32_e32 v5, 0xffff, v1
	global_store_dword v[6:7], v5, off
.LBB23_1753:
	s_mov_b64 s[0:1], 0
.LBB23_1754:
	s_andn2_b64 vcc, exec, s[0:1]
	s_cbranch_vccnz .LBB23_1763
; %bb.1755:
	v_mov_b32_e32 v5, 6
	v_cmp_lt_i16_sdwa s[4:5], s14, v5 src0_sel:BYTE_0 src1_sel:DWORD
	s_mov_b64 s[0:1], -1
	s_and_b64 vcc, exec, s[4:5]
	s_cbranch_vccnz .LBB23_1761
; %bb.1756:
	v_cmp_gt_i16_sdwa s[4:5], s14, v5 src0_sel:BYTE_0 src1_sel:DWORD
	s_and_b64 vcc, exec, s[4:5]
	s_cbranch_vccz .LBB23_1758
; %bb.1757:
	v_cvt_f32_f16_e32 v5, v1
	s_mov_b64 s[0:1], 0
	v_cvt_f64_f32_e32 v[8:9], v5
	global_store_dwordx2 v[6:7], v[8:9], off
.LBB23_1758:
	s_andn2_b64 vcc, exec, s[0:1]
	s_cbranch_vccnz .LBB23_1760
; %bb.1759:
	v_cvt_f32_f16_e32 v5, v1
	global_store_dword v[6:7], v5, off
.LBB23_1760:
	s_mov_b64 s[0:1], 0
.LBB23_1761:
	s_andn2_b64 vcc, exec, s[0:1]
	s_cbranch_vccnz .LBB23_1763
; %bb.1762:
	global_store_short v[6:7], v1, off
.LBB23_1763:
	s_mov_b64 s[0:1], 0
.LBB23_1764:
	s_andn2_b64 vcc, exec, s[0:1]
	s_cbranch_vccnz .LBB23_1780
; %bb.1765:
	v_mov_b32_e32 v5, 2
	v_cmp_lt_i16_sdwa s[4:5], s14, v5 src0_sel:BYTE_0 src1_sel:DWORD
	s_mov_b64 s[0:1], -1
	s_and_b64 vcc, exec, s[4:5]
	s_cbranch_vccnz .LBB23_1775
; %bb.1766:
	v_mov_b32_e32 v5, 3
	v_cmp_lt_i16_sdwa s[4:5], s14, v5 src0_sel:BYTE_0 src1_sel:DWORD
	s_and_b64 vcc, exec, s[4:5]
	s_cbranch_vccnz .LBB23_1772
; %bb.1767:
	v_cmp_gt_i16_sdwa s[4:5], s14, v5 src0_sel:BYTE_0 src1_sel:DWORD
	s_and_b64 vcc, exec, s[4:5]
	s_cbranch_vccz .LBB23_1769
; %bb.1768:
	v_cvt_f32_f16_e32 v5, v1
	s_mov_b64 s[0:1], 0
	v_cvt_i32_f32_e32 v8, v5
	v_ashrrev_i32_e32 v9, 31, v8
	global_store_dwordx2 v[6:7], v[8:9], off
.LBB23_1769:
	s_andn2_b64 vcc, exec, s[0:1]
	s_cbranch_vccnz .LBB23_1771
; %bb.1770:
	v_cvt_f32_f16_e32 v5, v1
	v_cvt_i32_f32_e32 v5, v5
	global_store_dword v[6:7], v5, off
.LBB23_1771:
	s_mov_b64 s[0:1], 0
.LBB23_1772:
	s_andn2_b64 vcc, exec, s[0:1]
	s_cbranch_vccnz .LBB23_1774
; %bb.1773:
	v_cvt_i16_f16_e32 v5, v1
	global_store_short v[6:7], v5, off
.LBB23_1774:
	s_mov_b64 s[0:1], 0
.LBB23_1775:
	s_andn2_b64 vcc, exec, s[0:1]
	s_cbranch_vccnz .LBB23_1780
; %bb.1776:
	v_mov_b32_e32 v5, 0
	v_cmp_gt_i16_sdwa s[4:5], s14, v5 src0_sel:BYTE_0 src1_sel:DWORD
	s_mov_b64 s[0:1], -1
	s_and_b64 vcc, exec, s[4:5]
	s_cbranch_vccz .LBB23_1778
; %bb.1777:
	v_cvt_i16_f16_e32 v5, v1
	global_store_byte v[6:7], v5, off
	s_mov_b64 s[0:1], 0
.LBB23_1778:
	s_andn2_b64 vcc, exec, s[0:1]
	s_cbranch_vccnz .LBB23_1780
; %bb.1779:
	v_cvt_f32_f16_e32 v1, v1
	v_cvt_i32_f32_e32 v1, v1
	global_store_byte v[6:7], v1, off
.LBB23_1780:
	s_mov_b64 s[6:7], -1
.LBB23_1781:
	s_andn2_b64 vcc, exec, s[6:7]
	s_cbranch_vccnz .LBB23_2112
; %bb.1782:
	v_cmp_nge_f16_e64 s[0:1], v3, -s15
	v_cmp_nge_f16_e32 vcc, s15, v3
	s_or_b64 vcc, s[0:1], vcc
	v_cndmask_b32_e32 v1, 0, v3, vcc
	v_mov_b32_e32 v3, s9
	v_add_co_u32_e32 v4, vcc, s8, v4
	v_addc_co_u32_e32 v5, vcc, 0, v3, vcc
	v_mov_b32_e32 v3, 11
	v_cmp_lt_i16_sdwa s[0:1], s14, v3 src0_sel:BYTE_0 src1_sel:DWORD
	s_and_b64 vcc, exec, s[0:1]
	s_cbranch_vccnz .LBB23_1789
; %bb.1783:
	v_mov_b32_e32 v3, 25
	v_cmp_gt_i16_sdwa s[0:1], s14, v3 src0_sel:BYTE_0 src1_sel:DWORD
	s_mov_b64 s[10:11], -1
	s_mov_b64 s[4:5], 0
	s_and_b64 vcc, exec, s[0:1]
	s_mov_b64 s[6:7], 0
	s_mov_b64 s[0:1], 0
	s_cbranch_vccz .LBB23_1825
; %bb.1784:
	v_mov_b32_e32 v3, 28
	v_cmp_gt_i16_sdwa s[0:1], s14, v3 src0_sel:BYTE_0 src1_sel:DWORD
	s_and_b64 vcc, exec, s[0:1]
	s_cbranch_vccz .LBB23_1790
; %bb.1785:
	v_mov_b32_e32 v3, 43
	v_cmp_gt_i16_sdwa s[0:1], s14, v3 src0_sel:BYTE_0 src1_sel:DWORD
	s_and_b64 vcc, exec, s[0:1]
	;; [unrolled: 5-line block ×3, first 2 shown]
	s_cbranch_vccz .LBB23_1797
; %bb.1787:
	v_mov_b32_e32 v3, 46
	v_cmp_eq_u16_sdwa s[6:7], s14, v3 src0_sel:BYTE_0 src1_sel:DWORD
	s_mov_b64 s[0:1], -1
	s_mov_b64 s[10:11], 0
	s_and_b64 vcc, exec, s[6:7]
	s_mov_b64 s[6:7], 0
	s_cbranch_vccz .LBB23_1798
; %bb.1788:
	v_cvt_f32_f16_e32 v3, v1
	s_movk_i32 s0, 0x7fff
	v_mov_b32_e32 v6, 0x7fc0
	v_cmp_o_f16_e32 vcc, v1, v1
	v_bfe_u32 v7, v3, 16, 1
	v_add3_u32 v3, v3, v7, s0
	v_lshrrev_b32_e32 v3, 16, v3
	v_cndmask_b32_e32 v3, v6, v3, vcc
	global_store_dword v[4:5], v3, off
	s_mov_b64 s[0:1], 0
	s_mov_b64 s[6:7], -1
	s_branch .LBB23_1798
.LBB23_1789:
	s_mov_b64 s[0:1], -1
	s_mov_b64 s[6:7], 0
	s_branch .LBB23_1869
.LBB23_1790:
	s_mov_b64 s[0:1], 0
	s_branch .LBB23_1808
.LBB23_1791:
	s_or_saveexec_b64 s[12:13], s[12:13]
                                        ; implicit-def: $sgpr16
	s_xor_b64 exec, exec, s[12:13]
	s_cbranch_execz .LBB23_1692
.LBB23_1792:
	s_mov_b32 s16, 0x46000000
	v_add_f32_e64 v8, |v5|, s16
	v_and_b32_e32 v8, 0xff, v8
	v_cmp_ne_u32_e32 vcc, 0, v8
	s_andn2_b64 s[10:11], s[10:11], exec
	s_and_b64 s[18:19], vcc, exec
	s_mov_b32 s16, 0
	s_or_b64 s[10:11], s[10:11], s[18:19]
	s_or_b64 exec, exec, s[12:13]
	v_mov_b32_e32 v9, s16
	s_and_saveexec_b64 s[12:13], s[10:11]
	s_cbranch_execnz .LBB23_1693
	s_branch .LBB23_1694
.LBB23_1793:
	s_mov_b64 s[0:1], 0
	s_branch .LBB23_1804
.LBB23_1794:
	s_trap 2
	s_or_b64 s[2:3], s[2:3], exec
	s_cbranch_execz .LBB23_1740
	s_branch .LBB23_1741
.LBB23_1795:
	s_or_saveexec_b64 s[10:11], s[10:11]
                                        ; implicit-def: $sgpr12
	s_xor_b64 exec, exec, s[10:11]
	s_cbranch_execz .LBB23_1705
.LBB23_1796:
	s_mov_b32 s12, 0x42800000
	v_add_f32_e64 v8, |v5|, s12
	v_and_b32_e32 v8, 0xff, v8
	v_cmp_ne_u32_e32 vcc, 0, v8
	s_andn2_b64 s[6:7], s[6:7], exec
	s_and_b64 s[16:17], vcc, exec
	s_mov_b32 s12, 0
	s_or_b64 s[6:7], s[6:7], s[16:17]
	s_or_b64 exec, exec, s[10:11]
	v_mov_b32_e32 v9, s12
	s_and_saveexec_b64 s[10:11], s[6:7]
	s_cbranch_execnz .LBB23_1706
	s_branch .LBB23_1707
.LBB23_1797:
	s_mov_b64 s[0:1], 0
.LBB23_1798:
	s_and_b64 vcc, exec, s[10:11]
	s_cbranch_vccz .LBB23_1803
; %bb.1799:
	v_mov_b32_e32 v3, 44
	v_cmp_eq_u16_sdwa s[10:11], s14, v3 src0_sel:BYTE_0 src1_sel:DWORD
	s_mov_b64 s[0:1], -1
	s_and_b64 vcc, exec, s[10:11]
	s_cbranch_vccz .LBB23_1803
; %bb.1800:
	v_cvt_f32_f16_e32 v3, v1
	s_movk_i32 s0, 0xff
	v_mov_b32_e32 v7, 0xff
	v_bfe_u32 v6, v3, 23, 8
	v_cmp_ne_u32_e32 vcc, s0, v6
	s_and_saveexec_b64 s[6:7], vcc
; %bb.1801:
	s_mov_b32 s0, 0x3fffff
	v_lshrrev_b32_e32 v7, 23, v3
	v_and_b32_e32 v8, 0x400000, v3
	v_and_or_b32 v3, v3, s0, v6
	v_cmp_ne_u32_e32 vcc, 0, v8
	v_cmp_ne_u32_e64 s[0:1], 0, v3
	s_and_b64 s[0:1], vcc, s[0:1]
	v_cndmask_b32_e64 v3, 0, 1, s[0:1]
	v_add_u32_e32 v7, v7, v3
; %bb.1802:
	s_or_b64 exec, exec, s[6:7]
	s_mov_b64 s[0:1], 0
	s_mov_b64 s[6:7], -1
	global_store_byte v[4:5], v7, off
.LBB23_1803:
	s_mov_b64 s[10:11], 0
.LBB23_1804:
	s_and_b64 vcc, exec, s[10:11]
	s_cbranch_vccz .LBB23_1807
; %bb.1805:
	v_mov_b32_e32 v3, 29
	v_cmp_eq_u16_sdwa s[10:11], s14, v3 src0_sel:BYTE_0 src1_sel:DWORD
	s_mov_b64 s[0:1], -1
	s_and_b64 vcc, exec, s[10:11]
	s_cbranch_vccz .LBB23_1807
; %bb.1806:
	v_cvt_f32_f16_e32 v3, v1
	v_mov_b32_e32 v7, 0
	s_mov_b64 s[0:1], 0
	s_mov_b64 s[6:7], -1
	v_cvt_u32_f32_e32 v6, v3
	s_mov_b64 s[10:11], 0
	global_store_dwordx2 v[4:5], v[6:7], off
	s_branch .LBB23_1808
.LBB23_1807:
	s_mov_b64 s[10:11], 0
.LBB23_1808:
	s_and_b64 vcc, exec, s[10:11]
	s_cbranch_vccz .LBB23_1824
; %bb.1809:
	v_mov_b32_e32 v3, 27
	v_cmp_lt_i16_sdwa s[10:11], s14, v3 src0_sel:BYTE_0 src1_sel:DWORD
	s_mov_b64 s[6:7], -1
	s_and_b64 vcc, exec, s[10:11]
	s_cbranch_vccnz .LBB23_1815
; %bb.1810:
	v_cmp_gt_i16_sdwa s[10:11], s14, v3 src0_sel:BYTE_0 src1_sel:DWORD
	s_and_b64 vcc, exec, s[10:11]
	s_cbranch_vccz .LBB23_1812
; %bb.1811:
	v_cvt_f32_f16_e32 v3, v1
	s_mov_b64 s[6:7], 0
	v_cvt_u32_f32_e32 v3, v3
	global_store_dword v[4:5], v3, off
.LBB23_1812:
	s_andn2_b64 vcc, exec, s[6:7]
	s_cbranch_vccnz .LBB23_1814
; %bb.1813:
	v_cvt_u16_f16_e32 v3, v1
	global_store_short v[4:5], v3, off
.LBB23_1814:
	s_mov_b64 s[6:7], 0
.LBB23_1815:
	s_andn2_b64 vcc, exec, s[6:7]
	s_cbranch_vccnz .LBB23_1823
; %bb.1816:
	v_cvt_f32_f16_e32 v3, v1
	s_mov_b32 s6, 0x43800000
	v_mov_b32_e32 v7, 0x80
	v_and_b32_e32 v6, 0x7fffffff, v3
	v_cmp_gt_u32_e32 vcc, s6, v6
	s_and_saveexec_b64 s[6:7], vcc
	s_cbranch_execz .LBB23_1822
; %bb.1817:
	s_mov_b32 s10, 0x3bffffff
	v_cmp_lt_u32_e32 vcc, s10, v6
	s_mov_b64 s[10:11], 0
                                        ; implicit-def: $vgpr6
	s_and_saveexec_b64 s[12:13], vcc
	s_xor_b64 s[12:13], exec, s[12:13]
	s_cbranch_execz .LBB23_1918
; %bb.1818:
	v_bfe_u32 v6, v3, 20, 1
	s_mov_b32 s16, 0x487ffff
	v_add3_u32 v6, v3, v6, s16
	s_mov_b64 s[10:11], exec
	v_lshrrev_b32_e32 v6, 20, v6
	s_or_saveexec_b64 s[12:13], s[12:13]
                                        ; implicit-def: $sgpr16
	s_xor_b64 exec, exec, s[12:13]
	s_cbranch_execnz .LBB23_1919
.LBB23_1819:
	s_or_b64 exec, exec, s[12:13]
	v_mov_b32_e32 v7, s16
	s_and_saveexec_b64 s[12:13], s[10:11]
.LBB23_1820:
	v_lshrrev_b32_e32 v3, 24, v3
	s_movk_i32 s10, 0x80
	v_and_or_b32 v7, v3, s10, v6
.LBB23_1821:
	s_or_b64 exec, exec, s[12:13]
.LBB23_1822:
	s_or_b64 exec, exec, s[6:7]
	global_store_byte v[4:5], v7, off
.LBB23_1823:
	s_mov_b64 s[6:7], -1
.LBB23_1824:
	s_mov_b64 s[10:11], 0
.LBB23_1825:
	s_and_b64 vcc, exec, s[10:11]
	s_cbranch_vccz .LBB23_1865
; %bb.1826:
	v_mov_b32_e32 v3, 22
	v_cmp_gt_i16_sdwa s[10:11], s14, v3 src0_sel:BYTE_0 src1_sel:DWORD
	s_mov_b64 s[4:5], -1
	s_and_b64 vcc, exec, s[10:11]
	s_cbranch_vccz .LBB23_1858
; %bb.1827:
	v_mov_b32_e32 v3, 24
	v_cmp_lt_i16_sdwa s[6:7], s14, v3 src0_sel:BYTE_0 src1_sel:DWORD
	s_and_b64 vcc, exec, s[6:7]
	s_cbranch_vccnz .LBB23_1847
; %bb.1828:
	v_cmp_gt_i16_sdwa s[6:7], s14, v3 src0_sel:BYTE_0 src1_sel:DWORD
	s_and_b64 vcc, exec, s[6:7]
	s_cbranch_vccz .LBB23_1836
; %bb.1829:
	v_cvt_f32_f16_e32 v3, v1
	s_mov_b32 s4, 0x47800000
	v_mov_b32_e32 v7, 0x80
	v_and_b32_e32 v6, 0x7fffffff, v3
	v_cmp_gt_u32_e32 vcc, s4, v6
	s_and_saveexec_b64 s[4:5], vcc
	s_cbranch_execz .LBB23_1835
; %bb.1830:
	s_mov_b32 s6, 0x37ffffff
	v_cmp_lt_u32_e32 vcc, s6, v6
	s_mov_b64 s[6:7], 0
                                        ; implicit-def: $vgpr6
	s_and_saveexec_b64 s[10:11], vcc
	s_xor_b64 s[10:11], exec, s[10:11]
	s_cbranch_execz .LBB23_1922
; %bb.1831:
	v_bfe_u32 v6, v3, 21, 1
	s_mov_b32 s12, 0x88fffff
	v_add3_u32 v6, v3, v6, s12
	s_mov_b64 s[6:7], exec
	v_lshrrev_b32_e32 v6, 21, v6
	s_or_saveexec_b64 s[10:11], s[10:11]
                                        ; implicit-def: $sgpr12
	s_xor_b64 exec, exec, s[10:11]
	s_cbranch_execnz .LBB23_1923
.LBB23_1832:
	s_or_b64 exec, exec, s[10:11]
	v_mov_b32_e32 v7, s12
	s_and_saveexec_b64 s[10:11], s[6:7]
.LBB23_1833:
	v_lshrrev_b32_e32 v3, 24, v3
	s_movk_i32 s6, 0x80
	v_and_or_b32 v7, v3, s6, v6
.LBB23_1834:
	s_or_b64 exec, exec, s[10:11]
.LBB23_1835:
	s_or_b64 exec, exec, s[4:5]
	s_mov_b64 s[4:5], 0
	global_store_byte v[4:5], v7, off
.LBB23_1836:
	s_and_b64 vcc, exec, s[4:5]
	s_cbranch_vccz .LBB23_1846
; %bb.1837:
	v_cvt_f32_f16_e32 v3, v1
	s_mov_b32 s4, 0x43f00000
                                        ; implicit-def: $vgpr6
	v_and_b32_e32 v7, 0x7fffffff, v3
	v_cmp_gt_u32_e32 vcc, s4, v7
	s_and_saveexec_b64 s[4:5], vcc
	s_xor_b64 s[4:5], exec, s[4:5]
	s_cbranch_execz .LBB23_1843
; %bb.1838:
	s_mov_b32 s6, 0x3c7fffff
	v_cmp_lt_u32_e32 vcc, s6, v7
                                        ; implicit-def: $vgpr6
	s_and_saveexec_b64 s[6:7], vcc
	s_xor_b64 s[6:7], exec, s[6:7]
; %bb.1839:
	v_bfe_u32 v6, v3, 20, 1
	s_mov_b32 s10, 0x407ffff
	v_add3_u32 v6, v3, v6, s10
	v_lshrrev_b32_e32 v7, 20, v6
	v_and_b32_e32 v6, 0xff00000, v6
	s_mov_b32 s10, 0x7f00000
	v_mov_b32_e32 v8, 0x7e
	v_cmp_ne_u32_e32 vcc, s10, v6
	v_cndmask_b32_e32 v6, v8, v7, vcc
; %bb.1840:
	s_andn2_saveexec_b64 s[6:7], s[6:7]
; %bb.1841:
	s_mov_b32 s10, 0x46800000
	v_add_f32_e64 v6, |v3|, s10
; %bb.1842:
	s_or_b64 exec, exec, s[6:7]
                                        ; implicit-def: $vgpr7
.LBB23_1843:
	s_andn2_saveexec_b64 s[4:5], s[4:5]
; %bb.1844:
	s_mov_b32 s6, 0x7f800000
	v_mov_b32_e32 v6, 0x7e
	v_mov_b32_e32 v8, 0x7f
	v_cmp_lt_u32_e32 vcc, s6, v7
	v_cndmask_b32_e32 v6, v6, v8, vcc
; %bb.1845:
	s_or_b64 exec, exec, s[4:5]
	v_lshrrev_b32_e32 v3, 24, v3
	s_movk_i32 s4, 0x80
	v_and_or_b32 v3, v3, s4, v6
	global_store_byte v[4:5], v3, off
.LBB23_1846:
	s_mov_b64 s[4:5], 0
.LBB23_1847:
	s_andn2_b64 vcc, exec, s[4:5]
	s_cbranch_vccnz .LBB23_1857
; %bb.1848:
	v_cvt_f32_f16_e32 v3, v1
	s_mov_b32 s4, 0x47800000
                                        ; implicit-def: $vgpr6
	v_and_b32_e32 v7, 0x7fffffff, v3
	v_cmp_gt_u32_e32 vcc, s4, v7
	s_and_saveexec_b64 s[4:5], vcc
	s_xor_b64 s[4:5], exec, s[4:5]
	s_cbranch_execz .LBB23_1854
; %bb.1849:
	s_mov_b32 s6, 0x387fffff
	v_cmp_lt_u32_e32 vcc, s6, v7
                                        ; implicit-def: $vgpr6
	s_and_saveexec_b64 s[6:7], vcc
	s_xor_b64 s[6:7], exec, s[6:7]
; %bb.1850:
	v_bfe_u32 v6, v3, 21, 1
	s_mov_b32 s10, 0x80fffff
	v_add3_u32 v6, v3, v6, s10
	v_lshrrev_b32_e32 v6, 21, v6
; %bb.1851:
	s_andn2_saveexec_b64 s[6:7], s[6:7]
; %bb.1852:
	s_mov_b32 s10, 0x43000000
	v_add_f32_e64 v6, |v3|, s10
; %bb.1853:
	s_or_b64 exec, exec, s[6:7]
                                        ; implicit-def: $vgpr7
.LBB23_1854:
	s_andn2_saveexec_b64 s[4:5], s[4:5]
; %bb.1855:
	s_mov_b32 s6, 0x7f800000
	v_mov_b32_e32 v6, 0x7c
	v_mov_b32_e32 v8, 0x7f
	v_cmp_lt_u32_e32 vcc, s6, v7
	v_cndmask_b32_e32 v6, v6, v8, vcc
; %bb.1856:
	s_or_b64 exec, exec, s[4:5]
	v_lshrrev_b32_e32 v3, 24, v3
	s_movk_i32 s4, 0x80
	v_and_or_b32 v3, v3, s4, v6
	global_store_byte v[4:5], v3, off
.LBB23_1857:
	s_mov_b64 s[4:5], 0
	s_mov_b64 s[6:7], -1
.LBB23_1858:
	s_andn2_b64 vcc, exec, s[4:5]
	s_mov_b64 s[4:5], 0
	s_cbranch_vccnz .LBB23_1865
; %bb.1859:
	v_mov_b32_e32 v3, 14
	v_cmp_gt_i16_sdwa s[4:5], s14, v3 src0_sel:BYTE_0 src1_sel:DWORD
	s_mov_b64 s[10:11], -1
	s_and_b64 vcc, exec, s[4:5]
	s_cbranch_vccz .LBB23_1863
; %bb.1860:
	v_mov_b32_e32 v3, 15
	v_cmp_eq_u16_sdwa s[4:5], s14, v3 src0_sel:BYTE_0 src1_sel:DWORD
	s_mov_b64 s[0:1], -1
	s_and_b64 vcc, exec, s[4:5]
	s_cbranch_vccz .LBB23_1862
; %bb.1861:
	v_cvt_f32_f16_e32 v3, v1
	s_movk_i32 s0, 0x7fff
	v_mov_b32_e32 v6, 0x7fc0
	v_cmp_o_f16_e32 vcc, v1, v1
	v_bfe_u32 v7, v3, 16, 1
	v_add3_u32 v3, v3, v7, s0
	v_lshrrev_b32_e32 v3, 16, v3
	v_cndmask_b32_e32 v3, v6, v3, vcc
	global_store_short v[4:5], v3, off
	s_mov_b64 s[0:1], 0
	s_mov_b64 s[6:7], -1
.LBB23_1862:
	s_mov_b64 s[10:11], 0
.LBB23_1863:
	s_mov_b64 s[4:5], 0
	s_and_b64 vcc, exec, s[10:11]
	s_cbranch_vccz .LBB23_1865
; %bb.1864:
	v_mov_b32_e32 v3, 11
	v_cmp_ne_u16_sdwa s[0:1], s14, v3 src0_sel:BYTE_0 src1_sel:DWORD
	s_mov_b64 s[4:5], -1
.LBB23_1865:
	s_and_b64 vcc, exec, s[0:1]
	s_cbranch_vccnz .LBB23_1921
; %bb.1866:
	s_andn2_b64 vcc, exec, s[4:5]
	s_cbranch_vccnz .LBB23_1868
.LBB23_1867:
	v_and_b32_e32 v3, 0x7fff, v1
	v_cmp_ne_u16_e32 vcc, 0, v3
	v_cndmask_b32_e64 v3, 0, 1, vcc
	s_mov_b64 s[6:7], -1
	global_store_byte v[4:5], v3, off
.LBB23_1868:
	s_mov_b64 s[0:1], 0
.LBB23_1869:
	s_and_b64 vcc, exec, s[0:1]
	s_cbranch_vccz .LBB23_1908
; %bb.1870:
	v_mov_b32_e32 v3, 5
	v_cmp_lt_i16_sdwa s[4:5], s14, v3 src0_sel:BYTE_0 src1_sel:DWORD
	s_mov_b64 s[0:1], -1
	s_and_b64 vcc, exec, s[4:5]
	s_cbranch_vccnz .LBB23_1891
; %bb.1871:
	v_mov_b32_e32 v3, 8
	v_cmp_lt_i16_sdwa s[4:5], s14, v3 src0_sel:BYTE_0 src1_sel:DWORD
	s_and_b64 vcc, exec, s[4:5]
	s_cbranch_vccnz .LBB23_1881
; %bb.1872:
	v_mov_b32_e32 v3, 9
	v_cmp_lt_i16_sdwa s[4:5], s14, v3 src0_sel:BYTE_0 src1_sel:DWORD
	s_and_b64 vcc, exec, s[4:5]
	s_cbranch_vccnz .LBB23_1878
; %bb.1873:
	v_cmp_gt_i16_sdwa s[4:5], s14, v3 src0_sel:BYTE_0 src1_sel:DWORD
	s_and_b64 vcc, exec, s[4:5]
	s_cbranch_vccz .LBB23_1875
; %bb.1874:
	v_cvt_f32_f16_e32 v3, v1
	v_mov_b32_e32 v8, 0
	v_mov_b32_e32 v9, v8
	s_mov_b64 s[0:1], 0
	v_cvt_f64_f32_e32 v[6:7], v3
	global_store_dwordx4 v[4:5], v[6:9], off
.LBB23_1875:
	s_andn2_b64 vcc, exec, s[0:1]
	s_cbranch_vccnz .LBB23_1877
; %bb.1876:
	v_cvt_f32_f16_e32 v6, v1
	v_mov_b32_e32 v7, 0
	global_store_dwordx2 v[4:5], v[6:7], off
.LBB23_1877:
	s_mov_b64 s[0:1], 0
.LBB23_1878:
	s_andn2_b64 vcc, exec, s[0:1]
	s_cbranch_vccnz .LBB23_1880
; %bb.1879:
	v_and_b32_e32 v3, 0xffff, v1
	global_store_dword v[4:5], v3, off
.LBB23_1880:
	s_mov_b64 s[0:1], 0
.LBB23_1881:
	s_andn2_b64 vcc, exec, s[0:1]
	s_cbranch_vccnz .LBB23_1890
; %bb.1882:
	v_mov_b32_e32 v3, 6
	v_cmp_lt_i16_sdwa s[4:5], s14, v3 src0_sel:BYTE_0 src1_sel:DWORD
	s_mov_b64 s[0:1], -1
	s_and_b64 vcc, exec, s[4:5]
	s_cbranch_vccnz .LBB23_1888
; %bb.1883:
	v_cmp_gt_i16_sdwa s[4:5], s14, v3 src0_sel:BYTE_0 src1_sel:DWORD
	s_and_b64 vcc, exec, s[4:5]
	s_cbranch_vccz .LBB23_1885
; %bb.1884:
	v_cvt_f32_f16_e32 v3, v1
	s_mov_b64 s[0:1], 0
	v_cvt_f64_f32_e32 v[6:7], v3
	global_store_dwordx2 v[4:5], v[6:7], off
.LBB23_1885:
	s_andn2_b64 vcc, exec, s[0:1]
	s_cbranch_vccnz .LBB23_1887
; %bb.1886:
	v_cvt_f32_f16_e32 v3, v1
	global_store_dword v[4:5], v3, off
.LBB23_1887:
	s_mov_b64 s[0:1], 0
.LBB23_1888:
	s_andn2_b64 vcc, exec, s[0:1]
	s_cbranch_vccnz .LBB23_1890
; %bb.1889:
	global_store_short v[4:5], v1, off
.LBB23_1890:
	s_mov_b64 s[0:1], 0
.LBB23_1891:
	s_andn2_b64 vcc, exec, s[0:1]
	s_cbranch_vccnz .LBB23_1907
; %bb.1892:
	v_mov_b32_e32 v3, 2
	v_cmp_lt_i16_sdwa s[4:5], s14, v3 src0_sel:BYTE_0 src1_sel:DWORD
	s_mov_b64 s[0:1], -1
	s_and_b64 vcc, exec, s[4:5]
	s_cbranch_vccnz .LBB23_1902
; %bb.1893:
	v_mov_b32_e32 v3, 3
	v_cmp_lt_i16_sdwa s[4:5], s14, v3 src0_sel:BYTE_0 src1_sel:DWORD
	s_and_b64 vcc, exec, s[4:5]
	s_cbranch_vccnz .LBB23_1899
; %bb.1894:
	v_cmp_gt_i16_sdwa s[4:5], s14, v3 src0_sel:BYTE_0 src1_sel:DWORD
	s_and_b64 vcc, exec, s[4:5]
	s_cbranch_vccz .LBB23_1896
; %bb.1895:
	v_cvt_f32_f16_e32 v3, v1
	s_mov_b64 s[0:1], 0
	v_cvt_i32_f32_e32 v6, v3
	v_ashrrev_i32_e32 v7, 31, v6
	global_store_dwordx2 v[4:5], v[6:7], off
.LBB23_1896:
	s_andn2_b64 vcc, exec, s[0:1]
	s_cbranch_vccnz .LBB23_1898
; %bb.1897:
	v_cvt_f32_f16_e32 v3, v1
	v_cvt_i32_f32_e32 v3, v3
	global_store_dword v[4:5], v3, off
.LBB23_1898:
	s_mov_b64 s[0:1], 0
.LBB23_1899:
	s_andn2_b64 vcc, exec, s[0:1]
	s_cbranch_vccnz .LBB23_1901
; %bb.1900:
	v_cvt_i16_f16_e32 v3, v1
	global_store_short v[4:5], v3, off
.LBB23_1901:
	s_mov_b64 s[0:1], 0
.LBB23_1902:
	s_andn2_b64 vcc, exec, s[0:1]
	s_cbranch_vccnz .LBB23_1907
; %bb.1903:
	v_mov_b32_e32 v3, 0
	v_cmp_gt_i16_sdwa s[4:5], s14, v3 src0_sel:BYTE_0 src1_sel:DWORD
	s_mov_b64 s[0:1], -1
	s_and_b64 vcc, exec, s[4:5]
	s_cbranch_vccz .LBB23_1905
; %bb.1904:
	v_cvt_i16_f16_e32 v3, v1
	global_store_byte v[4:5], v3, off
	s_mov_b64 s[0:1], 0
.LBB23_1905:
	s_andn2_b64 vcc, exec, s[0:1]
	s_cbranch_vccnz .LBB23_1907
; %bb.1906:
	v_cvt_f32_f16_e32 v1, v1
	v_cvt_i32_f32_e32 v1, v1
	global_store_byte v[4:5], v1, off
.LBB23_1907:
	s_mov_b64 s[6:7], -1
.LBB23_1908:
	s_andn2_b64 vcc, exec, s[6:7]
	s_cbranch_vccnz .LBB23_2112
; %bb.1909:
	v_cmp_nge_f16_e64 s[0:1], v12, -s15
	v_cmp_nge_f16_e32 vcc, s15, v12
	s_or_b64 vcc, s[0:1], vcc
	v_cndmask_b32_e32 v1, 0, v12, vcc
	v_mov_b32_e32 v3, s9
	v_add_co_u32_e32 v2, vcc, s8, v2
	v_mov_b32_e32 v4, 11
	v_addc_co_u32_e32 v3, vcc, 0, v3, vcc
	v_cmp_lt_i16_sdwa s[0:1], s14, v4 src0_sel:BYTE_0 src1_sel:DWORD
	s_and_b64 vcc, exec, s[0:1]
	s_cbranch_vccnz .LBB23_1916
; %bb.1910:
	v_mov_b32_e32 v4, 25
	v_cmp_gt_i16_sdwa s[0:1], s14, v4 src0_sel:BYTE_0 src1_sel:DWORD
	s_mov_b64 s[10:11], -1
	s_mov_b64 s[4:5], 0
	s_and_b64 vcc, exec, s[0:1]
	s_mov_b64 s[6:7], 0
	s_mov_b64 s[0:1], 0
	s_cbranch_vccz .LBB23_1952
; %bb.1911:
	v_mov_b32_e32 v4, 28
	v_cmp_gt_i16_sdwa s[0:1], s14, v4 src0_sel:BYTE_0 src1_sel:DWORD
	s_and_b64 vcc, exec, s[0:1]
	s_cbranch_vccz .LBB23_1917
; %bb.1912:
	v_mov_b32_e32 v4, 43
	v_cmp_gt_i16_sdwa s[0:1], s14, v4 src0_sel:BYTE_0 src1_sel:DWORD
	s_and_b64 vcc, exec, s[0:1]
	;; [unrolled: 5-line block ×3, first 2 shown]
	s_cbranch_vccz .LBB23_1924
; %bb.1914:
	v_mov_b32_e32 v4, 46
	v_cmp_eq_u16_sdwa s[6:7], s14, v4 src0_sel:BYTE_0 src1_sel:DWORD
	s_mov_b64 s[0:1], -1
	s_mov_b64 s[10:11], 0
	s_and_b64 vcc, exec, s[6:7]
	s_mov_b64 s[6:7], 0
	s_cbranch_vccz .LBB23_1925
; %bb.1915:
	v_cvt_f32_f16_e32 v4, v1
	s_movk_i32 s0, 0x7fff
	v_mov_b32_e32 v5, 0x7fc0
	v_cmp_o_f16_e32 vcc, v1, v1
	v_bfe_u32 v6, v4, 16, 1
	v_add3_u32 v4, v4, v6, s0
	v_lshrrev_b32_e32 v4, 16, v4
	v_cndmask_b32_e32 v4, v5, v4, vcc
	global_store_dword v[2:3], v4, off
	s_mov_b64 s[0:1], 0
	s_mov_b64 s[6:7], -1
	s_branch .LBB23_1925
.LBB23_1916:
	s_mov_b64 s[0:1], -1
	s_mov_b64 s[6:7], 0
	s_branch .LBB23_1996
.LBB23_1917:
	s_mov_b64 s[0:1], 0
	s_branch .LBB23_1935
.LBB23_1918:
	s_or_saveexec_b64 s[12:13], s[12:13]
                                        ; implicit-def: $sgpr16
	s_xor_b64 exec, exec, s[12:13]
	s_cbranch_execz .LBB23_1819
.LBB23_1919:
	s_mov_b32 s16, 0x46000000
	v_add_f32_e64 v6, |v3|, s16
	v_and_b32_e32 v6, 0xff, v6
	v_cmp_ne_u32_e32 vcc, 0, v6
	s_andn2_b64 s[10:11], s[10:11], exec
	s_and_b64 s[18:19], vcc, exec
	s_mov_b32 s16, 0
	s_or_b64 s[10:11], s[10:11], s[18:19]
	s_or_b64 exec, exec, s[12:13]
	v_mov_b32_e32 v7, s16
	s_and_saveexec_b64 s[12:13], s[10:11]
	s_cbranch_execnz .LBB23_1820
	s_branch .LBB23_1821
.LBB23_1920:
	s_mov_b64 s[0:1], 0
	s_branch .LBB23_1931
.LBB23_1921:
	s_trap 2
	s_or_b64 s[2:3], s[2:3], exec
	s_cbranch_execz .LBB23_1867
	s_branch .LBB23_1868
.LBB23_1922:
	s_or_saveexec_b64 s[10:11], s[10:11]
                                        ; implicit-def: $sgpr12
	s_xor_b64 exec, exec, s[10:11]
	s_cbranch_execz .LBB23_1832
.LBB23_1923:
	s_mov_b32 s12, 0x42800000
	v_add_f32_e64 v6, |v3|, s12
	v_and_b32_e32 v6, 0xff, v6
	v_cmp_ne_u32_e32 vcc, 0, v6
	s_andn2_b64 s[6:7], s[6:7], exec
	s_and_b64 s[16:17], vcc, exec
	s_mov_b32 s12, 0
	s_or_b64 s[6:7], s[6:7], s[16:17]
	s_or_b64 exec, exec, s[10:11]
	v_mov_b32_e32 v7, s12
	s_and_saveexec_b64 s[10:11], s[6:7]
	s_cbranch_execnz .LBB23_1833
	s_branch .LBB23_1834
.LBB23_1924:
	s_mov_b64 s[0:1], 0
.LBB23_1925:
	s_and_b64 vcc, exec, s[10:11]
	s_cbranch_vccz .LBB23_1930
; %bb.1926:
	v_mov_b32_e32 v4, 44
	v_cmp_eq_u16_sdwa s[10:11], s14, v4 src0_sel:BYTE_0 src1_sel:DWORD
	s_mov_b64 s[0:1], -1
	s_and_b64 vcc, exec, s[10:11]
	s_cbranch_vccz .LBB23_1930
; %bb.1927:
	v_cvt_f32_f16_e32 v4, v1
	s_movk_i32 s0, 0xff
	v_mov_b32_e32 v6, 0xff
	v_bfe_u32 v5, v4, 23, 8
	v_cmp_ne_u32_e32 vcc, s0, v5
	s_and_saveexec_b64 s[6:7], vcc
; %bb.1928:
	s_mov_b32 s0, 0x3fffff
	v_lshrrev_b32_e32 v6, 23, v4
	v_and_b32_e32 v7, 0x400000, v4
	v_and_or_b32 v4, v4, s0, v5
	v_cmp_ne_u32_e32 vcc, 0, v7
	v_cmp_ne_u32_e64 s[0:1], 0, v4
	s_and_b64 s[0:1], vcc, s[0:1]
	v_cndmask_b32_e64 v4, 0, 1, s[0:1]
	v_add_u32_e32 v6, v6, v4
; %bb.1929:
	s_or_b64 exec, exec, s[6:7]
	s_mov_b64 s[0:1], 0
	s_mov_b64 s[6:7], -1
	global_store_byte v[2:3], v6, off
.LBB23_1930:
	s_mov_b64 s[10:11], 0
.LBB23_1931:
	s_and_b64 vcc, exec, s[10:11]
	s_cbranch_vccz .LBB23_1934
; %bb.1932:
	v_mov_b32_e32 v4, 29
	v_cmp_eq_u16_sdwa s[10:11], s14, v4 src0_sel:BYTE_0 src1_sel:DWORD
	s_mov_b64 s[0:1], -1
	s_and_b64 vcc, exec, s[10:11]
	s_cbranch_vccz .LBB23_1934
; %bb.1933:
	v_cvt_f32_f16_e32 v4, v1
	v_mov_b32_e32 v5, 0
	s_mov_b64 s[0:1], 0
	s_mov_b64 s[6:7], -1
	v_cvt_u32_f32_e32 v4, v4
	s_mov_b64 s[10:11], 0
	global_store_dwordx2 v[2:3], v[4:5], off
	s_branch .LBB23_1935
.LBB23_1934:
	s_mov_b64 s[10:11], 0
.LBB23_1935:
	s_and_b64 vcc, exec, s[10:11]
	s_cbranch_vccz .LBB23_1951
; %bb.1936:
	v_mov_b32_e32 v4, 27
	v_cmp_lt_i16_sdwa s[10:11], s14, v4 src0_sel:BYTE_0 src1_sel:DWORD
	s_mov_b64 s[6:7], -1
	s_and_b64 vcc, exec, s[10:11]
	s_cbranch_vccnz .LBB23_1942
; %bb.1937:
	v_cmp_gt_i16_sdwa s[10:11], s14, v4 src0_sel:BYTE_0 src1_sel:DWORD
	s_and_b64 vcc, exec, s[10:11]
	s_cbranch_vccz .LBB23_1939
; %bb.1938:
	v_cvt_f32_f16_e32 v4, v1
	s_mov_b64 s[6:7], 0
	v_cvt_u32_f32_e32 v4, v4
	global_store_dword v[2:3], v4, off
.LBB23_1939:
	s_andn2_b64 vcc, exec, s[6:7]
	s_cbranch_vccnz .LBB23_1941
; %bb.1940:
	v_cvt_u16_f16_e32 v4, v1
	global_store_short v[2:3], v4, off
.LBB23_1941:
	s_mov_b64 s[6:7], 0
.LBB23_1942:
	s_andn2_b64 vcc, exec, s[6:7]
	s_cbranch_vccnz .LBB23_1950
; %bb.1943:
	v_cvt_f32_f16_e32 v4, v1
	s_mov_b32 s6, 0x43800000
	v_mov_b32_e32 v6, 0x80
	v_and_b32_e32 v5, 0x7fffffff, v4
	v_cmp_gt_u32_e32 vcc, s6, v5
	s_and_saveexec_b64 s[6:7], vcc
	s_cbranch_execz .LBB23_1949
; %bb.1944:
	s_mov_b32 s10, 0x3bffffff
	v_cmp_lt_u32_e32 vcc, s10, v5
	s_mov_b64 s[10:11], 0
                                        ; implicit-def: $vgpr5
	s_and_saveexec_b64 s[12:13], vcc
	s_xor_b64 s[12:13], exec, s[12:13]
	s_cbranch_execz .LBB23_2158
; %bb.1945:
	v_bfe_u32 v5, v4, 20, 1
	s_mov_b32 s16, 0x487ffff
	v_add3_u32 v5, v4, v5, s16
	s_mov_b64 s[10:11], exec
	v_lshrrev_b32_e32 v5, 20, v5
	s_or_saveexec_b64 s[12:13], s[12:13]
                                        ; implicit-def: $sgpr16
	s_xor_b64 exec, exec, s[12:13]
	s_cbranch_execnz .LBB23_2159
.LBB23_1946:
	s_or_b64 exec, exec, s[12:13]
	v_mov_b32_e32 v6, s16
	s_and_saveexec_b64 s[12:13], s[10:11]
.LBB23_1947:
	v_lshrrev_b32_e32 v4, 24, v4
	s_movk_i32 s10, 0x80
	v_and_or_b32 v6, v4, s10, v5
.LBB23_1948:
	s_or_b64 exec, exec, s[12:13]
.LBB23_1949:
	s_or_b64 exec, exec, s[6:7]
	global_store_byte v[2:3], v6, off
.LBB23_1950:
	s_mov_b64 s[6:7], -1
.LBB23_1951:
	s_mov_b64 s[10:11], 0
.LBB23_1952:
	s_and_b64 vcc, exec, s[10:11]
	s_cbranch_vccz .LBB23_1992
; %bb.1953:
	v_mov_b32_e32 v4, 22
	v_cmp_gt_i16_sdwa s[10:11], s14, v4 src0_sel:BYTE_0 src1_sel:DWORD
	s_mov_b64 s[4:5], -1
	s_and_b64 vcc, exec, s[10:11]
	s_cbranch_vccz .LBB23_1985
; %bb.1954:
	v_mov_b32_e32 v4, 24
	v_cmp_lt_i16_sdwa s[6:7], s14, v4 src0_sel:BYTE_0 src1_sel:DWORD
	s_and_b64 vcc, exec, s[6:7]
	s_cbranch_vccnz .LBB23_1974
; %bb.1955:
	v_cmp_gt_i16_sdwa s[6:7], s14, v4 src0_sel:BYTE_0 src1_sel:DWORD
	s_and_b64 vcc, exec, s[6:7]
	s_cbranch_vccz .LBB23_1963
; %bb.1956:
	v_cvt_f32_f16_e32 v4, v1
	s_mov_b32 s4, 0x47800000
	v_mov_b32_e32 v6, 0x80
	v_and_b32_e32 v5, 0x7fffffff, v4
	v_cmp_gt_u32_e32 vcc, s4, v5
	s_and_saveexec_b64 s[4:5], vcc
	s_cbranch_execz .LBB23_1962
; %bb.1957:
	s_mov_b32 s6, 0x37ffffff
	v_cmp_lt_u32_e32 vcc, s6, v5
	s_mov_b64 s[6:7], 0
                                        ; implicit-def: $vgpr5
	s_and_saveexec_b64 s[10:11], vcc
	s_xor_b64 s[10:11], exec, s[10:11]
	s_cbranch_execz .LBB23_2161
; %bb.1958:
	v_bfe_u32 v5, v4, 21, 1
	s_mov_b32 s12, 0x88fffff
	v_add3_u32 v5, v4, v5, s12
	s_mov_b64 s[6:7], exec
	v_lshrrev_b32_e32 v5, 21, v5
	s_or_saveexec_b64 s[10:11], s[10:11]
                                        ; implicit-def: $sgpr12
	s_xor_b64 exec, exec, s[10:11]
	s_cbranch_execnz .LBB23_2162
.LBB23_1959:
	s_or_b64 exec, exec, s[10:11]
	v_mov_b32_e32 v6, s12
	s_and_saveexec_b64 s[10:11], s[6:7]
.LBB23_1960:
	v_lshrrev_b32_e32 v4, 24, v4
	s_movk_i32 s6, 0x80
	v_and_or_b32 v6, v4, s6, v5
.LBB23_1961:
	s_or_b64 exec, exec, s[10:11]
.LBB23_1962:
	s_or_b64 exec, exec, s[4:5]
	s_mov_b64 s[4:5], 0
	global_store_byte v[2:3], v6, off
.LBB23_1963:
	s_and_b64 vcc, exec, s[4:5]
	s_cbranch_vccz .LBB23_1973
; %bb.1964:
	v_cvt_f32_f16_e32 v4, v1
	s_mov_b32 s4, 0x43f00000
                                        ; implicit-def: $vgpr5
	v_and_b32_e32 v6, 0x7fffffff, v4
	v_cmp_gt_u32_e32 vcc, s4, v6
	s_and_saveexec_b64 s[4:5], vcc
	s_xor_b64 s[4:5], exec, s[4:5]
	s_cbranch_execz .LBB23_1970
; %bb.1965:
	s_mov_b32 s6, 0x3c7fffff
	v_cmp_lt_u32_e32 vcc, s6, v6
                                        ; implicit-def: $vgpr5
	s_and_saveexec_b64 s[6:7], vcc
	s_xor_b64 s[6:7], exec, s[6:7]
; %bb.1966:
	v_bfe_u32 v5, v4, 20, 1
	s_mov_b32 s10, 0x407ffff
	v_add3_u32 v5, v4, v5, s10
	v_lshrrev_b32_e32 v6, 20, v5
	v_and_b32_e32 v5, 0xff00000, v5
	s_mov_b32 s10, 0x7f00000
	v_mov_b32_e32 v7, 0x7e
	v_cmp_ne_u32_e32 vcc, s10, v5
	v_cndmask_b32_e32 v5, v7, v6, vcc
; %bb.1967:
	s_andn2_saveexec_b64 s[6:7], s[6:7]
; %bb.1968:
	s_mov_b32 s10, 0x46800000
	v_add_f32_e64 v5, |v4|, s10
; %bb.1969:
	s_or_b64 exec, exec, s[6:7]
                                        ; implicit-def: $vgpr6
.LBB23_1970:
	s_andn2_saveexec_b64 s[4:5], s[4:5]
; %bb.1971:
	s_mov_b32 s6, 0x7f800000
	v_mov_b32_e32 v5, 0x7e
	v_mov_b32_e32 v7, 0x7f
	v_cmp_lt_u32_e32 vcc, s6, v6
	v_cndmask_b32_e32 v5, v5, v7, vcc
; %bb.1972:
	s_or_b64 exec, exec, s[4:5]
	v_lshrrev_b32_e32 v4, 24, v4
	s_movk_i32 s4, 0x80
	v_and_or_b32 v4, v4, s4, v5
	global_store_byte v[2:3], v4, off
.LBB23_1973:
	s_mov_b64 s[4:5], 0
.LBB23_1974:
	s_andn2_b64 vcc, exec, s[4:5]
	s_cbranch_vccnz .LBB23_1984
; %bb.1975:
	v_cvt_f32_f16_e32 v4, v1
	s_mov_b32 s4, 0x47800000
                                        ; implicit-def: $vgpr5
	v_and_b32_e32 v6, 0x7fffffff, v4
	v_cmp_gt_u32_e32 vcc, s4, v6
	s_and_saveexec_b64 s[4:5], vcc
	s_xor_b64 s[4:5], exec, s[4:5]
	s_cbranch_execz .LBB23_1981
; %bb.1976:
	s_mov_b32 s6, 0x387fffff
	v_cmp_lt_u32_e32 vcc, s6, v6
                                        ; implicit-def: $vgpr5
	s_and_saveexec_b64 s[6:7], vcc
	s_xor_b64 s[6:7], exec, s[6:7]
; %bb.1977:
	v_bfe_u32 v5, v4, 21, 1
	s_mov_b32 s10, 0x80fffff
	v_add3_u32 v5, v4, v5, s10
	v_lshrrev_b32_e32 v5, 21, v5
; %bb.1978:
	s_andn2_saveexec_b64 s[6:7], s[6:7]
; %bb.1979:
	s_mov_b32 s10, 0x43000000
	v_add_f32_e64 v5, |v4|, s10
; %bb.1980:
	s_or_b64 exec, exec, s[6:7]
                                        ; implicit-def: $vgpr6
.LBB23_1981:
	s_andn2_saveexec_b64 s[4:5], s[4:5]
; %bb.1982:
	s_mov_b32 s6, 0x7f800000
	v_mov_b32_e32 v5, 0x7c
	v_mov_b32_e32 v7, 0x7f
	v_cmp_lt_u32_e32 vcc, s6, v6
	v_cndmask_b32_e32 v5, v5, v7, vcc
; %bb.1983:
	s_or_b64 exec, exec, s[4:5]
	v_lshrrev_b32_e32 v4, 24, v4
	s_movk_i32 s4, 0x80
	v_and_or_b32 v4, v4, s4, v5
	global_store_byte v[2:3], v4, off
.LBB23_1984:
	s_mov_b64 s[4:5], 0
	s_mov_b64 s[6:7], -1
.LBB23_1985:
	s_andn2_b64 vcc, exec, s[4:5]
	s_mov_b64 s[4:5], 0
	s_cbranch_vccnz .LBB23_1992
; %bb.1986:
	v_mov_b32_e32 v4, 14
	v_cmp_gt_i16_sdwa s[4:5], s14, v4 src0_sel:BYTE_0 src1_sel:DWORD
	s_mov_b64 s[10:11], -1
	s_and_b64 vcc, exec, s[4:5]
	s_cbranch_vccz .LBB23_1990
; %bb.1987:
	v_mov_b32_e32 v4, 15
	v_cmp_eq_u16_sdwa s[4:5], s14, v4 src0_sel:BYTE_0 src1_sel:DWORD
	s_mov_b64 s[0:1], -1
	s_and_b64 vcc, exec, s[4:5]
	s_cbranch_vccz .LBB23_1989
; %bb.1988:
	v_cvt_f32_f16_e32 v4, v1
	s_movk_i32 s0, 0x7fff
	v_mov_b32_e32 v5, 0x7fc0
	v_cmp_o_f16_e32 vcc, v1, v1
	v_bfe_u32 v6, v4, 16, 1
	v_add3_u32 v4, v4, v6, s0
	v_lshrrev_b32_e32 v4, 16, v4
	v_cndmask_b32_e32 v4, v5, v4, vcc
	global_store_short v[2:3], v4, off
	s_mov_b64 s[0:1], 0
	s_mov_b64 s[6:7], -1
.LBB23_1989:
	s_mov_b64 s[10:11], 0
.LBB23_1990:
	s_mov_b64 s[4:5], 0
	s_and_b64 vcc, exec, s[10:11]
	s_cbranch_vccz .LBB23_1992
; %bb.1991:
	v_mov_b32_e32 v4, 11
	v_cmp_ne_u16_sdwa s[0:1], s14, v4 src0_sel:BYTE_0 src1_sel:DWORD
	s_mov_b64 s[4:5], -1
.LBB23_1992:
	s_and_b64 vcc, exec, s[0:1]
	s_cbranch_vccnz .LBB23_2160
; %bb.1993:
	s_andn2_b64 vcc, exec, s[4:5]
	s_cbranch_vccnz .LBB23_1995
.LBB23_1994:
	v_and_b32_e32 v4, 0x7fff, v1
	v_cmp_ne_u16_e32 vcc, 0, v4
	v_cndmask_b32_e64 v4, 0, 1, vcc
	s_mov_b64 s[6:7], -1
	global_store_byte v[2:3], v4, off
.LBB23_1995:
	s_mov_b64 s[0:1], 0
.LBB23_1996:
	s_and_b64 vcc, exec, s[0:1]
	s_cbranch_vccz .LBB23_2035
; %bb.1997:
	v_mov_b32_e32 v4, 5
	v_cmp_lt_i16_sdwa s[4:5], s14, v4 src0_sel:BYTE_0 src1_sel:DWORD
	s_mov_b64 s[0:1], -1
	s_and_b64 vcc, exec, s[4:5]
	s_cbranch_vccnz .LBB23_2018
; %bb.1998:
	v_mov_b32_e32 v4, 8
	v_cmp_lt_i16_sdwa s[4:5], s14, v4 src0_sel:BYTE_0 src1_sel:DWORD
	s_and_b64 vcc, exec, s[4:5]
	s_cbranch_vccnz .LBB23_2008
; %bb.1999:
	v_mov_b32_e32 v4, 9
	v_cmp_lt_i16_sdwa s[4:5], s14, v4 src0_sel:BYTE_0 src1_sel:DWORD
	s_and_b64 vcc, exec, s[4:5]
	s_cbranch_vccnz .LBB23_2005
; %bb.2000:
	v_cmp_gt_i16_sdwa s[4:5], s14, v4 src0_sel:BYTE_0 src1_sel:DWORD
	s_and_b64 vcc, exec, s[4:5]
	s_cbranch_vccz .LBB23_2002
; %bb.2001:
	v_cvt_f32_f16_e32 v4, v1
	v_mov_b32_e32 v6, 0
	v_mov_b32_e32 v7, v6
	s_mov_b64 s[0:1], 0
	v_cvt_f64_f32_e32 v[4:5], v4
	global_store_dwordx4 v[2:3], v[4:7], off
.LBB23_2002:
	s_andn2_b64 vcc, exec, s[0:1]
	s_cbranch_vccnz .LBB23_2004
; %bb.2003:
	v_cvt_f32_f16_e32 v4, v1
	v_mov_b32_e32 v5, 0
	global_store_dwordx2 v[2:3], v[4:5], off
.LBB23_2004:
	s_mov_b64 s[0:1], 0
.LBB23_2005:
	s_andn2_b64 vcc, exec, s[0:1]
	s_cbranch_vccnz .LBB23_2007
; %bb.2006:
	v_and_b32_e32 v4, 0xffff, v1
	global_store_dword v[2:3], v4, off
.LBB23_2007:
	s_mov_b64 s[0:1], 0
.LBB23_2008:
	s_andn2_b64 vcc, exec, s[0:1]
	s_cbranch_vccnz .LBB23_2017
; %bb.2009:
	v_mov_b32_e32 v4, 6
	v_cmp_lt_i16_sdwa s[4:5], s14, v4 src0_sel:BYTE_0 src1_sel:DWORD
	s_mov_b64 s[0:1], -1
	s_and_b64 vcc, exec, s[4:5]
	s_cbranch_vccnz .LBB23_2015
; %bb.2010:
	v_cmp_gt_i16_sdwa s[4:5], s14, v4 src0_sel:BYTE_0 src1_sel:DWORD
	s_and_b64 vcc, exec, s[4:5]
	s_cbranch_vccz .LBB23_2012
; %bb.2011:
	v_cvt_f32_f16_e32 v4, v1
	s_mov_b64 s[0:1], 0
	v_cvt_f64_f32_e32 v[4:5], v4
	global_store_dwordx2 v[2:3], v[4:5], off
.LBB23_2012:
	s_andn2_b64 vcc, exec, s[0:1]
	s_cbranch_vccnz .LBB23_2014
; %bb.2013:
	v_cvt_f32_f16_e32 v4, v1
	global_store_dword v[2:3], v4, off
.LBB23_2014:
	s_mov_b64 s[0:1], 0
.LBB23_2015:
	s_andn2_b64 vcc, exec, s[0:1]
	s_cbranch_vccnz .LBB23_2017
; %bb.2016:
	global_store_short v[2:3], v1, off
.LBB23_2017:
	s_mov_b64 s[0:1], 0
.LBB23_2018:
	s_andn2_b64 vcc, exec, s[0:1]
	s_cbranch_vccnz .LBB23_2034
; %bb.2019:
	v_mov_b32_e32 v4, 2
	v_cmp_lt_i16_sdwa s[4:5], s14, v4 src0_sel:BYTE_0 src1_sel:DWORD
	s_mov_b64 s[0:1], -1
	s_and_b64 vcc, exec, s[4:5]
	s_cbranch_vccnz .LBB23_2029
; %bb.2020:
	v_mov_b32_e32 v4, 3
	v_cmp_lt_i16_sdwa s[4:5], s14, v4 src0_sel:BYTE_0 src1_sel:DWORD
	s_and_b64 vcc, exec, s[4:5]
	s_cbranch_vccnz .LBB23_2026
; %bb.2021:
	v_cmp_gt_i16_sdwa s[4:5], s14, v4 src0_sel:BYTE_0 src1_sel:DWORD
	s_and_b64 vcc, exec, s[4:5]
	s_cbranch_vccz .LBB23_2023
; %bb.2022:
	v_cvt_f32_f16_e32 v4, v1
	s_mov_b64 s[0:1], 0
	v_cvt_i32_f32_e32 v4, v4
	v_ashrrev_i32_e32 v5, 31, v4
	global_store_dwordx2 v[2:3], v[4:5], off
.LBB23_2023:
	s_andn2_b64 vcc, exec, s[0:1]
	s_cbranch_vccnz .LBB23_2025
; %bb.2024:
	v_cvt_f32_f16_e32 v4, v1
	v_cvt_i32_f32_e32 v4, v4
	global_store_dword v[2:3], v4, off
.LBB23_2025:
	s_mov_b64 s[0:1], 0
.LBB23_2026:
	s_andn2_b64 vcc, exec, s[0:1]
	s_cbranch_vccnz .LBB23_2028
; %bb.2027:
	v_cvt_i16_f16_e32 v4, v1
	global_store_short v[2:3], v4, off
.LBB23_2028:
	s_mov_b64 s[0:1], 0
.LBB23_2029:
	s_andn2_b64 vcc, exec, s[0:1]
	s_cbranch_vccnz .LBB23_2034
; %bb.2030:
	v_mov_b32_e32 v4, 0
	v_cmp_gt_i16_sdwa s[4:5], s14, v4 src0_sel:BYTE_0 src1_sel:DWORD
	s_mov_b64 s[0:1], -1
	s_and_b64 vcc, exec, s[4:5]
	s_cbranch_vccz .LBB23_2032
; %bb.2031:
	v_cvt_i16_f16_e32 v4, v1
	global_store_byte v[2:3], v4, off
	s_mov_b64 s[0:1], 0
.LBB23_2032:
	s_andn2_b64 vcc, exec, s[0:1]
	s_cbranch_vccnz .LBB23_2034
; %bb.2033:
	v_cvt_f32_f16_e32 v1, v1
	v_cvt_i32_f32_e32 v1, v1
	global_store_byte v[2:3], v1, off
.LBB23_2034:
	s_mov_b64 s[6:7], -1
.LBB23_2035:
	s_andn2_b64 vcc, exec, s[6:7]
	s_cbranch_vccnz .LBB23_2112
; %bb.2036:
	v_cmp_nge_f16_e64 s[0:1], v10, -s15
	v_cmp_nge_f16_e32 vcc, s15, v10
	s_or_b64 vcc, s[0:1], vcc
	v_mov_b32_e32 v1, 0xff
	v_cndmask_b32_e32 v2, 0, v10, vcc
	v_and_b32_e32 v3, s14, v1
	v_mov_b32_e32 v1, s9
	v_add_co_u32_e32 v0, vcc, s8, v0
	v_addc_co_u32_e32 v1, vcc, 0, v1, vcc
	v_cmp_gt_i16_e32 vcc, 11, v3
	s_cbranch_vccnz .LBB23_2157
; %bb.2037:
	v_cmp_lt_i16_e32 vcc, 25, v3
	s_mov_b64 s[6:7], -1
	s_mov_b64 s[4:5], 0
	s_mov_b64 s[0:1], 0
	s_cbranch_vccz .LBB23_2070
; %bb.2038:
	v_cmp_lt_i16_e32 vcc, 28, v3
	s_cbranch_vccz .LBB23_2054
; %bb.2039:
	v_cmp_lt_i16_e32 vcc, 43, v3
	;; [unrolled: 3-line block ×3, first 2 shown]
	s_cbranch_vccz .LBB23_2044
; %bb.2041:
	v_cmp_eq_u16_e32 vcc, 46, v3
	s_mov_b64 s[0:1], -1
	s_cbranch_vccz .LBB23_2043
; %bb.2042:
	v_cvt_f32_f16_e32 v4, v2
	s_movk_i32 s0, 0x7fff
	v_mov_b32_e32 v5, 0x7fc0
	v_cmp_o_f16_e32 vcc, v2, v2
	v_bfe_u32 v6, v4, 16, 1
	v_add3_u32 v4, v4, v6, s0
	v_lshrrev_b32_e32 v4, 16, v4
	v_cndmask_b32_e32 v4, v5, v4, vcc
	global_store_dword v[0:1], v4, off
	s_mov_b64 s[0:1], 0
.LBB23_2043:
	s_mov_b64 s[6:7], 0
.LBB23_2044:
	s_and_b64 vcc, exec, s[6:7]
	s_cbranch_vccz .LBB23_2049
; %bb.2045:
	v_cmp_eq_u16_e32 vcc, 44, v3
	s_mov_b64 s[0:1], -1
	s_cbranch_vccz .LBB23_2049
; %bb.2046:
	v_cvt_f32_f16_e32 v4, v2
	s_movk_i32 s0, 0xff
	v_mov_b32_e32 v6, 0xff
	v_bfe_u32 v5, v4, 23, 8
	v_cmp_ne_u32_e32 vcc, s0, v5
	s_and_saveexec_b64 s[6:7], vcc
; %bb.2047:
	s_mov_b32 s0, 0x3fffff
	v_lshrrev_b32_e32 v6, 23, v4
	v_and_b32_e32 v7, 0x400000, v4
	v_and_or_b32 v4, v4, s0, v5
	v_cmp_ne_u32_e32 vcc, 0, v7
	v_cmp_ne_u32_e64 s[0:1], 0, v4
	s_and_b64 s[0:1], vcc, s[0:1]
	v_cndmask_b32_e64 v4, 0, 1, s[0:1]
	v_add_u32_e32 v6, v6, v4
; %bb.2048:
	s_or_b64 exec, exec, s[6:7]
	s_mov_b64 s[0:1], 0
	global_store_byte v[0:1], v6, off
.LBB23_2049:
	s_mov_b64 s[6:7], 0
.LBB23_2050:
	s_and_b64 vcc, exec, s[6:7]
	s_cbranch_vccz .LBB23_2053
; %bb.2051:
	v_cmp_eq_u16_e32 vcc, 29, v3
	s_mov_b64 s[0:1], -1
	s_cbranch_vccz .LBB23_2053
; %bb.2052:
	v_cvt_f32_f16_e32 v4, v2
	v_mov_b32_e32 v5, 0
	s_mov_b64 s[0:1], 0
	v_cvt_u32_f32_e32 v4, v4
	global_store_dwordx2 v[0:1], v[4:5], off
.LBB23_2053:
	s_mov_b64 s[6:7], 0
.LBB23_2054:
	s_and_b64 vcc, exec, s[6:7]
	s_cbranch_vccz .LBB23_2069
; %bb.2055:
	v_cmp_gt_i16_e32 vcc, 27, v3
	s_mov_b64 s[6:7], -1
	s_cbranch_vccnz .LBB23_2061
; %bb.2056:
	v_cmp_lt_i16_e32 vcc, 27, v3
	s_cbranch_vccz .LBB23_2058
; %bb.2057:
	v_cvt_f32_f16_e32 v4, v2
	s_mov_b64 s[6:7], 0
	v_cvt_u32_f32_e32 v4, v4
	global_store_dword v[0:1], v4, off
.LBB23_2058:
	s_andn2_b64 vcc, exec, s[6:7]
	s_cbranch_vccnz .LBB23_2060
; %bb.2059:
	v_cvt_u16_f16_e32 v4, v2
	global_store_short v[0:1], v4, off
.LBB23_2060:
	s_mov_b64 s[6:7], 0
.LBB23_2061:
	s_andn2_b64 vcc, exec, s[6:7]
	s_cbranch_vccnz .LBB23_2069
; %bb.2062:
	v_cvt_f32_f16_e32 v4, v2
	s_mov_b32 s6, 0x43800000
	v_mov_b32_e32 v6, 0x80
	v_and_b32_e32 v5, 0x7fffffff, v4
	v_cmp_gt_u32_e32 vcc, s6, v5
	s_and_saveexec_b64 s[6:7], vcc
	s_cbranch_execz .LBB23_2068
; %bb.2063:
	s_mov_b32 s8, 0x3bffffff
	v_cmp_lt_u32_e32 vcc, s8, v5
	s_mov_b64 s[8:9], 0
                                        ; implicit-def: $vgpr5
	s_and_saveexec_b64 s[10:11], vcc
	s_xor_b64 s[10:11], exec, s[10:11]
	s_cbranch_execz .LBB23_2163
; %bb.2064:
	v_bfe_u32 v5, v4, 20, 1
	s_mov_b32 s12, 0x487ffff
	v_add3_u32 v5, v4, v5, s12
	s_mov_b64 s[8:9], exec
	v_lshrrev_b32_e32 v5, 20, v5
	s_or_saveexec_b64 s[10:11], s[10:11]
                                        ; implicit-def: $sgpr12
	s_xor_b64 exec, exec, s[10:11]
	s_cbranch_execnz .LBB23_2164
.LBB23_2065:
	s_or_b64 exec, exec, s[10:11]
	v_mov_b32_e32 v6, s12
	s_and_saveexec_b64 s[10:11], s[8:9]
.LBB23_2066:
	v_lshrrev_b32_e32 v4, 24, v4
	s_movk_i32 s8, 0x80
	v_and_or_b32 v6, v4, s8, v5
.LBB23_2067:
	s_or_b64 exec, exec, s[10:11]
.LBB23_2068:
	s_or_b64 exec, exec, s[6:7]
	global_store_byte v[0:1], v6, off
.LBB23_2069:
	s_mov_b64 s[6:7], 0
.LBB23_2070:
	s_and_b64 vcc, exec, s[6:7]
	s_cbranch_vccz .LBB23_2110
; %bb.2071:
	v_cmp_lt_i16_e32 vcc, 22, v3
	s_mov_b64 s[4:5], -1
	s_cbranch_vccz .LBB23_2103
; %bb.2072:
	v_cmp_gt_i16_e32 vcc, 24, v3
	s_cbranch_vccnz .LBB23_2092
; %bb.2073:
	v_cmp_lt_i16_e32 vcc, 24, v3
	s_cbranch_vccz .LBB23_2081
; %bb.2074:
	v_cvt_f32_f16_e32 v4, v2
	s_mov_b32 s4, 0x47800000
	v_mov_b32_e32 v6, 0x80
	v_and_b32_e32 v5, 0x7fffffff, v4
	v_cmp_gt_u32_e32 vcc, s4, v5
	s_and_saveexec_b64 s[4:5], vcc
	s_cbranch_execz .LBB23_2080
; %bb.2075:
	s_mov_b32 s6, 0x37ffffff
	v_cmp_lt_u32_e32 vcc, s6, v5
	s_mov_b64 s[6:7], 0
                                        ; implicit-def: $vgpr5
	s_and_saveexec_b64 s[8:9], vcc
	s_xor_b64 s[8:9], exec, s[8:9]
	s_cbranch_execz .LBB23_2166
; %bb.2076:
	v_bfe_u32 v5, v4, 21, 1
	s_mov_b32 s10, 0x88fffff
	v_add3_u32 v5, v4, v5, s10
	s_mov_b64 s[6:7], exec
	v_lshrrev_b32_e32 v5, 21, v5
	s_or_saveexec_b64 s[8:9], s[8:9]
                                        ; implicit-def: $sgpr10
	s_xor_b64 exec, exec, s[8:9]
	s_cbranch_execnz .LBB23_2167
.LBB23_2077:
	s_or_b64 exec, exec, s[8:9]
	v_mov_b32_e32 v6, s10
	s_and_saveexec_b64 s[8:9], s[6:7]
.LBB23_2078:
	v_lshrrev_b32_e32 v4, 24, v4
	s_movk_i32 s6, 0x80
	v_and_or_b32 v6, v4, s6, v5
.LBB23_2079:
	s_or_b64 exec, exec, s[8:9]
.LBB23_2080:
	s_or_b64 exec, exec, s[4:5]
	s_mov_b64 s[4:5], 0
	global_store_byte v[0:1], v6, off
.LBB23_2081:
	s_and_b64 vcc, exec, s[4:5]
	s_cbranch_vccz .LBB23_2091
; %bb.2082:
	v_cvt_f32_f16_e32 v4, v2
	s_mov_b32 s4, 0x43f00000
                                        ; implicit-def: $vgpr5
	v_and_b32_e32 v6, 0x7fffffff, v4
	v_cmp_gt_u32_e32 vcc, s4, v6
	s_and_saveexec_b64 s[4:5], vcc
	s_xor_b64 s[4:5], exec, s[4:5]
	s_cbranch_execz .LBB23_2088
; %bb.2083:
	s_mov_b32 s6, 0x3c7fffff
	v_cmp_lt_u32_e32 vcc, s6, v6
                                        ; implicit-def: $vgpr5
	s_and_saveexec_b64 s[6:7], vcc
	s_xor_b64 s[6:7], exec, s[6:7]
; %bb.2084:
	v_bfe_u32 v5, v4, 20, 1
	s_mov_b32 s8, 0x407ffff
	v_add3_u32 v5, v4, v5, s8
	v_lshrrev_b32_e32 v6, 20, v5
	v_and_b32_e32 v5, 0xff00000, v5
	s_mov_b32 s8, 0x7f00000
	v_mov_b32_e32 v7, 0x7e
	v_cmp_ne_u32_e32 vcc, s8, v5
	v_cndmask_b32_e32 v5, v7, v6, vcc
; %bb.2085:
	s_andn2_saveexec_b64 s[6:7], s[6:7]
; %bb.2086:
	s_mov_b32 s8, 0x46800000
	v_add_f32_e64 v5, |v4|, s8
; %bb.2087:
	s_or_b64 exec, exec, s[6:7]
                                        ; implicit-def: $vgpr6
.LBB23_2088:
	s_andn2_saveexec_b64 s[4:5], s[4:5]
; %bb.2089:
	s_mov_b32 s6, 0x7f800000
	v_mov_b32_e32 v5, 0x7e
	v_mov_b32_e32 v7, 0x7f
	v_cmp_lt_u32_e32 vcc, s6, v6
	v_cndmask_b32_e32 v5, v5, v7, vcc
; %bb.2090:
	s_or_b64 exec, exec, s[4:5]
	v_lshrrev_b32_e32 v4, 24, v4
	s_movk_i32 s4, 0x80
	v_and_or_b32 v4, v4, s4, v5
	global_store_byte v[0:1], v4, off
.LBB23_2091:
	s_mov_b64 s[4:5], 0
.LBB23_2092:
	s_andn2_b64 vcc, exec, s[4:5]
	s_cbranch_vccnz .LBB23_2102
; %bb.2093:
	v_cvt_f32_f16_e32 v4, v2
	s_mov_b32 s4, 0x47800000
                                        ; implicit-def: $vgpr5
	v_and_b32_e32 v6, 0x7fffffff, v4
	v_cmp_gt_u32_e32 vcc, s4, v6
	s_and_saveexec_b64 s[4:5], vcc
	s_xor_b64 s[4:5], exec, s[4:5]
	s_cbranch_execz .LBB23_2099
; %bb.2094:
	s_mov_b32 s6, 0x387fffff
	v_cmp_lt_u32_e32 vcc, s6, v6
                                        ; implicit-def: $vgpr5
	s_and_saveexec_b64 s[6:7], vcc
	s_xor_b64 s[6:7], exec, s[6:7]
; %bb.2095:
	v_bfe_u32 v5, v4, 21, 1
	s_mov_b32 s8, 0x80fffff
	v_add3_u32 v5, v4, v5, s8
	v_lshrrev_b32_e32 v5, 21, v5
; %bb.2096:
	s_andn2_saveexec_b64 s[6:7], s[6:7]
; %bb.2097:
	s_mov_b32 s8, 0x43000000
	v_add_f32_e64 v5, |v4|, s8
; %bb.2098:
	s_or_b64 exec, exec, s[6:7]
                                        ; implicit-def: $vgpr6
.LBB23_2099:
	s_andn2_saveexec_b64 s[4:5], s[4:5]
; %bb.2100:
	s_mov_b32 s6, 0x7f800000
	v_mov_b32_e32 v5, 0x7c
	v_mov_b32_e32 v7, 0x7f
	v_cmp_lt_u32_e32 vcc, s6, v6
	v_cndmask_b32_e32 v5, v5, v7, vcc
; %bb.2101:
	s_or_b64 exec, exec, s[4:5]
	v_lshrrev_b32_e32 v4, 24, v4
	s_movk_i32 s4, 0x80
	v_and_or_b32 v4, v4, s4, v5
	global_store_byte v[0:1], v4, off
.LBB23_2102:
	s_mov_b64 s[4:5], 0
.LBB23_2103:
	s_andn2_b64 vcc, exec, s[4:5]
	s_mov_b64 s[4:5], 0
	s_cbranch_vccnz .LBB23_2110
; %bb.2104:
	v_cmp_lt_i16_e32 vcc, 14, v3
	s_mov_b64 s[6:7], -1
	s_cbranch_vccz .LBB23_2108
; %bb.2105:
	v_cmp_eq_u16_e32 vcc, 15, v3
	s_mov_b64 s[0:1], -1
	s_cbranch_vccz .LBB23_2107
; %bb.2106:
	v_cvt_f32_f16_e32 v4, v2
	s_movk_i32 s0, 0x7fff
	v_mov_b32_e32 v5, 0x7fc0
	v_cmp_o_f16_e32 vcc, v2, v2
	v_bfe_u32 v6, v4, 16, 1
	v_add3_u32 v4, v4, v6, s0
	v_lshrrev_b32_e32 v4, 16, v4
	v_cndmask_b32_e32 v4, v5, v4, vcc
	global_store_short v[0:1], v4, off
	s_mov_b64 s[0:1], 0
.LBB23_2107:
	s_mov_b64 s[6:7], 0
.LBB23_2108:
	s_and_b64 vcc, exec, s[6:7]
	s_cbranch_vccz .LBB23_2110
; %bb.2109:
	v_cmp_ne_u16_e64 s[0:1], 11, v3
	s_mov_b64 s[4:5], -1
.LBB23_2110:
	s_and_b64 vcc, exec, s[0:1]
	s_cbranch_vccnz .LBB23_2165
.LBB23_2111:
	s_mov_b64 s[0:1], 0
	s_branch .LBB23_2113
.LBB23_2112:
	s_mov_b64 s[0:1], 0
	s_mov_b64 s[4:5], 0
                                        ; implicit-def: $vgpr0_vgpr1
                                        ; implicit-def: $vgpr3
                                        ; implicit-def: $vgpr2
.LBB23_2113:
	s_and_b64 s[6:7], s[4:5], exec
	s_andn2_b64 s[4:5], s[28:29], exec
	s_and_b64 s[2:3], s[2:3], exec
	s_and_b64 s[0:1], s[0:1], exec
	s_or_b64 s[28:29], s[4:5], s[2:3]
.LBB23_2114:
	s_or_b64 exec, exec, s[30:31]
	s_and_saveexec_b64 s[2:3], s[28:29]
	s_cbranch_execz .LBB23_2117
; %bb.2115:
	; divergent unreachable
	s_or_b64 exec, exec, s[2:3]
	s_and_saveexec_b64 s[2:3], s[6:7]
	s_xor_b64 s[2:3], exec, s[2:3]
	s_cbranch_execnz .LBB23_2118
.LBB23_2116:
	s_or_b64 exec, exec, s[2:3]
	s_and_saveexec_b64 s[2:3], s[0:1]
	s_cbranch_execnz .LBB23_2119
	s_branch .LBB23_2156
.LBB23_2117:
	s_or_b64 exec, exec, s[2:3]
	s_and_saveexec_b64 s[2:3], s[6:7]
	s_xor_b64 s[2:3], exec, s[2:3]
	s_cbranch_execz .LBB23_2116
.LBB23_2118:
	v_and_b32_e32 v4, 0x7fff, v2
	v_cmp_ne_u16_e32 vcc, 0, v4
	v_cndmask_b32_e64 v4, 0, 1, vcc
	s_waitcnt vmcnt(0)
	global_store_byte v[0:1], v4, off
	s_or_b64 exec, exec, s[2:3]
	s_and_saveexec_b64 s[2:3], s[0:1]
	s_cbranch_execz .LBB23_2156
.LBB23_2119:
	s_waitcnt vmcnt(0)
	v_cmp_gt_i16_e32 vcc, 5, v3
	s_mov_b64 s[0:1], -1
	s_cbranch_vccnz .LBB23_2140
; %bb.2120:
	v_cmp_gt_i16_e32 vcc, 8, v3
	s_cbranch_vccnz .LBB23_2130
; %bb.2121:
	v_cmp_gt_i16_e32 vcc, 9, v3
	s_cbranch_vccnz .LBB23_2127
; %bb.2122:
	v_cmp_lt_i16_e32 vcc, 9, v3
	s_cbranch_vccz .LBB23_2124
; %bb.2123:
	v_cvt_f32_f16_e32 v4, v2
	v_mov_b32_e32 v6, 0
	v_mov_b32_e32 v7, v6
	s_mov_b64 s[0:1], 0
	v_cvt_f64_f32_e32 v[4:5], v4
	global_store_dwordx4 v[0:1], v[4:7], off
.LBB23_2124:
	s_andn2_b64 vcc, exec, s[0:1]
	s_cbranch_vccnz .LBB23_2126
; %bb.2125:
	v_cvt_f32_f16_e32 v4, v2
	v_mov_b32_e32 v5, 0
	global_store_dwordx2 v[0:1], v[4:5], off
.LBB23_2126:
	s_mov_b64 s[0:1], 0
.LBB23_2127:
	s_andn2_b64 vcc, exec, s[0:1]
	s_cbranch_vccnz .LBB23_2129
; %bb.2128:
	v_and_b32_e32 v4, 0xffff, v2
	global_store_dword v[0:1], v4, off
.LBB23_2129:
	s_mov_b64 s[0:1], 0
.LBB23_2130:
	s_andn2_b64 vcc, exec, s[0:1]
	s_cbranch_vccnz .LBB23_2139
; %bb.2131:
	v_cmp_gt_i16_e32 vcc, 6, v3
	s_mov_b64 s[0:1], -1
	s_cbranch_vccnz .LBB23_2137
; %bb.2132:
	v_cmp_lt_i16_e32 vcc, 6, v3
	s_cbranch_vccz .LBB23_2134
; %bb.2133:
	v_cvt_f32_f16_e32 v4, v2
	s_mov_b64 s[0:1], 0
	v_cvt_f64_f32_e32 v[4:5], v4
	global_store_dwordx2 v[0:1], v[4:5], off
.LBB23_2134:
	s_andn2_b64 vcc, exec, s[0:1]
	s_cbranch_vccnz .LBB23_2136
; %bb.2135:
	v_cvt_f32_f16_e32 v4, v2
	global_store_dword v[0:1], v4, off
.LBB23_2136:
	s_mov_b64 s[0:1], 0
.LBB23_2137:
	s_andn2_b64 vcc, exec, s[0:1]
	s_cbranch_vccnz .LBB23_2139
; %bb.2138:
	global_store_short v[0:1], v2, off
.LBB23_2139:
	s_mov_b64 s[0:1], 0
.LBB23_2140:
	s_andn2_b64 vcc, exec, s[0:1]
	s_cbranch_vccnz .LBB23_2156
; %bb.2141:
	v_cmp_gt_i16_e32 vcc, 2, v3
	s_mov_b64 s[0:1], -1
	s_cbranch_vccnz .LBB23_2151
; %bb.2142:
	v_cmp_gt_i16_e32 vcc, 3, v3
	s_cbranch_vccnz .LBB23_2148
; %bb.2143:
	v_cmp_lt_i16_e32 vcc, 3, v3
	s_cbranch_vccz .LBB23_2145
; %bb.2144:
	v_cvt_f32_f16_e32 v4, v2
	s_mov_b64 s[0:1], 0
	v_cvt_i32_f32_e32 v4, v4
	v_ashrrev_i32_e32 v5, 31, v4
	global_store_dwordx2 v[0:1], v[4:5], off
.LBB23_2145:
	s_andn2_b64 vcc, exec, s[0:1]
	s_cbranch_vccnz .LBB23_2147
; %bb.2146:
	v_cvt_f32_f16_e32 v4, v2
	v_cvt_i32_f32_e32 v4, v4
	global_store_dword v[0:1], v4, off
.LBB23_2147:
	s_mov_b64 s[0:1], 0
.LBB23_2148:
	s_andn2_b64 vcc, exec, s[0:1]
	s_cbranch_vccnz .LBB23_2150
; %bb.2149:
	v_cvt_i16_f16_e32 v4, v2
	global_store_short v[0:1], v4, off
.LBB23_2150:
	s_mov_b64 s[0:1], 0
.LBB23_2151:
	s_andn2_b64 vcc, exec, s[0:1]
	s_cbranch_vccnz .LBB23_2156
; %bb.2152:
	v_cmp_lt_i16_e32 vcc, 0, v3
	s_mov_b64 s[0:1], -1
	s_cbranch_vccz .LBB23_2154
; %bb.2153:
	v_cvt_i16_f16_e32 v3, v2
	global_store_byte v[0:1], v3, off
	s_mov_b64 s[0:1], 0
.LBB23_2154:
	s_andn2_b64 vcc, exec, s[0:1]
	s_cbranch_vccnz .LBB23_2156
; %bb.2155:
	v_cvt_f32_f16_e32 v2, v2
	v_cvt_i32_f32_e32 v2, v2
	global_store_byte v[0:1], v2, off
	s_endpgm
.LBB23_2156:
	s_endpgm
.LBB23_2157:
	s_mov_b64 s[4:5], 0
	s_mov_b64 s[0:1], -1
	s_branch .LBB23_2113
.LBB23_2158:
	s_or_saveexec_b64 s[12:13], s[12:13]
                                        ; implicit-def: $sgpr16
	s_xor_b64 exec, exec, s[12:13]
	s_cbranch_execz .LBB23_1946
.LBB23_2159:
	s_mov_b32 s16, 0x46000000
	v_add_f32_e64 v5, |v4|, s16
	v_and_b32_e32 v5, 0xff, v5
	v_cmp_ne_u32_e32 vcc, 0, v5
	s_andn2_b64 s[10:11], s[10:11], exec
	s_and_b64 s[18:19], vcc, exec
	s_mov_b32 s16, 0
	s_or_b64 s[10:11], s[10:11], s[18:19]
	s_or_b64 exec, exec, s[12:13]
	v_mov_b32_e32 v6, s16
	s_and_saveexec_b64 s[12:13], s[10:11]
	s_cbranch_execnz .LBB23_1947
	s_branch .LBB23_1948
.LBB23_2160:
	s_trap 2
	s_or_b64 s[2:3], s[2:3], exec
	s_cbranch_execz .LBB23_1994
	s_branch .LBB23_1995
.LBB23_2161:
	s_or_saveexec_b64 s[10:11], s[10:11]
                                        ; implicit-def: $sgpr12
	s_xor_b64 exec, exec, s[10:11]
	s_cbranch_execz .LBB23_1959
.LBB23_2162:
	s_mov_b32 s12, 0x42800000
	v_add_f32_e64 v5, |v4|, s12
	v_and_b32_e32 v5, 0xff, v5
	v_cmp_ne_u32_e32 vcc, 0, v5
	s_andn2_b64 s[6:7], s[6:7], exec
	s_and_b64 s[16:17], vcc, exec
	s_mov_b32 s12, 0
	s_or_b64 s[6:7], s[6:7], s[16:17]
	s_or_b64 exec, exec, s[10:11]
	v_mov_b32_e32 v6, s12
	s_and_saveexec_b64 s[10:11], s[6:7]
	s_cbranch_execnz .LBB23_1960
	s_branch .LBB23_1961
.LBB23_2163:
	s_or_saveexec_b64 s[10:11], s[10:11]
                                        ; implicit-def: $sgpr12
	s_xor_b64 exec, exec, s[10:11]
	s_cbranch_execz .LBB23_2065
.LBB23_2164:
	s_mov_b32 s12, 0x46000000
	v_add_f32_e64 v5, |v4|, s12
	v_and_b32_e32 v5, 0xff, v5
	v_cmp_ne_u32_e32 vcc, 0, v5
	s_andn2_b64 s[8:9], s[8:9], exec
	s_and_b64 s[14:15], vcc, exec
	s_mov_b32 s12, 0
	s_or_b64 s[8:9], s[8:9], s[14:15]
	s_or_b64 exec, exec, s[10:11]
	v_mov_b32_e32 v6, s12
	s_and_saveexec_b64 s[10:11], s[8:9]
	s_cbranch_execnz .LBB23_2066
	s_branch .LBB23_2067
.LBB23_2165:
	s_mov_b64 s[4:5], 0
	s_or_b64 s[2:3], s[2:3], exec
	s_trap 2
	s_branch .LBB23_2111
.LBB23_2166:
	s_or_saveexec_b64 s[8:9], s[8:9]
                                        ; implicit-def: $sgpr10
	s_xor_b64 exec, exec, s[8:9]
	s_cbranch_execz .LBB23_2077
.LBB23_2167:
	s_mov_b32 s10, 0x42800000
	v_add_f32_e64 v5, |v4|, s10
	v_and_b32_e32 v5, 0xff, v5
	v_cmp_ne_u32_e32 vcc, 0, v5
	s_andn2_b64 s[6:7], s[6:7], exec
	s_and_b64 s[12:13], vcc, exec
	s_mov_b32 s10, 0
	s_or_b64 s[6:7], s[6:7], s[12:13]
	s_or_b64 exec, exec, s[8:9]
	v_mov_b32_e32 v6, s10
	s_and_saveexec_b64 s[8:9], s[6:7]
	s_cbranch_execnz .LBB23_2078
	s_branch .LBB23_2079
	.section	.rodata,"a",@progbits
	.p2align	6, 0x0
	.amdhsa_kernel _ZN2at6native32elementwise_kernel_manual_unrollILi128ELi4EZNS0_15gpu_kernel_implIZZZNS0_12_GLOBAL__N_117hardshrink_kernelERNS_18TensorIteratorBaseERKN3c106ScalarEENKUlvE_clEvENKUlvE1_clEvEUlNS6_4HalfEE_EEvS5_RKT_EUlibE0_EEviT1_
		.amdhsa_group_segment_fixed_size 0
		.amdhsa_private_segment_fixed_size 0
		.amdhsa_kernarg_size 360
		.amdhsa_user_sgpr_count 6
		.amdhsa_user_sgpr_private_segment_buffer 1
		.amdhsa_user_sgpr_dispatch_ptr 0
		.amdhsa_user_sgpr_queue_ptr 0
		.amdhsa_user_sgpr_kernarg_segment_ptr 1
		.amdhsa_user_sgpr_dispatch_id 0
		.amdhsa_user_sgpr_flat_scratch_init 0
		.amdhsa_user_sgpr_kernarg_preload_length 0
		.amdhsa_user_sgpr_kernarg_preload_offset 0
		.amdhsa_user_sgpr_private_segment_size 0
		.amdhsa_uses_dynamic_stack 0
		.amdhsa_system_sgpr_private_segment_wavefront_offset 0
		.amdhsa_system_sgpr_workgroup_id_x 1
		.amdhsa_system_sgpr_workgroup_id_y 0
		.amdhsa_system_sgpr_workgroup_id_z 0
		.amdhsa_system_sgpr_workgroup_info 0
		.amdhsa_system_vgpr_workitem_id 0
		.amdhsa_next_free_vgpr 18
		.amdhsa_next_free_sgpr 79
		.amdhsa_accum_offset 20
		.amdhsa_reserve_vcc 1
		.amdhsa_reserve_flat_scratch 0
		.amdhsa_float_round_mode_32 0
		.amdhsa_float_round_mode_16_64 0
		.amdhsa_float_denorm_mode_32 3
		.amdhsa_float_denorm_mode_16_64 3
		.amdhsa_dx10_clamp 1
		.amdhsa_ieee_mode 1
		.amdhsa_fp16_overflow 0
		.amdhsa_tg_split 0
		.amdhsa_exception_fp_ieee_invalid_op 0
		.amdhsa_exception_fp_denorm_src 0
		.amdhsa_exception_fp_ieee_div_zero 0
		.amdhsa_exception_fp_ieee_overflow 0
		.amdhsa_exception_fp_ieee_underflow 0
		.amdhsa_exception_fp_ieee_inexact 0
		.amdhsa_exception_int_div_zero 0
	.end_amdhsa_kernel
	.section	.text._ZN2at6native32elementwise_kernel_manual_unrollILi128ELi4EZNS0_15gpu_kernel_implIZZZNS0_12_GLOBAL__N_117hardshrink_kernelERNS_18TensorIteratorBaseERKN3c106ScalarEENKUlvE_clEvENKUlvE1_clEvEUlNS6_4HalfEE_EEvS5_RKT_EUlibE0_EEviT1_,"axG",@progbits,_ZN2at6native32elementwise_kernel_manual_unrollILi128ELi4EZNS0_15gpu_kernel_implIZZZNS0_12_GLOBAL__N_117hardshrink_kernelERNS_18TensorIteratorBaseERKN3c106ScalarEENKUlvE_clEvENKUlvE1_clEvEUlNS6_4HalfEE_EEvS5_RKT_EUlibE0_EEviT1_,comdat
.Lfunc_end23:
	.size	_ZN2at6native32elementwise_kernel_manual_unrollILi128ELi4EZNS0_15gpu_kernel_implIZZZNS0_12_GLOBAL__N_117hardshrink_kernelERNS_18TensorIteratorBaseERKN3c106ScalarEENKUlvE_clEvENKUlvE1_clEvEUlNS6_4HalfEE_EEvS5_RKT_EUlibE0_EEviT1_, .Lfunc_end23-_ZN2at6native32elementwise_kernel_manual_unrollILi128ELi4EZNS0_15gpu_kernel_implIZZZNS0_12_GLOBAL__N_117hardshrink_kernelERNS_18TensorIteratorBaseERKN3c106ScalarEENKUlvE_clEvENKUlvE1_clEvEUlNS6_4HalfEE_EEvS5_RKT_EUlibE0_EEviT1_
                                        ; -- End function
	.section	.AMDGPU.csdata,"",@progbits
; Kernel info:
; codeLenInByte = 40984
; NumSgprs: 83
; NumVgprs: 18
; NumAgprs: 0
; TotalNumVgprs: 18
; ScratchSize: 0
; MemoryBound: 0
; FloatMode: 240
; IeeeMode: 1
; LDSByteSize: 0 bytes/workgroup (compile time only)
; SGPRBlocks: 10
; VGPRBlocks: 2
; NumSGPRsForWavesPerEU: 83
; NumVGPRsForWavesPerEU: 18
; AccumOffset: 20
; Occupancy: 8
; WaveLimiterHint : 1
; COMPUTE_PGM_RSRC2:SCRATCH_EN: 0
; COMPUTE_PGM_RSRC2:USER_SGPR: 6
; COMPUTE_PGM_RSRC2:TRAP_HANDLER: 0
; COMPUTE_PGM_RSRC2:TGID_X_EN: 1
; COMPUTE_PGM_RSRC2:TGID_Y_EN: 0
; COMPUTE_PGM_RSRC2:TGID_Z_EN: 0
; COMPUTE_PGM_RSRC2:TIDIG_COMP_CNT: 0
; COMPUTE_PGM_RSRC3_GFX90A:ACCUM_OFFSET: 4
; COMPUTE_PGM_RSRC3_GFX90A:TG_SPLIT: 0
	.section	.text._ZN2at6native29vectorized_elementwise_kernelILi16EZZZNS0_12_GLOBAL__N_117hardshrink_kernelERNS_18TensorIteratorBaseERKN3c106ScalarEENKUlvE_clEvENKUlvE2_clEvEUlNS5_8BFloat16EE_St5arrayIPcLm2EEEEviT0_T1_,"axG",@progbits,_ZN2at6native29vectorized_elementwise_kernelILi16EZZZNS0_12_GLOBAL__N_117hardshrink_kernelERNS_18TensorIteratorBaseERKN3c106ScalarEENKUlvE_clEvENKUlvE2_clEvEUlNS5_8BFloat16EE_St5arrayIPcLm2EEEEviT0_T1_,comdat
	.globl	_ZN2at6native29vectorized_elementwise_kernelILi16EZZZNS0_12_GLOBAL__N_117hardshrink_kernelERNS_18TensorIteratorBaseERKN3c106ScalarEENKUlvE_clEvENKUlvE2_clEvEUlNS5_8BFloat16EE_St5arrayIPcLm2EEEEviT0_T1_ ; -- Begin function _ZN2at6native29vectorized_elementwise_kernelILi16EZZZNS0_12_GLOBAL__N_117hardshrink_kernelERNS_18TensorIteratorBaseERKN3c106ScalarEENKUlvE_clEvENKUlvE2_clEvEUlNS5_8BFloat16EE_St5arrayIPcLm2EEEEviT0_T1_
	.p2align	8
	.type	_ZN2at6native29vectorized_elementwise_kernelILi16EZZZNS0_12_GLOBAL__N_117hardshrink_kernelERNS_18TensorIteratorBaseERKN3c106ScalarEENKUlvE_clEvENKUlvE2_clEvEUlNS5_8BFloat16EE_St5arrayIPcLm2EEEEviT0_T1_,@function
_ZN2at6native29vectorized_elementwise_kernelILi16EZZZNS0_12_GLOBAL__N_117hardshrink_kernelERNS_18TensorIteratorBaseERKN3c106ScalarEENKUlvE_clEvENKUlvE2_clEvEUlNS5_8BFloat16EE_St5arrayIPcLm2EEEEviT0_T1_: ; @_ZN2at6native29vectorized_elementwise_kernelILi16EZZZNS0_12_GLOBAL__N_117hardshrink_kernelERNS_18TensorIteratorBaseERKN3c106ScalarEENKUlvE_clEvENKUlvE2_clEvEUlNS5_8BFloat16EE_St5arrayIPcLm2EEEEviT0_T1_
; %bb.0:
	s_load_dwordx2 s[34:35], s[4:5], 0x0
	s_load_dwordx4 s[36:39], s[4:5], 0x8
	s_lshl_b32 s30, s6, 11
	s_mov_b64 s[0:1], -1
	s_waitcnt lgkmcnt(0)
	s_sub_i32 s33, s34, s30
	s_cmpk_gt_i32 s33, 0x7ff
	s_cbranch_scc0 .LBB24_2
; %bb.1:
	s_ashr_i32 s31, s30, 31
	s_lshl_b64 s[0:1], s[30:31], 1
	s_add_u32 s2, s38, s0
	s_addc_u32 s3, s39, s1
	v_lshlrev_b32_e32 v1, 4, v0
	global_load_dwordx4 v[2:5], v1, s[2:3]
	s_lshl_b32 s28, s35, 16
	s_xor_b32 s2, s28, 0x80000000
	s_bfe_u32 s3, s2, 0x10010
	s_add_i32 s2, s2, s3
	s_addk_i32 s2, 0x7fff
	s_and_b32 s2, s2, 0xffff0000
	v_mov_b32_e32 v6, 0x7fc00000
	v_mov_b32_e32 v7, s2
	v_cmp_o_f32_e64 vcc, s28, s28
	v_cndmask_b32_e32 v6, v6, v7, vcc
	s_add_u32 s40, s36, s0
	s_addc_u32 s41, s37, s1
	s_mov_b32 s31, 0x5040100
	s_waitcnt vmcnt(0)
	v_and_b32_e32 v12, 0xffff0000, v2
	v_lshlrev_b32_e32 v11, 16, v2
	v_cmp_nle_f32_e32 vcc, v6, v12
	v_cmp_nge_f32_e64 s[6:7], s28, v12
	v_lshrrev_b32_e32 v8, 16, v2
	v_lshlrev_b32_e32 v9, 16, v3
	v_and_b32_e32 v10, 0xffff0000, v3
	v_lshlrev_b32_e32 v15, 16, v5
	v_and_b32_e32 v16, 0xffff0000, v5
	;; [unrolled: 2-line block ×3, first 2 shown]
	v_cmp_nle_f32_e64 s[0:1], v6, v11
	v_cmp_nge_f32_e64 s[8:9], s28, v11
	s_or_b64 vcc, s[6:7], vcc
	v_cmp_nle_f32_e64 s[2:3], v6, v10
	v_cmp_nle_f32_e64 s[4:5], v6, v9
	v_cmp_nge_f32_e64 s[10:11], s28, v10
	v_cmp_nle_f32_e64 s[14:15], v6, v18
	v_cmp_nle_f32_e64 s[16:17], v6, v17
	;; [unrolled: 1-line block ×4, first 2 shown]
	v_cndmask_b32_e32 v6, 0, v8, vcc
	s_or_b64 vcc, s[8:9], s[0:1]
	v_lshrrev_b32_e32 v7, 16, v3
	v_cmp_nge_f32_e64 s[12:13], s28, v9
	v_cndmask_b32_e32 v2, 0, v2, vcc
	s_or_b64 vcc, s[10:11], s[2:3]
	v_cmp_nge_f32_e64 s[22:23], s28, v18
	v_cndmask_b32_e32 v7, 0, v7, vcc
	s_or_b64 vcc, s[12:13], s[4:5]
	v_lshrrev_b32_e32 v14, 16, v4
	v_cmp_nge_f32_e64 s[24:25], s28, v17
	v_cndmask_b32_e32 v3, 0, v3, vcc
	s_or_b64 vcc, s[22:23], s[14:15]
	v_cmp_nge_f32_e64 s[26:27], s28, v16
	v_cndmask_b32_e32 v8, 0, v14, vcc
	s_or_b64 vcc, s[24:25], s[16:17]
	v_lshrrev_b32_e32 v13, 16, v5
	v_cmp_nge_f32_e64 s[28:29], s28, v15
	v_cndmask_b32_e32 v4, 0, v4, vcc
	s_or_b64 vcc, s[26:27], s[18:19]
	v_cndmask_b32_e32 v9, 0, v13, vcc
	s_or_b64 vcc, s[28:29], s[20:21]
	v_cndmask_b32_e32 v5, 0, v5, vcc
	v_perm_b32 v5, v9, v5, s31
	v_perm_b32 v4, v8, v4, s31
	;; [unrolled: 1-line block ×4, first 2 shown]
	global_store_dwordx4 v1, v[2:5], s[40:41]
	s_mov_b64 s[0:1], 0
.LBB24_2:
	s_andn2_b64 vcc, exec, s[0:1]
	s_cbranch_vccnz .LBB24_28
; %bb.3:
	v_cmp_gt_i32_e32 vcc, s33, v0
	v_mov_b32_e32 v5, 0
	v_or_b32_e32 v2, s30, v0
	v_mov_b32_e32 v7, 0
	v_mov_b32_e32 v3, v0
	s_and_saveexec_b64 s[2:3], vcc
	s_cbranch_execz .LBB24_5
; %bb.4:
	v_mov_b32_e32 v3, 0
	v_lshlrev_b64 v[6:7], 1, v[2:3]
	v_mov_b32_e32 v1, s39
	v_add_co_u32_e64 v6, s[0:1], s38, v6
	v_addc_co_u32_e64 v7, s[0:1], v1, v7, s[0:1]
	global_load_ushort v7, v[6:7], off
	v_or_b32_e32 v3, 0x100, v0
.LBB24_5:
	s_or_b64 exec, exec, s[2:3]
	v_cmp_gt_i32_e64 s[0:1], s33, v3
	s_and_saveexec_b64 s[2:3], s[0:1]
	s_cbranch_execz .LBB24_7
; %bb.6:
	v_add_u32_e32 v4, s30, v3
	v_mov_b32_e32 v5, 0
	v_lshlrev_b64 v[4:5], 1, v[4:5]
	v_mov_b32_e32 v1, s39
	v_add_co_u32_e64 v4, s[0:1], s38, v4
	v_addc_co_u32_e64 v5, s[0:1], v1, v5, s[0:1]
	global_load_ushort v5, v[4:5], off
	v_add_u32_e32 v3, 0x100, v3
.LBB24_7:
	s_or_b64 exec, exec, s[2:3]
	v_cmp_gt_i32_e64 s[0:1], s33, v3
	v_mov_b32_e32 v6, 0
	v_mov_b32_e32 v10, 0
	s_and_saveexec_b64 s[2:3], s[0:1]
	s_cbranch_execz .LBB24_9
; %bb.8:
	v_add_u32_e32 v8, s30, v3
	v_mov_b32_e32 v9, 0
	v_lshlrev_b64 v[8:9], 1, v[8:9]
	v_mov_b32_e32 v1, s39
	v_add_co_u32_e64 v8, s[0:1], s38, v8
	v_addc_co_u32_e64 v9, s[0:1], v1, v9, s[0:1]
	global_load_ushort v10, v[8:9], off
	v_add_u32_e32 v3, 0x100, v3
.LBB24_9:
	s_or_b64 exec, exec, s[2:3]
	v_cmp_gt_i32_e64 s[0:1], s33, v3
	s_and_saveexec_b64 s[2:3], s[0:1]
	s_cbranch_execz .LBB24_11
; %bb.10:
	v_add_u32_e32 v8, s30, v3
	v_mov_b32_e32 v9, 0
	v_lshlrev_b64 v[8:9], 1, v[8:9]
	v_mov_b32_e32 v1, s39
	v_add_co_u32_e64 v8, s[0:1], s38, v8
	v_addc_co_u32_e64 v9, s[0:1], v1, v9, s[0:1]
	global_load_ushort v6, v[8:9], off
	v_add_u32_e32 v3, 0x100, v3
.LBB24_11:
	s_or_b64 exec, exec, s[2:3]
	v_cmp_gt_i32_e64 s[0:1], s33, v3
	v_mov_b32_e32 v4, 0
	v_mov_b32_e32 v9, 0
	s_and_saveexec_b64 s[2:3], s[0:1]
	s_cbranch_execz .LBB24_13
; %bb.12:
	v_add_u32_e32 v8, s30, v3
	v_mov_b32_e32 v9, 0
	v_lshlrev_b64 v[8:9], 1, v[8:9]
	v_mov_b32_e32 v1, s39
	v_add_co_u32_e64 v8, s[0:1], s38, v8
	v_addc_co_u32_e64 v9, s[0:1], v1, v9, s[0:1]
	global_load_ushort v9, v[8:9], off
	v_add_u32_e32 v3, 0x100, v3
.LBB24_13:
	;; [unrolled: 30-line block ×3, first 2 shown]
	s_or_b64 exec, exec, s[2:3]
	v_cmp_gt_i32_e64 s[0:1], s33, v3
	s_and_saveexec_b64 s[2:3], s[0:1]
	s_cbranch_execz .LBB24_19
; %bb.18:
	v_add_u32_e32 v12, s30, v3
	v_mov_b32_e32 v13, 0
	v_lshlrev_b64 v[12:13], 1, v[12:13]
	v_mov_b32_e32 v1, s39
	v_add_co_u32_e64 v12, s[0:1], s38, v12
	v_addc_co_u32_e64 v13, s[0:1], v1, v13, s[0:1]
	global_load_ushort v1, v[12:13], off
.LBB24_19:
	s_or_b64 exec, exec, s[2:3]
	s_lshl_b32 s0, s35, 16
	s_xor_b32 s1, s0, 0x80000000
	s_bfe_u32 s2, s1, 0x10010
	s_add_i32 s1, s1, s2
	s_addk_i32 s1, 0x7fff
	s_and_b32 s1, s1, 0xffff0000
	v_mov_b32_e32 v11, s0
	v_mov_b32_e32 v3, 0x7fc00000
	;; [unrolled: 1-line block ×3, first 2 shown]
	v_cmp_o_f32_e64 s[0:1], s0, s0
	v_cndmask_b32_e64 v12, v3, v12, s[0:1]
	s_and_saveexec_b64 s[2:3], vcc
	s_cbranch_execnz .LBB24_29
; %bb.20:
	s_or_b64 exec, exec, s[2:3]
	v_cmp_gt_i32_e32 vcc, s33, v0
	s_and_saveexec_b64 s[2:3], vcc
	s_cbranch_execnz .LBB24_30
.LBB24_21:
	s_or_b64 exec, exec, s[2:3]
	v_cmp_gt_i32_e32 vcc, s33, v0
	s_and_saveexec_b64 s[2:3], vcc
	s_cbranch_execnz .LBB24_31
.LBB24_22:
	s_or_b64 exec, exec, s[2:3]
	v_cmp_gt_i32_e32 vcc, s33, v0
	s_and_saveexec_b64 s[2:3], vcc
	s_cbranch_execnz .LBB24_32
.LBB24_23:
	s_or_b64 exec, exec, s[2:3]
	v_cmp_gt_i32_e32 vcc, s33, v0
	s_and_saveexec_b64 s[2:3], vcc
	s_cbranch_execnz .LBB24_33
.LBB24_24:
	s_or_b64 exec, exec, s[2:3]
	v_cmp_gt_i32_e32 vcc, s33, v0
	s_and_saveexec_b64 s[2:3], vcc
	s_cbranch_execnz .LBB24_34
.LBB24_25:
	s_or_b64 exec, exec, s[2:3]
	v_cmp_gt_i32_e32 vcc, s33, v0
	s_and_saveexec_b64 s[2:3], vcc
	s_cbranch_execnz .LBB24_35
.LBB24_26:
	s_or_b64 exec, exec, s[2:3]
	v_cmp_gt_i32_e32 vcc, s33, v0
	s_and_saveexec_b64 s[0:1], vcc
	s_cbranch_execz .LBB24_28
.LBB24_27:
	s_waitcnt vmcnt(0)
	v_lshlrev_b32_e32 v2, 16, v1
	v_cmp_nle_f32_e32 vcc, v12, v2
	v_cmp_nle_f32_e64 s[0:1], v2, v11
	s_or_b64 vcc, s[0:1], vcc
	v_cndmask_b32_e32 v2, 0, v1, vcc
	v_add_u32_e32 v0, s30, v0
	v_mov_b32_e32 v1, 0
	v_lshlrev_b64 v[0:1], 1, v[0:1]
	v_mov_b32_e32 v3, s37
	v_add_co_u32_e32 v0, vcc, s36, v0
	v_addc_co_u32_e32 v1, vcc, v3, v1, vcc
	global_store_short v[0:1], v2, off
.LBB24_28:
	s_endpgm
.LBB24_29:
	v_mov_b32_e32 v3, 0
	v_lshlrev_b64 v[2:3], 1, v[2:3]
	v_mov_b32_e32 v13, s37
	v_add_co_u32_e32 v2, vcc, s36, v2
	v_addc_co_u32_e32 v3, vcc, v13, v3, vcc
	s_waitcnt vmcnt(0)
	v_lshlrev_b32_e32 v13, 16, v7
	v_cmp_nge_f32_e32 vcc, v11, v13
	v_cmp_nle_f32_e64 s[0:1], v12, v13
	s_or_b64 vcc, vcc, s[0:1]
	v_or_b32_e32 v0, 0x100, v0
	v_cndmask_b32_e32 v7, 0, v7, vcc
	global_store_short v[2:3], v7, off
	s_or_b64 exec, exec, s[2:3]
	v_cmp_gt_i32_e32 vcc, s33, v0
	s_and_saveexec_b64 s[2:3], vcc
	s_cbranch_execz .LBB24_21
.LBB24_30:
	s_waitcnt vmcnt(0)
	v_lshlrev_b32_e32 v2, 16, v5
	v_cmp_nle_f32_e32 vcc, v12, v2
	v_cmp_nge_f32_e64 s[0:1], v11, v2
	v_add_u32_e32 v2, s30, v0
	v_mov_b32_e32 v3, 0
	s_or_b64 vcc, s[0:1], vcc
	v_lshlrev_b64 v[2:3], 1, v[2:3]
	v_cndmask_b32_e32 v5, 0, v5, vcc
	v_mov_b32_e32 v7, s37
	v_add_co_u32_e32 v2, vcc, s36, v2
	v_addc_co_u32_e32 v3, vcc, v7, v3, vcc
	v_add_u32_e32 v0, 0x100, v0
	global_store_short v[2:3], v5, off
	s_or_b64 exec, exec, s[2:3]
	v_cmp_gt_i32_e32 vcc, s33, v0
	s_and_saveexec_b64 s[2:3], vcc
	s_cbranch_execz .LBB24_22
.LBB24_31:
	s_waitcnt vmcnt(0)
	v_lshlrev_b32_e32 v2, 16, v10
	v_cmp_nle_f32_e32 vcc, v12, v2
	v_cmp_nge_f32_e64 s[0:1], v11, v2
	v_add_u32_e32 v2, s30, v0
	v_mov_b32_e32 v3, 0
	s_or_b64 vcc, s[0:1], vcc
	v_lshlrev_b64 v[2:3], 1, v[2:3]
	v_cndmask_b32_e32 v5, 0, v10, vcc
	v_mov_b32_e32 v7, s37
	v_add_co_u32_e32 v2, vcc, s36, v2
	v_addc_co_u32_e32 v3, vcc, v7, v3, vcc
	v_add_u32_e32 v0, 0x100, v0
	global_store_short v[2:3], v5, off
	s_or_b64 exec, exec, s[2:3]
	v_cmp_gt_i32_e32 vcc, s33, v0
	s_and_saveexec_b64 s[2:3], vcc
	s_cbranch_execz .LBB24_23
.LBB24_32:
	s_waitcnt vmcnt(0)
	v_lshlrev_b32_e32 v2, 16, v6
	v_cmp_nle_f32_e32 vcc, v12, v2
	v_cmp_nge_f32_e64 s[0:1], v11, v2
	v_add_u32_e32 v2, s30, v0
	v_mov_b32_e32 v3, 0
	s_or_b64 vcc, s[0:1], vcc
	v_lshlrev_b64 v[2:3], 1, v[2:3]
	v_cndmask_b32_e32 v5, 0, v6, vcc
	v_mov_b32_e32 v6, s37
	v_add_co_u32_e32 v2, vcc, s36, v2
	v_addc_co_u32_e32 v3, vcc, v6, v3, vcc
	v_add_u32_e32 v0, 0x100, v0
	global_store_short v[2:3], v5, off
	s_or_b64 exec, exec, s[2:3]
	v_cmp_gt_i32_e32 vcc, s33, v0
	s_and_saveexec_b64 s[2:3], vcc
	s_cbranch_execz .LBB24_24
.LBB24_33:
	s_waitcnt vmcnt(0)
	v_lshlrev_b32_e32 v2, 16, v9
	v_cmp_nle_f32_e32 vcc, v12, v2
	v_cmp_nge_f32_e64 s[0:1], v11, v2
	v_add_u32_e32 v2, s30, v0
	v_mov_b32_e32 v3, 0
	s_or_b64 vcc, s[0:1], vcc
	v_lshlrev_b64 v[2:3], 1, v[2:3]
	v_cndmask_b32_e32 v5, 0, v9, vcc
	v_mov_b32_e32 v6, s37
	v_add_co_u32_e32 v2, vcc, s36, v2
	v_addc_co_u32_e32 v3, vcc, v6, v3, vcc
	v_add_u32_e32 v0, 0x100, v0
	global_store_short v[2:3], v5, off
	s_or_b64 exec, exec, s[2:3]
	v_cmp_gt_i32_e32 vcc, s33, v0
	s_and_saveexec_b64 s[2:3], vcc
	s_cbranch_execz .LBB24_25
.LBB24_34:
	s_waitcnt vmcnt(0)
	v_lshlrev_b32_e32 v2, 16, v4
	v_cmp_nle_f32_e32 vcc, v12, v2
	v_cmp_nge_f32_e64 s[0:1], v11, v2
	v_add_u32_e32 v2, s30, v0
	v_mov_b32_e32 v3, 0
	s_or_b64 vcc, s[0:1], vcc
	v_lshlrev_b64 v[2:3], 1, v[2:3]
	v_cndmask_b32_e32 v4, 0, v4, vcc
	v_mov_b32_e32 v5, s37
	v_add_co_u32_e32 v2, vcc, s36, v2
	v_addc_co_u32_e32 v3, vcc, v5, v3, vcc
	v_add_u32_e32 v0, 0x100, v0
	global_store_short v[2:3], v4, off
	s_or_b64 exec, exec, s[2:3]
	v_cmp_gt_i32_e32 vcc, s33, v0
	s_and_saveexec_b64 s[2:3], vcc
	s_cbranch_execz .LBB24_26
.LBB24_35:
	s_waitcnt vmcnt(0)
	v_lshlrev_b32_e32 v2, 16, v8
	v_cmp_nle_f32_e32 vcc, v12, v2
	v_cmp_nge_f32_e64 s[0:1], v11, v2
	v_add_u32_e32 v2, s30, v0
	v_mov_b32_e32 v3, 0
	s_or_b64 vcc, s[0:1], vcc
	v_lshlrev_b64 v[2:3], 1, v[2:3]
	v_cndmask_b32_e32 v4, 0, v8, vcc
	v_mov_b32_e32 v5, s37
	v_add_co_u32_e32 v2, vcc, s36, v2
	v_addc_co_u32_e32 v3, vcc, v5, v3, vcc
	v_add_u32_e32 v0, 0x100, v0
	global_store_short v[2:3], v4, off
	s_or_b64 exec, exec, s[2:3]
	v_cmp_gt_i32_e32 vcc, s33, v0
	s_and_saveexec_b64 s[0:1], vcc
	s_cbranch_execnz .LBB24_27
	s_branch .LBB24_28
	.section	.rodata,"a",@progbits
	.p2align	6, 0x0
	.amdhsa_kernel _ZN2at6native29vectorized_elementwise_kernelILi16EZZZNS0_12_GLOBAL__N_117hardshrink_kernelERNS_18TensorIteratorBaseERKN3c106ScalarEENKUlvE_clEvENKUlvE2_clEvEUlNS5_8BFloat16EE_St5arrayIPcLm2EEEEviT0_T1_
		.amdhsa_group_segment_fixed_size 0
		.amdhsa_private_segment_fixed_size 0
		.amdhsa_kernarg_size 24
		.amdhsa_user_sgpr_count 6
		.amdhsa_user_sgpr_private_segment_buffer 1
		.amdhsa_user_sgpr_dispatch_ptr 0
		.amdhsa_user_sgpr_queue_ptr 0
		.amdhsa_user_sgpr_kernarg_segment_ptr 1
		.amdhsa_user_sgpr_dispatch_id 0
		.amdhsa_user_sgpr_flat_scratch_init 0
		.amdhsa_user_sgpr_kernarg_preload_length 0
		.amdhsa_user_sgpr_kernarg_preload_offset 0
		.amdhsa_user_sgpr_private_segment_size 0
		.amdhsa_uses_dynamic_stack 0
		.amdhsa_system_sgpr_private_segment_wavefront_offset 0
		.amdhsa_system_sgpr_workgroup_id_x 1
		.amdhsa_system_sgpr_workgroup_id_y 0
		.amdhsa_system_sgpr_workgroup_id_z 0
		.amdhsa_system_sgpr_workgroup_info 0
		.amdhsa_system_vgpr_workitem_id 0
		.amdhsa_next_free_vgpr 19
		.amdhsa_next_free_sgpr 42
		.amdhsa_accum_offset 20
		.amdhsa_reserve_vcc 1
		.amdhsa_reserve_flat_scratch 0
		.amdhsa_float_round_mode_32 0
		.amdhsa_float_round_mode_16_64 0
		.amdhsa_float_denorm_mode_32 3
		.amdhsa_float_denorm_mode_16_64 3
		.amdhsa_dx10_clamp 1
		.amdhsa_ieee_mode 1
		.amdhsa_fp16_overflow 0
		.amdhsa_tg_split 0
		.amdhsa_exception_fp_ieee_invalid_op 0
		.amdhsa_exception_fp_denorm_src 0
		.amdhsa_exception_fp_ieee_div_zero 0
		.amdhsa_exception_fp_ieee_overflow 0
		.amdhsa_exception_fp_ieee_underflow 0
		.amdhsa_exception_fp_ieee_inexact 0
		.amdhsa_exception_int_div_zero 0
	.end_amdhsa_kernel
	.section	.text._ZN2at6native29vectorized_elementwise_kernelILi16EZZZNS0_12_GLOBAL__N_117hardshrink_kernelERNS_18TensorIteratorBaseERKN3c106ScalarEENKUlvE_clEvENKUlvE2_clEvEUlNS5_8BFloat16EE_St5arrayIPcLm2EEEEviT0_T1_,"axG",@progbits,_ZN2at6native29vectorized_elementwise_kernelILi16EZZZNS0_12_GLOBAL__N_117hardshrink_kernelERNS_18TensorIteratorBaseERKN3c106ScalarEENKUlvE_clEvENKUlvE2_clEvEUlNS5_8BFloat16EE_St5arrayIPcLm2EEEEviT0_T1_,comdat
.Lfunc_end24:
	.size	_ZN2at6native29vectorized_elementwise_kernelILi16EZZZNS0_12_GLOBAL__N_117hardshrink_kernelERNS_18TensorIteratorBaseERKN3c106ScalarEENKUlvE_clEvENKUlvE2_clEvEUlNS5_8BFloat16EE_St5arrayIPcLm2EEEEviT0_T1_, .Lfunc_end24-_ZN2at6native29vectorized_elementwise_kernelILi16EZZZNS0_12_GLOBAL__N_117hardshrink_kernelERNS_18TensorIteratorBaseERKN3c106ScalarEENKUlvE_clEvENKUlvE2_clEvEUlNS5_8BFloat16EE_St5arrayIPcLm2EEEEviT0_T1_
                                        ; -- End function
	.section	.AMDGPU.csdata,"",@progbits
; Kernel info:
; codeLenInByte = 1924
; NumSgprs: 46
; NumVgprs: 19
; NumAgprs: 0
; TotalNumVgprs: 19
; ScratchSize: 0
; MemoryBound: 0
; FloatMode: 240
; IeeeMode: 1
; LDSByteSize: 0 bytes/workgroup (compile time only)
; SGPRBlocks: 5
; VGPRBlocks: 2
; NumSGPRsForWavesPerEU: 46
; NumVGPRsForWavesPerEU: 19
; AccumOffset: 20
; Occupancy: 8
; WaveLimiterHint : 0
; COMPUTE_PGM_RSRC2:SCRATCH_EN: 0
; COMPUTE_PGM_RSRC2:USER_SGPR: 6
; COMPUTE_PGM_RSRC2:TRAP_HANDLER: 0
; COMPUTE_PGM_RSRC2:TGID_X_EN: 1
; COMPUTE_PGM_RSRC2:TGID_Y_EN: 0
; COMPUTE_PGM_RSRC2:TGID_Z_EN: 0
; COMPUTE_PGM_RSRC2:TIDIG_COMP_CNT: 0
; COMPUTE_PGM_RSRC3_GFX90A:ACCUM_OFFSET: 4
; COMPUTE_PGM_RSRC3_GFX90A:TG_SPLIT: 0
	.section	.text._ZN2at6native29vectorized_elementwise_kernelILi8EZZZNS0_12_GLOBAL__N_117hardshrink_kernelERNS_18TensorIteratorBaseERKN3c106ScalarEENKUlvE_clEvENKUlvE2_clEvEUlNS5_8BFloat16EE_St5arrayIPcLm2EEEEviT0_T1_,"axG",@progbits,_ZN2at6native29vectorized_elementwise_kernelILi8EZZZNS0_12_GLOBAL__N_117hardshrink_kernelERNS_18TensorIteratorBaseERKN3c106ScalarEENKUlvE_clEvENKUlvE2_clEvEUlNS5_8BFloat16EE_St5arrayIPcLm2EEEEviT0_T1_,comdat
	.globl	_ZN2at6native29vectorized_elementwise_kernelILi8EZZZNS0_12_GLOBAL__N_117hardshrink_kernelERNS_18TensorIteratorBaseERKN3c106ScalarEENKUlvE_clEvENKUlvE2_clEvEUlNS5_8BFloat16EE_St5arrayIPcLm2EEEEviT0_T1_ ; -- Begin function _ZN2at6native29vectorized_elementwise_kernelILi8EZZZNS0_12_GLOBAL__N_117hardshrink_kernelERNS_18TensorIteratorBaseERKN3c106ScalarEENKUlvE_clEvENKUlvE2_clEvEUlNS5_8BFloat16EE_St5arrayIPcLm2EEEEviT0_T1_
	.p2align	8
	.type	_ZN2at6native29vectorized_elementwise_kernelILi8EZZZNS0_12_GLOBAL__N_117hardshrink_kernelERNS_18TensorIteratorBaseERKN3c106ScalarEENKUlvE_clEvENKUlvE2_clEvEUlNS5_8BFloat16EE_St5arrayIPcLm2EEEEviT0_T1_,@function
_ZN2at6native29vectorized_elementwise_kernelILi8EZZZNS0_12_GLOBAL__N_117hardshrink_kernelERNS_18TensorIteratorBaseERKN3c106ScalarEENKUlvE_clEvENKUlvE2_clEvEUlNS5_8BFloat16EE_St5arrayIPcLm2EEEEviT0_T1_: ; @_ZN2at6native29vectorized_elementwise_kernelILi8EZZZNS0_12_GLOBAL__N_117hardshrink_kernelERNS_18TensorIteratorBaseERKN3c106ScalarEENKUlvE_clEvENKUlvE2_clEvEUlNS5_8BFloat16EE_St5arrayIPcLm2EEEEviT0_T1_
; %bb.0:
	s_load_dwordx2 s[34:35], s[4:5], 0x0
	s_load_dwordx4 s[36:39], s[4:5], 0x8
	s_lshl_b32 s30, s6, 11
	s_mov_b64 s[0:1], -1
	s_waitcnt lgkmcnt(0)
	s_sub_i32 s33, s34, s30
	s_cmpk_gt_i32 s33, 0x7ff
	s_cbranch_scc0 .LBB25_2
; %bb.1:
	s_ashr_i32 s31, s30, 31
	s_lshl_b64 s[0:1], s[30:31], 1
	s_add_u32 s2, s38, s0
	s_addc_u32 s3, s39, s1
	v_lshlrev_b32_e32 v1, 4, v0
	global_load_dwordx4 v[2:5], v1, s[2:3]
	s_lshl_b32 s28, s35, 16
	s_xor_b32 s2, s28, 0x80000000
	s_bfe_u32 s3, s2, 0x10010
	s_add_i32 s2, s2, s3
	s_addk_i32 s2, 0x7fff
	s_and_b32 s2, s2, 0xffff0000
	v_mov_b32_e32 v6, 0x7fc00000
	v_mov_b32_e32 v7, s2
	v_cmp_o_f32_e64 vcc, s28, s28
	v_cndmask_b32_e32 v6, v6, v7, vcc
	s_add_u32 s40, s36, s0
	s_addc_u32 s41, s37, s1
	s_mov_b32 s31, 0x5040100
	s_waitcnt vmcnt(0)
	v_and_b32_e32 v12, 0xffff0000, v2
	v_lshlrev_b32_e32 v11, 16, v2
	v_cmp_nle_f32_e32 vcc, v6, v12
	v_cmp_nge_f32_e64 s[6:7], s28, v12
	v_lshrrev_b32_e32 v8, 16, v2
	v_lshlrev_b32_e32 v9, 16, v3
	v_and_b32_e32 v10, 0xffff0000, v3
	v_lshlrev_b32_e32 v15, 16, v5
	v_and_b32_e32 v16, 0xffff0000, v5
	;; [unrolled: 2-line block ×3, first 2 shown]
	v_cmp_nle_f32_e64 s[0:1], v6, v11
	v_cmp_nge_f32_e64 s[8:9], s28, v11
	s_or_b64 vcc, s[6:7], vcc
	v_cmp_nle_f32_e64 s[2:3], v6, v10
	v_cmp_nle_f32_e64 s[4:5], v6, v9
	v_cmp_nge_f32_e64 s[10:11], s28, v10
	v_cmp_nle_f32_e64 s[14:15], v6, v18
	v_cmp_nle_f32_e64 s[16:17], v6, v17
	;; [unrolled: 1-line block ×4, first 2 shown]
	v_cndmask_b32_e32 v6, 0, v8, vcc
	s_or_b64 vcc, s[8:9], s[0:1]
	v_lshrrev_b32_e32 v7, 16, v3
	v_cmp_nge_f32_e64 s[12:13], s28, v9
	v_cndmask_b32_e32 v2, 0, v2, vcc
	s_or_b64 vcc, s[10:11], s[2:3]
	v_cmp_nge_f32_e64 s[22:23], s28, v18
	v_cndmask_b32_e32 v7, 0, v7, vcc
	s_or_b64 vcc, s[12:13], s[4:5]
	v_lshrrev_b32_e32 v14, 16, v4
	v_cmp_nge_f32_e64 s[24:25], s28, v17
	v_cndmask_b32_e32 v3, 0, v3, vcc
	s_or_b64 vcc, s[22:23], s[14:15]
	v_cmp_nge_f32_e64 s[26:27], s28, v16
	v_cndmask_b32_e32 v8, 0, v14, vcc
	s_or_b64 vcc, s[24:25], s[16:17]
	v_lshrrev_b32_e32 v13, 16, v5
	v_cmp_nge_f32_e64 s[28:29], s28, v15
	v_cndmask_b32_e32 v4, 0, v4, vcc
	s_or_b64 vcc, s[26:27], s[18:19]
	v_cndmask_b32_e32 v9, 0, v13, vcc
	s_or_b64 vcc, s[28:29], s[20:21]
	v_cndmask_b32_e32 v5, 0, v5, vcc
	v_perm_b32 v5, v9, v5, s31
	v_perm_b32 v4, v8, v4, s31
	;; [unrolled: 1-line block ×4, first 2 shown]
	global_store_dwordx4 v1, v[2:5], s[40:41]
	s_mov_b64 s[0:1], 0
.LBB25_2:
	s_andn2_b64 vcc, exec, s[0:1]
	s_cbranch_vccnz .LBB25_28
; %bb.3:
	v_cmp_gt_i32_e32 vcc, s33, v0
	v_mov_b32_e32 v5, 0
	v_or_b32_e32 v2, s30, v0
	v_mov_b32_e32 v7, 0
	v_mov_b32_e32 v3, v0
	s_and_saveexec_b64 s[2:3], vcc
	s_cbranch_execz .LBB25_5
; %bb.4:
	v_mov_b32_e32 v3, 0
	v_lshlrev_b64 v[6:7], 1, v[2:3]
	v_mov_b32_e32 v1, s39
	v_add_co_u32_e64 v6, s[0:1], s38, v6
	v_addc_co_u32_e64 v7, s[0:1], v1, v7, s[0:1]
	global_load_ushort v7, v[6:7], off
	v_or_b32_e32 v3, 0x100, v0
.LBB25_5:
	s_or_b64 exec, exec, s[2:3]
	v_cmp_gt_i32_e64 s[0:1], s33, v3
	s_and_saveexec_b64 s[2:3], s[0:1]
	s_cbranch_execz .LBB25_7
; %bb.6:
	v_add_u32_e32 v4, s30, v3
	v_mov_b32_e32 v5, 0
	v_lshlrev_b64 v[4:5], 1, v[4:5]
	v_mov_b32_e32 v1, s39
	v_add_co_u32_e64 v4, s[0:1], s38, v4
	v_addc_co_u32_e64 v5, s[0:1], v1, v5, s[0:1]
	global_load_ushort v5, v[4:5], off
	v_add_u32_e32 v3, 0x100, v3
.LBB25_7:
	s_or_b64 exec, exec, s[2:3]
	v_cmp_gt_i32_e64 s[0:1], s33, v3
	v_mov_b32_e32 v6, 0
	v_mov_b32_e32 v10, 0
	s_and_saveexec_b64 s[2:3], s[0:1]
	s_cbranch_execz .LBB25_9
; %bb.8:
	v_add_u32_e32 v8, s30, v3
	v_mov_b32_e32 v9, 0
	v_lshlrev_b64 v[8:9], 1, v[8:9]
	v_mov_b32_e32 v1, s39
	v_add_co_u32_e64 v8, s[0:1], s38, v8
	v_addc_co_u32_e64 v9, s[0:1], v1, v9, s[0:1]
	global_load_ushort v10, v[8:9], off
	v_add_u32_e32 v3, 0x100, v3
.LBB25_9:
	s_or_b64 exec, exec, s[2:3]
	v_cmp_gt_i32_e64 s[0:1], s33, v3
	s_and_saveexec_b64 s[2:3], s[0:1]
	s_cbranch_execz .LBB25_11
; %bb.10:
	v_add_u32_e32 v8, s30, v3
	v_mov_b32_e32 v9, 0
	v_lshlrev_b64 v[8:9], 1, v[8:9]
	v_mov_b32_e32 v1, s39
	v_add_co_u32_e64 v8, s[0:1], s38, v8
	v_addc_co_u32_e64 v9, s[0:1], v1, v9, s[0:1]
	global_load_ushort v6, v[8:9], off
	v_add_u32_e32 v3, 0x100, v3
.LBB25_11:
	s_or_b64 exec, exec, s[2:3]
	v_cmp_gt_i32_e64 s[0:1], s33, v3
	v_mov_b32_e32 v4, 0
	v_mov_b32_e32 v9, 0
	s_and_saveexec_b64 s[2:3], s[0:1]
	s_cbranch_execz .LBB25_13
; %bb.12:
	v_add_u32_e32 v8, s30, v3
	v_mov_b32_e32 v9, 0
	v_lshlrev_b64 v[8:9], 1, v[8:9]
	v_mov_b32_e32 v1, s39
	v_add_co_u32_e64 v8, s[0:1], s38, v8
	v_addc_co_u32_e64 v9, s[0:1], v1, v9, s[0:1]
	global_load_ushort v9, v[8:9], off
	v_add_u32_e32 v3, 0x100, v3
.LBB25_13:
	;; [unrolled: 30-line block ×3, first 2 shown]
	s_or_b64 exec, exec, s[2:3]
	v_cmp_gt_i32_e64 s[0:1], s33, v3
	s_and_saveexec_b64 s[2:3], s[0:1]
	s_cbranch_execz .LBB25_19
; %bb.18:
	v_add_u32_e32 v12, s30, v3
	v_mov_b32_e32 v13, 0
	v_lshlrev_b64 v[12:13], 1, v[12:13]
	v_mov_b32_e32 v1, s39
	v_add_co_u32_e64 v12, s[0:1], s38, v12
	v_addc_co_u32_e64 v13, s[0:1], v1, v13, s[0:1]
	global_load_ushort v1, v[12:13], off
.LBB25_19:
	s_or_b64 exec, exec, s[2:3]
	s_lshl_b32 s0, s35, 16
	s_xor_b32 s1, s0, 0x80000000
	s_bfe_u32 s2, s1, 0x10010
	s_add_i32 s1, s1, s2
	s_addk_i32 s1, 0x7fff
	s_and_b32 s1, s1, 0xffff0000
	v_mov_b32_e32 v11, s0
	v_mov_b32_e32 v3, 0x7fc00000
	;; [unrolled: 1-line block ×3, first 2 shown]
	v_cmp_o_f32_e64 s[0:1], s0, s0
	v_cndmask_b32_e64 v12, v3, v12, s[0:1]
	s_and_saveexec_b64 s[2:3], vcc
	s_cbranch_execnz .LBB25_29
; %bb.20:
	s_or_b64 exec, exec, s[2:3]
	v_cmp_gt_i32_e32 vcc, s33, v0
	s_and_saveexec_b64 s[2:3], vcc
	s_cbranch_execnz .LBB25_30
.LBB25_21:
	s_or_b64 exec, exec, s[2:3]
	v_cmp_gt_i32_e32 vcc, s33, v0
	s_and_saveexec_b64 s[2:3], vcc
	s_cbranch_execnz .LBB25_31
.LBB25_22:
	s_or_b64 exec, exec, s[2:3]
	v_cmp_gt_i32_e32 vcc, s33, v0
	s_and_saveexec_b64 s[2:3], vcc
	s_cbranch_execnz .LBB25_32
.LBB25_23:
	s_or_b64 exec, exec, s[2:3]
	v_cmp_gt_i32_e32 vcc, s33, v0
	s_and_saveexec_b64 s[2:3], vcc
	s_cbranch_execnz .LBB25_33
.LBB25_24:
	s_or_b64 exec, exec, s[2:3]
	v_cmp_gt_i32_e32 vcc, s33, v0
	s_and_saveexec_b64 s[2:3], vcc
	s_cbranch_execnz .LBB25_34
.LBB25_25:
	s_or_b64 exec, exec, s[2:3]
	v_cmp_gt_i32_e32 vcc, s33, v0
	s_and_saveexec_b64 s[2:3], vcc
	s_cbranch_execnz .LBB25_35
.LBB25_26:
	s_or_b64 exec, exec, s[2:3]
	v_cmp_gt_i32_e32 vcc, s33, v0
	s_and_saveexec_b64 s[0:1], vcc
	s_cbranch_execz .LBB25_28
.LBB25_27:
	s_waitcnt vmcnt(0)
	v_lshlrev_b32_e32 v2, 16, v1
	v_cmp_nle_f32_e32 vcc, v12, v2
	v_cmp_nle_f32_e64 s[0:1], v2, v11
	s_or_b64 vcc, s[0:1], vcc
	v_cndmask_b32_e32 v2, 0, v1, vcc
	v_add_u32_e32 v0, s30, v0
	v_mov_b32_e32 v1, 0
	v_lshlrev_b64 v[0:1], 1, v[0:1]
	v_mov_b32_e32 v3, s37
	v_add_co_u32_e32 v0, vcc, s36, v0
	v_addc_co_u32_e32 v1, vcc, v3, v1, vcc
	global_store_short v[0:1], v2, off
.LBB25_28:
	s_endpgm
.LBB25_29:
	v_mov_b32_e32 v3, 0
	v_lshlrev_b64 v[2:3], 1, v[2:3]
	v_mov_b32_e32 v13, s37
	v_add_co_u32_e32 v2, vcc, s36, v2
	v_addc_co_u32_e32 v3, vcc, v13, v3, vcc
	s_waitcnt vmcnt(0)
	v_lshlrev_b32_e32 v13, 16, v7
	v_cmp_nge_f32_e32 vcc, v11, v13
	v_cmp_nle_f32_e64 s[0:1], v12, v13
	s_or_b64 vcc, vcc, s[0:1]
	v_or_b32_e32 v0, 0x100, v0
	v_cndmask_b32_e32 v7, 0, v7, vcc
	global_store_short v[2:3], v7, off
	s_or_b64 exec, exec, s[2:3]
	v_cmp_gt_i32_e32 vcc, s33, v0
	s_and_saveexec_b64 s[2:3], vcc
	s_cbranch_execz .LBB25_21
.LBB25_30:
	s_waitcnt vmcnt(0)
	v_lshlrev_b32_e32 v2, 16, v5
	v_cmp_nle_f32_e32 vcc, v12, v2
	v_cmp_nge_f32_e64 s[0:1], v11, v2
	v_add_u32_e32 v2, s30, v0
	v_mov_b32_e32 v3, 0
	s_or_b64 vcc, s[0:1], vcc
	v_lshlrev_b64 v[2:3], 1, v[2:3]
	v_cndmask_b32_e32 v5, 0, v5, vcc
	v_mov_b32_e32 v7, s37
	v_add_co_u32_e32 v2, vcc, s36, v2
	v_addc_co_u32_e32 v3, vcc, v7, v3, vcc
	v_add_u32_e32 v0, 0x100, v0
	global_store_short v[2:3], v5, off
	s_or_b64 exec, exec, s[2:3]
	v_cmp_gt_i32_e32 vcc, s33, v0
	s_and_saveexec_b64 s[2:3], vcc
	s_cbranch_execz .LBB25_22
.LBB25_31:
	s_waitcnt vmcnt(0)
	v_lshlrev_b32_e32 v2, 16, v10
	v_cmp_nle_f32_e32 vcc, v12, v2
	v_cmp_nge_f32_e64 s[0:1], v11, v2
	v_add_u32_e32 v2, s30, v0
	v_mov_b32_e32 v3, 0
	s_or_b64 vcc, s[0:1], vcc
	v_lshlrev_b64 v[2:3], 1, v[2:3]
	v_cndmask_b32_e32 v5, 0, v10, vcc
	v_mov_b32_e32 v7, s37
	v_add_co_u32_e32 v2, vcc, s36, v2
	v_addc_co_u32_e32 v3, vcc, v7, v3, vcc
	v_add_u32_e32 v0, 0x100, v0
	global_store_short v[2:3], v5, off
	s_or_b64 exec, exec, s[2:3]
	v_cmp_gt_i32_e32 vcc, s33, v0
	s_and_saveexec_b64 s[2:3], vcc
	s_cbranch_execz .LBB25_23
.LBB25_32:
	s_waitcnt vmcnt(0)
	v_lshlrev_b32_e32 v2, 16, v6
	v_cmp_nle_f32_e32 vcc, v12, v2
	v_cmp_nge_f32_e64 s[0:1], v11, v2
	v_add_u32_e32 v2, s30, v0
	v_mov_b32_e32 v3, 0
	s_or_b64 vcc, s[0:1], vcc
	v_lshlrev_b64 v[2:3], 1, v[2:3]
	v_cndmask_b32_e32 v5, 0, v6, vcc
	v_mov_b32_e32 v6, s37
	v_add_co_u32_e32 v2, vcc, s36, v2
	v_addc_co_u32_e32 v3, vcc, v6, v3, vcc
	v_add_u32_e32 v0, 0x100, v0
	global_store_short v[2:3], v5, off
	s_or_b64 exec, exec, s[2:3]
	v_cmp_gt_i32_e32 vcc, s33, v0
	s_and_saveexec_b64 s[2:3], vcc
	s_cbranch_execz .LBB25_24
.LBB25_33:
	s_waitcnt vmcnt(0)
	v_lshlrev_b32_e32 v2, 16, v9
	v_cmp_nle_f32_e32 vcc, v12, v2
	v_cmp_nge_f32_e64 s[0:1], v11, v2
	v_add_u32_e32 v2, s30, v0
	v_mov_b32_e32 v3, 0
	s_or_b64 vcc, s[0:1], vcc
	v_lshlrev_b64 v[2:3], 1, v[2:3]
	v_cndmask_b32_e32 v5, 0, v9, vcc
	v_mov_b32_e32 v6, s37
	v_add_co_u32_e32 v2, vcc, s36, v2
	v_addc_co_u32_e32 v3, vcc, v6, v3, vcc
	v_add_u32_e32 v0, 0x100, v0
	global_store_short v[2:3], v5, off
	s_or_b64 exec, exec, s[2:3]
	v_cmp_gt_i32_e32 vcc, s33, v0
	s_and_saveexec_b64 s[2:3], vcc
	s_cbranch_execz .LBB25_25
.LBB25_34:
	s_waitcnt vmcnt(0)
	v_lshlrev_b32_e32 v2, 16, v4
	v_cmp_nle_f32_e32 vcc, v12, v2
	v_cmp_nge_f32_e64 s[0:1], v11, v2
	v_add_u32_e32 v2, s30, v0
	v_mov_b32_e32 v3, 0
	s_or_b64 vcc, s[0:1], vcc
	v_lshlrev_b64 v[2:3], 1, v[2:3]
	v_cndmask_b32_e32 v4, 0, v4, vcc
	v_mov_b32_e32 v5, s37
	v_add_co_u32_e32 v2, vcc, s36, v2
	v_addc_co_u32_e32 v3, vcc, v5, v3, vcc
	v_add_u32_e32 v0, 0x100, v0
	global_store_short v[2:3], v4, off
	s_or_b64 exec, exec, s[2:3]
	v_cmp_gt_i32_e32 vcc, s33, v0
	s_and_saveexec_b64 s[2:3], vcc
	s_cbranch_execz .LBB25_26
.LBB25_35:
	s_waitcnt vmcnt(0)
	v_lshlrev_b32_e32 v2, 16, v8
	v_cmp_nle_f32_e32 vcc, v12, v2
	v_cmp_nge_f32_e64 s[0:1], v11, v2
	v_add_u32_e32 v2, s30, v0
	v_mov_b32_e32 v3, 0
	s_or_b64 vcc, s[0:1], vcc
	v_lshlrev_b64 v[2:3], 1, v[2:3]
	v_cndmask_b32_e32 v4, 0, v8, vcc
	v_mov_b32_e32 v5, s37
	v_add_co_u32_e32 v2, vcc, s36, v2
	v_addc_co_u32_e32 v3, vcc, v5, v3, vcc
	v_add_u32_e32 v0, 0x100, v0
	global_store_short v[2:3], v4, off
	s_or_b64 exec, exec, s[2:3]
	v_cmp_gt_i32_e32 vcc, s33, v0
	s_and_saveexec_b64 s[0:1], vcc
	s_cbranch_execnz .LBB25_27
	s_branch .LBB25_28
	.section	.rodata,"a",@progbits
	.p2align	6, 0x0
	.amdhsa_kernel _ZN2at6native29vectorized_elementwise_kernelILi8EZZZNS0_12_GLOBAL__N_117hardshrink_kernelERNS_18TensorIteratorBaseERKN3c106ScalarEENKUlvE_clEvENKUlvE2_clEvEUlNS5_8BFloat16EE_St5arrayIPcLm2EEEEviT0_T1_
		.amdhsa_group_segment_fixed_size 0
		.amdhsa_private_segment_fixed_size 0
		.amdhsa_kernarg_size 24
		.amdhsa_user_sgpr_count 6
		.amdhsa_user_sgpr_private_segment_buffer 1
		.amdhsa_user_sgpr_dispatch_ptr 0
		.amdhsa_user_sgpr_queue_ptr 0
		.amdhsa_user_sgpr_kernarg_segment_ptr 1
		.amdhsa_user_sgpr_dispatch_id 0
		.amdhsa_user_sgpr_flat_scratch_init 0
		.amdhsa_user_sgpr_kernarg_preload_length 0
		.amdhsa_user_sgpr_kernarg_preload_offset 0
		.amdhsa_user_sgpr_private_segment_size 0
		.amdhsa_uses_dynamic_stack 0
		.amdhsa_system_sgpr_private_segment_wavefront_offset 0
		.amdhsa_system_sgpr_workgroup_id_x 1
		.amdhsa_system_sgpr_workgroup_id_y 0
		.amdhsa_system_sgpr_workgroup_id_z 0
		.amdhsa_system_sgpr_workgroup_info 0
		.amdhsa_system_vgpr_workitem_id 0
		.amdhsa_next_free_vgpr 19
		.amdhsa_next_free_sgpr 42
		.amdhsa_accum_offset 20
		.amdhsa_reserve_vcc 1
		.amdhsa_reserve_flat_scratch 0
		.amdhsa_float_round_mode_32 0
		.amdhsa_float_round_mode_16_64 0
		.amdhsa_float_denorm_mode_32 3
		.amdhsa_float_denorm_mode_16_64 3
		.amdhsa_dx10_clamp 1
		.amdhsa_ieee_mode 1
		.amdhsa_fp16_overflow 0
		.amdhsa_tg_split 0
		.amdhsa_exception_fp_ieee_invalid_op 0
		.amdhsa_exception_fp_denorm_src 0
		.amdhsa_exception_fp_ieee_div_zero 0
		.amdhsa_exception_fp_ieee_overflow 0
		.amdhsa_exception_fp_ieee_underflow 0
		.amdhsa_exception_fp_ieee_inexact 0
		.amdhsa_exception_int_div_zero 0
	.end_amdhsa_kernel
	.section	.text._ZN2at6native29vectorized_elementwise_kernelILi8EZZZNS0_12_GLOBAL__N_117hardshrink_kernelERNS_18TensorIteratorBaseERKN3c106ScalarEENKUlvE_clEvENKUlvE2_clEvEUlNS5_8BFloat16EE_St5arrayIPcLm2EEEEviT0_T1_,"axG",@progbits,_ZN2at6native29vectorized_elementwise_kernelILi8EZZZNS0_12_GLOBAL__N_117hardshrink_kernelERNS_18TensorIteratorBaseERKN3c106ScalarEENKUlvE_clEvENKUlvE2_clEvEUlNS5_8BFloat16EE_St5arrayIPcLm2EEEEviT0_T1_,comdat
.Lfunc_end25:
	.size	_ZN2at6native29vectorized_elementwise_kernelILi8EZZZNS0_12_GLOBAL__N_117hardshrink_kernelERNS_18TensorIteratorBaseERKN3c106ScalarEENKUlvE_clEvENKUlvE2_clEvEUlNS5_8BFloat16EE_St5arrayIPcLm2EEEEviT0_T1_, .Lfunc_end25-_ZN2at6native29vectorized_elementwise_kernelILi8EZZZNS0_12_GLOBAL__N_117hardshrink_kernelERNS_18TensorIteratorBaseERKN3c106ScalarEENKUlvE_clEvENKUlvE2_clEvEUlNS5_8BFloat16EE_St5arrayIPcLm2EEEEviT0_T1_
                                        ; -- End function
	.section	.AMDGPU.csdata,"",@progbits
; Kernel info:
; codeLenInByte = 1924
; NumSgprs: 46
; NumVgprs: 19
; NumAgprs: 0
; TotalNumVgprs: 19
; ScratchSize: 0
; MemoryBound: 0
; FloatMode: 240
; IeeeMode: 1
; LDSByteSize: 0 bytes/workgroup (compile time only)
; SGPRBlocks: 5
; VGPRBlocks: 2
; NumSGPRsForWavesPerEU: 46
; NumVGPRsForWavesPerEU: 19
; AccumOffset: 20
; Occupancy: 8
; WaveLimiterHint : 0
; COMPUTE_PGM_RSRC2:SCRATCH_EN: 0
; COMPUTE_PGM_RSRC2:USER_SGPR: 6
; COMPUTE_PGM_RSRC2:TRAP_HANDLER: 0
; COMPUTE_PGM_RSRC2:TGID_X_EN: 1
; COMPUTE_PGM_RSRC2:TGID_Y_EN: 0
; COMPUTE_PGM_RSRC2:TGID_Z_EN: 0
; COMPUTE_PGM_RSRC2:TIDIG_COMP_CNT: 0
; COMPUTE_PGM_RSRC3_GFX90A:ACCUM_OFFSET: 4
; COMPUTE_PGM_RSRC3_GFX90A:TG_SPLIT: 0
	.section	.text._ZN2at6native29vectorized_elementwise_kernelILi4EZZZNS0_12_GLOBAL__N_117hardshrink_kernelERNS_18TensorIteratorBaseERKN3c106ScalarEENKUlvE_clEvENKUlvE2_clEvEUlNS5_8BFloat16EE_St5arrayIPcLm2EEEEviT0_T1_,"axG",@progbits,_ZN2at6native29vectorized_elementwise_kernelILi4EZZZNS0_12_GLOBAL__N_117hardshrink_kernelERNS_18TensorIteratorBaseERKN3c106ScalarEENKUlvE_clEvENKUlvE2_clEvEUlNS5_8BFloat16EE_St5arrayIPcLm2EEEEviT0_T1_,comdat
	.globl	_ZN2at6native29vectorized_elementwise_kernelILi4EZZZNS0_12_GLOBAL__N_117hardshrink_kernelERNS_18TensorIteratorBaseERKN3c106ScalarEENKUlvE_clEvENKUlvE2_clEvEUlNS5_8BFloat16EE_St5arrayIPcLm2EEEEviT0_T1_ ; -- Begin function _ZN2at6native29vectorized_elementwise_kernelILi4EZZZNS0_12_GLOBAL__N_117hardshrink_kernelERNS_18TensorIteratorBaseERKN3c106ScalarEENKUlvE_clEvENKUlvE2_clEvEUlNS5_8BFloat16EE_St5arrayIPcLm2EEEEviT0_T1_
	.p2align	8
	.type	_ZN2at6native29vectorized_elementwise_kernelILi4EZZZNS0_12_GLOBAL__N_117hardshrink_kernelERNS_18TensorIteratorBaseERKN3c106ScalarEENKUlvE_clEvENKUlvE2_clEvEUlNS5_8BFloat16EE_St5arrayIPcLm2EEEEviT0_T1_,@function
_ZN2at6native29vectorized_elementwise_kernelILi4EZZZNS0_12_GLOBAL__N_117hardshrink_kernelERNS_18TensorIteratorBaseERKN3c106ScalarEENKUlvE_clEvENKUlvE2_clEvEUlNS5_8BFloat16EE_St5arrayIPcLm2EEEEviT0_T1_: ; @_ZN2at6native29vectorized_elementwise_kernelILi4EZZZNS0_12_GLOBAL__N_117hardshrink_kernelERNS_18TensorIteratorBaseERKN3c106ScalarEENKUlvE_clEvENKUlvE2_clEvEUlNS5_8BFloat16EE_St5arrayIPcLm2EEEEviT0_T1_
; %bb.0:
	s_load_dwordx2 s[34:35], s[4:5], 0x0
	s_load_dwordx4 s[36:39], s[4:5], 0x8
	s_lshl_b32 s30, s6, 11
	s_mov_b64 s[0:1], -1
	s_waitcnt lgkmcnt(0)
	s_sub_i32 s33, s34, s30
	s_cmpk_gt_i32 s33, 0x7ff
	s_cbranch_scc0 .LBB26_2
; %bb.1:
	s_ashr_i32 s31, s30, 31
	s_lshl_b64 s[40:41], s[30:31], 1
	s_add_u32 s0, s38, s40
	s_addc_u32 s1, s39, s41
	v_lshlrev_b32_e32 v1, 3, v0
	global_load_dwordx2 v[2:3], v1, s[0:1]
	global_load_dwordx2 v[4:5], v1, s[0:1] offset:2048
	s_lshl_b32 s28, s35, 16
	s_xor_b32 s0, s28, 0x80000000
	s_bfe_u32 s1, s0, 0x10010
	s_add_i32 s0, s0, s1
	s_addk_i32 s0, 0x7fff
	s_and_b32 s0, s0, 0xffff0000
	v_mov_b32_e32 v6, 0x7fc00000
	v_mov_b32_e32 v7, s0
	v_cmp_o_f32_e64 vcc, s28, s28
	v_cndmask_b32_e32 v6, v6, v7, vcc
	s_waitcnt vmcnt(1)
	v_lshlrev_b32_e32 v9, 16, v2
	v_and_b32_e32 v7, 0xffff0000, v2
	s_waitcnt vmcnt(0)
	v_and_b32_e32 v8, 0xffff0000, v4
	v_lshlrev_b32_e32 v10, 16, v3
	v_and_b32_e32 v11, 0xffff, v3
	v_and_b32_e32 v3, 0xffff0000, v3
	v_lshlrev_b32_e32 v12, 16, v4
	v_lshlrev_b32_e32 v13, 16, v5
	v_and_b32_e32 v14, 0xffff, v5
	v_and_b32_e32 v5, 0xffff0000, v5
	v_cmp_nle_f32_e32 vcc, v6, v9
	v_cmp_nge_f32_e64 s[0:1], s28, v9
	v_and_b32_e32 v2, 0xffff, v2
	v_cmp_nge_f32_e64 s[4:5], s28, v7
	v_cmp_nge_f32_e64 s[8:9], s28, v10
	v_cmp_nge_f32_e64 s[12:13], s28, v3
	v_cmp_nge_f32_e64 s[16:17], s28, v12
	v_cmp_nge_f32_e64 s[20:21], s28, v8
	v_cmp_nge_f32_e64 s[24:25], s28, v13
	v_cmp_nle_f32_e64 s[26:27], v6, v5
	v_cmp_nge_f32_e64 s[28:29], s28, v5
	s_or_b64 vcc, s[0:1], vcc
	v_cmp_nle_f32_e64 s[22:23], v6, v13
	v_cndmask_b32_e32 v2, 0, v2, vcc
	s_or_b64 vcc, s[28:29], s[26:27]
	v_cmp_nle_f32_e64 s[2:3], v6, v7
	v_cmp_nle_f32_e64 s[18:19], v6, v8
	v_cndmask_b32_e32 v5, 0, v5, vcc
	s_or_b64 vcc, s[24:25], s[22:23]
	v_cmp_nle_f32_e64 s[6:7], v6, v10
	v_cmp_nle_f32_e64 s[10:11], v6, v3
	v_cmp_nle_f32_e64 s[14:15], v6, v12
	s_or_b64 s[2:3], s[4:5], s[2:3]
	v_cndmask_b32_e32 v9, 0, v14, vcc
	s_or_b64 vcc, s[20:21], s[18:19]
	v_and_b32_e32 v4, 0xffff, v4
	s_or_b64 s[10:11], s[12:13], s[10:11]
	s_or_b64 s[6:7], s[8:9], s[6:7]
	v_cndmask_b32_e64 v7, 0, v7, s[2:3]
	v_cndmask_b32_e32 v8, 0, v8, vcc
	s_or_b64 vcc, s[16:17], s[14:15]
	v_cndmask_b32_e64 v3, 0, v3, s[10:11]
	v_cndmask_b32_e64 v6, 0, v11, s[6:7]
	v_cndmask_b32_e32 v4, 0, v4, vcc
	s_add_u32 s0, s36, s40
	v_or_b32_e32 v2, v7, v2
	v_or3_b32 v3, 0, v6, v3
	v_or_b32_e32 v4, v8, v4
	s_addc_u32 s1, s37, s41
	v_or3_b32 v2, v2, 0, 0
	v_or3_b32 v5, 0, v9, v5
	;; [unrolled: 1-line block ×3, first 2 shown]
	global_store_dwordx2 v1, v[2:3], s[0:1]
	global_store_dwordx2 v1, v[4:5], s[0:1] offset:2048
	s_mov_b64 s[0:1], 0
.LBB26_2:
	s_andn2_b64 vcc, exec, s[0:1]
	s_cbranch_vccnz .LBB26_28
; %bb.3:
	v_cmp_gt_i32_e32 vcc, s33, v0
	v_mov_b32_e32 v5, 0
	v_or_b32_e32 v2, s30, v0
	v_mov_b32_e32 v7, 0
	v_mov_b32_e32 v3, v0
	s_and_saveexec_b64 s[2:3], vcc
	s_cbranch_execz .LBB26_5
; %bb.4:
	v_mov_b32_e32 v3, 0
	v_lshlrev_b64 v[6:7], 1, v[2:3]
	v_mov_b32_e32 v1, s39
	v_add_co_u32_e64 v6, s[0:1], s38, v6
	v_addc_co_u32_e64 v7, s[0:1], v1, v7, s[0:1]
	global_load_ushort v7, v[6:7], off
	v_or_b32_e32 v3, 0x100, v0
.LBB26_5:
	s_or_b64 exec, exec, s[2:3]
	v_cmp_gt_i32_e64 s[0:1], s33, v3
	s_and_saveexec_b64 s[2:3], s[0:1]
	s_cbranch_execz .LBB26_7
; %bb.6:
	v_add_u32_e32 v4, s30, v3
	v_mov_b32_e32 v5, 0
	v_lshlrev_b64 v[4:5], 1, v[4:5]
	v_mov_b32_e32 v1, s39
	v_add_co_u32_e64 v4, s[0:1], s38, v4
	v_addc_co_u32_e64 v5, s[0:1], v1, v5, s[0:1]
	global_load_ushort v5, v[4:5], off
	v_add_u32_e32 v3, 0x100, v3
.LBB26_7:
	s_or_b64 exec, exec, s[2:3]
	v_cmp_gt_i32_e64 s[0:1], s33, v3
	v_mov_b32_e32 v6, 0
	v_mov_b32_e32 v10, 0
	s_and_saveexec_b64 s[2:3], s[0:1]
	s_cbranch_execz .LBB26_9
; %bb.8:
	v_add_u32_e32 v8, s30, v3
	v_mov_b32_e32 v9, 0
	v_lshlrev_b64 v[8:9], 1, v[8:9]
	v_mov_b32_e32 v1, s39
	v_add_co_u32_e64 v8, s[0:1], s38, v8
	v_addc_co_u32_e64 v9, s[0:1], v1, v9, s[0:1]
	global_load_ushort v10, v[8:9], off
	v_add_u32_e32 v3, 0x100, v3
.LBB26_9:
	s_or_b64 exec, exec, s[2:3]
	v_cmp_gt_i32_e64 s[0:1], s33, v3
	s_and_saveexec_b64 s[2:3], s[0:1]
	s_cbranch_execz .LBB26_11
; %bb.10:
	v_add_u32_e32 v8, s30, v3
	v_mov_b32_e32 v9, 0
	v_lshlrev_b64 v[8:9], 1, v[8:9]
	v_mov_b32_e32 v1, s39
	v_add_co_u32_e64 v8, s[0:1], s38, v8
	v_addc_co_u32_e64 v9, s[0:1], v1, v9, s[0:1]
	global_load_ushort v6, v[8:9], off
	v_add_u32_e32 v3, 0x100, v3
.LBB26_11:
	s_or_b64 exec, exec, s[2:3]
	v_cmp_gt_i32_e64 s[0:1], s33, v3
	v_mov_b32_e32 v4, 0
	v_mov_b32_e32 v9, 0
	s_and_saveexec_b64 s[2:3], s[0:1]
	s_cbranch_execz .LBB26_13
; %bb.12:
	v_add_u32_e32 v8, s30, v3
	v_mov_b32_e32 v9, 0
	v_lshlrev_b64 v[8:9], 1, v[8:9]
	v_mov_b32_e32 v1, s39
	v_add_co_u32_e64 v8, s[0:1], s38, v8
	v_addc_co_u32_e64 v9, s[0:1], v1, v9, s[0:1]
	global_load_ushort v9, v[8:9], off
	v_add_u32_e32 v3, 0x100, v3
.LBB26_13:
	;; [unrolled: 30-line block ×3, first 2 shown]
	s_or_b64 exec, exec, s[2:3]
	v_cmp_gt_i32_e64 s[0:1], s33, v3
	s_and_saveexec_b64 s[2:3], s[0:1]
	s_cbranch_execz .LBB26_19
; %bb.18:
	v_add_u32_e32 v12, s30, v3
	v_mov_b32_e32 v13, 0
	v_lshlrev_b64 v[12:13], 1, v[12:13]
	v_mov_b32_e32 v1, s39
	v_add_co_u32_e64 v12, s[0:1], s38, v12
	v_addc_co_u32_e64 v13, s[0:1], v1, v13, s[0:1]
	global_load_ushort v1, v[12:13], off
.LBB26_19:
	s_or_b64 exec, exec, s[2:3]
	s_lshl_b32 s0, s35, 16
	s_xor_b32 s1, s0, 0x80000000
	s_bfe_u32 s2, s1, 0x10010
	s_add_i32 s1, s1, s2
	s_addk_i32 s1, 0x7fff
	s_and_b32 s1, s1, 0xffff0000
	v_mov_b32_e32 v11, s0
	v_mov_b32_e32 v3, 0x7fc00000
	;; [unrolled: 1-line block ×3, first 2 shown]
	v_cmp_o_f32_e64 s[0:1], s0, s0
	v_cndmask_b32_e64 v12, v3, v12, s[0:1]
	s_and_saveexec_b64 s[2:3], vcc
	s_cbranch_execnz .LBB26_29
; %bb.20:
	s_or_b64 exec, exec, s[2:3]
	v_cmp_gt_i32_e32 vcc, s33, v0
	s_and_saveexec_b64 s[2:3], vcc
	s_cbranch_execnz .LBB26_30
.LBB26_21:
	s_or_b64 exec, exec, s[2:3]
	v_cmp_gt_i32_e32 vcc, s33, v0
	s_and_saveexec_b64 s[2:3], vcc
	s_cbranch_execnz .LBB26_31
.LBB26_22:
	s_or_b64 exec, exec, s[2:3]
	v_cmp_gt_i32_e32 vcc, s33, v0
	s_and_saveexec_b64 s[2:3], vcc
	s_cbranch_execnz .LBB26_32
.LBB26_23:
	s_or_b64 exec, exec, s[2:3]
	v_cmp_gt_i32_e32 vcc, s33, v0
	s_and_saveexec_b64 s[2:3], vcc
	s_cbranch_execnz .LBB26_33
.LBB26_24:
	s_or_b64 exec, exec, s[2:3]
	v_cmp_gt_i32_e32 vcc, s33, v0
	s_and_saveexec_b64 s[2:3], vcc
	s_cbranch_execnz .LBB26_34
.LBB26_25:
	s_or_b64 exec, exec, s[2:3]
	v_cmp_gt_i32_e32 vcc, s33, v0
	s_and_saveexec_b64 s[2:3], vcc
	s_cbranch_execnz .LBB26_35
.LBB26_26:
	s_or_b64 exec, exec, s[2:3]
	v_cmp_gt_i32_e32 vcc, s33, v0
	s_and_saveexec_b64 s[0:1], vcc
	s_cbranch_execz .LBB26_28
.LBB26_27:
	s_waitcnt vmcnt(0)
	v_lshlrev_b32_e32 v2, 16, v1
	v_cmp_nle_f32_e32 vcc, v12, v2
	v_cmp_nle_f32_e64 s[0:1], v2, v11
	s_or_b64 vcc, s[0:1], vcc
	v_cndmask_b32_e32 v2, 0, v1, vcc
	v_add_u32_e32 v0, s30, v0
	v_mov_b32_e32 v1, 0
	v_lshlrev_b64 v[0:1], 1, v[0:1]
	v_mov_b32_e32 v3, s37
	v_add_co_u32_e32 v0, vcc, s36, v0
	v_addc_co_u32_e32 v1, vcc, v3, v1, vcc
	global_store_short v[0:1], v2, off
.LBB26_28:
	s_endpgm
.LBB26_29:
	v_mov_b32_e32 v3, 0
	v_lshlrev_b64 v[2:3], 1, v[2:3]
	v_mov_b32_e32 v13, s37
	v_add_co_u32_e32 v2, vcc, s36, v2
	v_addc_co_u32_e32 v3, vcc, v13, v3, vcc
	s_waitcnt vmcnt(0)
	v_lshlrev_b32_e32 v13, 16, v7
	v_cmp_nge_f32_e32 vcc, v11, v13
	v_cmp_nle_f32_e64 s[0:1], v12, v13
	s_or_b64 vcc, vcc, s[0:1]
	v_or_b32_e32 v0, 0x100, v0
	v_cndmask_b32_e32 v7, 0, v7, vcc
	global_store_short v[2:3], v7, off
	s_or_b64 exec, exec, s[2:3]
	v_cmp_gt_i32_e32 vcc, s33, v0
	s_and_saveexec_b64 s[2:3], vcc
	s_cbranch_execz .LBB26_21
.LBB26_30:
	s_waitcnt vmcnt(0)
	v_lshlrev_b32_e32 v2, 16, v5
	v_cmp_nle_f32_e32 vcc, v12, v2
	v_cmp_nge_f32_e64 s[0:1], v11, v2
	v_add_u32_e32 v2, s30, v0
	v_mov_b32_e32 v3, 0
	s_or_b64 vcc, s[0:1], vcc
	v_lshlrev_b64 v[2:3], 1, v[2:3]
	v_cndmask_b32_e32 v5, 0, v5, vcc
	v_mov_b32_e32 v7, s37
	v_add_co_u32_e32 v2, vcc, s36, v2
	v_addc_co_u32_e32 v3, vcc, v7, v3, vcc
	v_add_u32_e32 v0, 0x100, v0
	global_store_short v[2:3], v5, off
	s_or_b64 exec, exec, s[2:3]
	v_cmp_gt_i32_e32 vcc, s33, v0
	s_and_saveexec_b64 s[2:3], vcc
	s_cbranch_execz .LBB26_22
.LBB26_31:
	s_waitcnt vmcnt(0)
	v_lshlrev_b32_e32 v2, 16, v10
	v_cmp_nle_f32_e32 vcc, v12, v2
	v_cmp_nge_f32_e64 s[0:1], v11, v2
	v_add_u32_e32 v2, s30, v0
	v_mov_b32_e32 v3, 0
	s_or_b64 vcc, s[0:1], vcc
	v_lshlrev_b64 v[2:3], 1, v[2:3]
	v_cndmask_b32_e32 v5, 0, v10, vcc
	v_mov_b32_e32 v7, s37
	v_add_co_u32_e32 v2, vcc, s36, v2
	v_addc_co_u32_e32 v3, vcc, v7, v3, vcc
	v_add_u32_e32 v0, 0x100, v0
	global_store_short v[2:3], v5, off
	s_or_b64 exec, exec, s[2:3]
	v_cmp_gt_i32_e32 vcc, s33, v0
	s_and_saveexec_b64 s[2:3], vcc
	s_cbranch_execz .LBB26_23
.LBB26_32:
	s_waitcnt vmcnt(0)
	v_lshlrev_b32_e32 v2, 16, v6
	v_cmp_nle_f32_e32 vcc, v12, v2
	v_cmp_nge_f32_e64 s[0:1], v11, v2
	v_add_u32_e32 v2, s30, v0
	v_mov_b32_e32 v3, 0
	s_or_b64 vcc, s[0:1], vcc
	v_lshlrev_b64 v[2:3], 1, v[2:3]
	v_cndmask_b32_e32 v5, 0, v6, vcc
	v_mov_b32_e32 v6, s37
	v_add_co_u32_e32 v2, vcc, s36, v2
	v_addc_co_u32_e32 v3, vcc, v6, v3, vcc
	v_add_u32_e32 v0, 0x100, v0
	global_store_short v[2:3], v5, off
	s_or_b64 exec, exec, s[2:3]
	v_cmp_gt_i32_e32 vcc, s33, v0
	s_and_saveexec_b64 s[2:3], vcc
	s_cbranch_execz .LBB26_24
.LBB26_33:
	s_waitcnt vmcnt(0)
	v_lshlrev_b32_e32 v2, 16, v9
	v_cmp_nle_f32_e32 vcc, v12, v2
	v_cmp_nge_f32_e64 s[0:1], v11, v2
	v_add_u32_e32 v2, s30, v0
	v_mov_b32_e32 v3, 0
	s_or_b64 vcc, s[0:1], vcc
	v_lshlrev_b64 v[2:3], 1, v[2:3]
	v_cndmask_b32_e32 v5, 0, v9, vcc
	v_mov_b32_e32 v6, s37
	v_add_co_u32_e32 v2, vcc, s36, v2
	v_addc_co_u32_e32 v3, vcc, v6, v3, vcc
	v_add_u32_e32 v0, 0x100, v0
	global_store_short v[2:3], v5, off
	s_or_b64 exec, exec, s[2:3]
	v_cmp_gt_i32_e32 vcc, s33, v0
	s_and_saveexec_b64 s[2:3], vcc
	s_cbranch_execz .LBB26_25
.LBB26_34:
	s_waitcnt vmcnt(0)
	v_lshlrev_b32_e32 v2, 16, v4
	v_cmp_nle_f32_e32 vcc, v12, v2
	v_cmp_nge_f32_e64 s[0:1], v11, v2
	v_add_u32_e32 v2, s30, v0
	v_mov_b32_e32 v3, 0
	s_or_b64 vcc, s[0:1], vcc
	v_lshlrev_b64 v[2:3], 1, v[2:3]
	v_cndmask_b32_e32 v4, 0, v4, vcc
	v_mov_b32_e32 v5, s37
	v_add_co_u32_e32 v2, vcc, s36, v2
	v_addc_co_u32_e32 v3, vcc, v5, v3, vcc
	v_add_u32_e32 v0, 0x100, v0
	global_store_short v[2:3], v4, off
	s_or_b64 exec, exec, s[2:3]
	v_cmp_gt_i32_e32 vcc, s33, v0
	s_and_saveexec_b64 s[2:3], vcc
	s_cbranch_execz .LBB26_26
.LBB26_35:
	s_waitcnt vmcnt(0)
	v_lshlrev_b32_e32 v2, 16, v8
	v_cmp_nle_f32_e32 vcc, v12, v2
	v_cmp_nge_f32_e64 s[0:1], v11, v2
	v_add_u32_e32 v2, s30, v0
	v_mov_b32_e32 v3, 0
	s_or_b64 vcc, s[0:1], vcc
	v_lshlrev_b64 v[2:3], 1, v[2:3]
	v_cndmask_b32_e32 v4, 0, v8, vcc
	v_mov_b32_e32 v5, s37
	v_add_co_u32_e32 v2, vcc, s36, v2
	v_addc_co_u32_e32 v3, vcc, v5, v3, vcc
	v_add_u32_e32 v0, 0x100, v0
	global_store_short v[2:3], v4, off
	s_or_b64 exec, exec, s[2:3]
	v_cmp_gt_i32_e32 vcc, s33, v0
	s_and_saveexec_b64 s[0:1], vcc
	s_cbranch_execnz .LBB26_27
	s_branch .LBB26_28
	.section	.rodata,"a",@progbits
	.p2align	6, 0x0
	.amdhsa_kernel _ZN2at6native29vectorized_elementwise_kernelILi4EZZZNS0_12_GLOBAL__N_117hardshrink_kernelERNS_18TensorIteratorBaseERKN3c106ScalarEENKUlvE_clEvENKUlvE2_clEvEUlNS5_8BFloat16EE_St5arrayIPcLm2EEEEviT0_T1_
		.amdhsa_group_segment_fixed_size 0
		.amdhsa_private_segment_fixed_size 0
		.amdhsa_kernarg_size 24
		.amdhsa_user_sgpr_count 6
		.amdhsa_user_sgpr_private_segment_buffer 1
		.amdhsa_user_sgpr_dispatch_ptr 0
		.amdhsa_user_sgpr_queue_ptr 0
		.amdhsa_user_sgpr_kernarg_segment_ptr 1
		.amdhsa_user_sgpr_dispatch_id 0
		.amdhsa_user_sgpr_flat_scratch_init 0
		.amdhsa_user_sgpr_kernarg_preload_length 0
		.amdhsa_user_sgpr_kernarg_preload_offset 0
		.amdhsa_user_sgpr_private_segment_size 0
		.amdhsa_uses_dynamic_stack 0
		.amdhsa_system_sgpr_private_segment_wavefront_offset 0
		.amdhsa_system_sgpr_workgroup_id_x 1
		.amdhsa_system_sgpr_workgroup_id_y 0
		.amdhsa_system_sgpr_workgroup_id_z 0
		.amdhsa_system_sgpr_workgroup_info 0
		.amdhsa_system_vgpr_workitem_id 0
		.amdhsa_next_free_vgpr 15
		.amdhsa_next_free_sgpr 42
		.amdhsa_accum_offset 16
		.amdhsa_reserve_vcc 1
		.amdhsa_reserve_flat_scratch 0
		.amdhsa_float_round_mode_32 0
		.amdhsa_float_round_mode_16_64 0
		.amdhsa_float_denorm_mode_32 3
		.amdhsa_float_denorm_mode_16_64 3
		.amdhsa_dx10_clamp 1
		.amdhsa_ieee_mode 1
		.amdhsa_fp16_overflow 0
		.amdhsa_tg_split 0
		.amdhsa_exception_fp_ieee_invalid_op 0
		.amdhsa_exception_fp_denorm_src 0
		.amdhsa_exception_fp_ieee_div_zero 0
		.amdhsa_exception_fp_ieee_overflow 0
		.amdhsa_exception_fp_ieee_underflow 0
		.amdhsa_exception_fp_ieee_inexact 0
		.amdhsa_exception_int_div_zero 0
	.end_amdhsa_kernel
	.section	.text._ZN2at6native29vectorized_elementwise_kernelILi4EZZZNS0_12_GLOBAL__N_117hardshrink_kernelERNS_18TensorIteratorBaseERKN3c106ScalarEENKUlvE_clEvENKUlvE2_clEvEUlNS5_8BFloat16EE_St5arrayIPcLm2EEEEviT0_T1_,"axG",@progbits,_ZN2at6native29vectorized_elementwise_kernelILi4EZZZNS0_12_GLOBAL__N_117hardshrink_kernelERNS_18TensorIteratorBaseERKN3c106ScalarEENKUlvE_clEvENKUlvE2_clEvEUlNS5_8BFloat16EE_St5arrayIPcLm2EEEEviT0_T1_,comdat
.Lfunc_end26:
	.size	_ZN2at6native29vectorized_elementwise_kernelILi4EZZZNS0_12_GLOBAL__N_117hardshrink_kernelERNS_18TensorIteratorBaseERKN3c106ScalarEENKUlvE_clEvENKUlvE2_clEvEUlNS5_8BFloat16EE_St5arrayIPcLm2EEEEviT0_T1_, .Lfunc_end26-_ZN2at6native29vectorized_elementwise_kernelILi4EZZZNS0_12_GLOBAL__N_117hardshrink_kernelERNS_18TensorIteratorBaseERKN3c106ScalarEENKUlvE_clEvENKUlvE2_clEvEUlNS5_8BFloat16EE_St5arrayIPcLm2EEEEviT0_T1_
                                        ; -- End function
	.section	.AMDGPU.csdata,"",@progbits
; Kernel info:
; codeLenInByte = 1972
; NumSgprs: 46
; NumVgprs: 15
; NumAgprs: 0
; TotalNumVgprs: 15
; ScratchSize: 0
; MemoryBound: 0
; FloatMode: 240
; IeeeMode: 1
; LDSByteSize: 0 bytes/workgroup (compile time only)
; SGPRBlocks: 5
; VGPRBlocks: 1
; NumSGPRsForWavesPerEU: 46
; NumVGPRsForWavesPerEU: 15
; AccumOffset: 16
; Occupancy: 8
; WaveLimiterHint : 1
; COMPUTE_PGM_RSRC2:SCRATCH_EN: 0
; COMPUTE_PGM_RSRC2:USER_SGPR: 6
; COMPUTE_PGM_RSRC2:TRAP_HANDLER: 0
; COMPUTE_PGM_RSRC2:TGID_X_EN: 1
; COMPUTE_PGM_RSRC2:TGID_Y_EN: 0
; COMPUTE_PGM_RSRC2:TGID_Z_EN: 0
; COMPUTE_PGM_RSRC2:TIDIG_COMP_CNT: 0
; COMPUTE_PGM_RSRC3_GFX90A:ACCUM_OFFSET: 3
; COMPUTE_PGM_RSRC3_GFX90A:TG_SPLIT: 0
	.section	.text._ZN2at6native29vectorized_elementwise_kernelILi2EZZZNS0_12_GLOBAL__N_117hardshrink_kernelERNS_18TensorIteratorBaseERKN3c106ScalarEENKUlvE_clEvENKUlvE2_clEvEUlNS5_8BFloat16EE_St5arrayIPcLm2EEEEviT0_T1_,"axG",@progbits,_ZN2at6native29vectorized_elementwise_kernelILi2EZZZNS0_12_GLOBAL__N_117hardshrink_kernelERNS_18TensorIteratorBaseERKN3c106ScalarEENKUlvE_clEvENKUlvE2_clEvEUlNS5_8BFloat16EE_St5arrayIPcLm2EEEEviT0_T1_,comdat
	.globl	_ZN2at6native29vectorized_elementwise_kernelILi2EZZZNS0_12_GLOBAL__N_117hardshrink_kernelERNS_18TensorIteratorBaseERKN3c106ScalarEENKUlvE_clEvENKUlvE2_clEvEUlNS5_8BFloat16EE_St5arrayIPcLm2EEEEviT0_T1_ ; -- Begin function _ZN2at6native29vectorized_elementwise_kernelILi2EZZZNS0_12_GLOBAL__N_117hardshrink_kernelERNS_18TensorIteratorBaseERKN3c106ScalarEENKUlvE_clEvENKUlvE2_clEvEUlNS5_8BFloat16EE_St5arrayIPcLm2EEEEviT0_T1_
	.p2align	8
	.type	_ZN2at6native29vectorized_elementwise_kernelILi2EZZZNS0_12_GLOBAL__N_117hardshrink_kernelERNS_18TensorIteratorBaseERKN3c106ScalarEENKUlvE_clEvENKUlvE2_clEvEUlNS5_8BFloat16EE_St5arrayIPcLm2EEEEviT0_T1_,@function
_ZN2at6native29vectorized_elementwise_kernelILi2EZZZNS0_12_GLOBAL__N_117hardshrink_kernelERNS_18TensorIteratorBaseERKN3c106ScalarEENKUlvE_clEvENKUlvE2_clEvEUlNS5_8BFloat16EE_St5arrayIPcLm2EEEEviT0_T1_: ; @_ZN2at6native29vectorized_elementwise_kernelILi2EZZZNS0_12_GLOBAL__N_117hardshrink_kernelERNS_18TensorIteratorBaseERKN3c106ScalarEENKUlvE_clEvENKUlvE2_clEvEUlNS5_8BFloat16EE_St5arrayIPcLm2EEEEviT0_T1_
; %bb.0:
	s_load_dwordx2 s[34:35], s[4:5], 0x0
	s_load_dwordx4 s[36:39], s[4:5], 0x8
	s_lshl_b32 s30, s6, 11
	s_mov_b64 s[0:1], -1
	s_waitcnt lgkmcnt(0)
	s_sub_i32 s33, s34, s30
	s_cmpk_gt_i32 s33, 0x7ff
	s_cbranch_scc0 .LBB27_2
; %bb.1:
	s_ashr_i32 s31, s30, 31
	s_lshl_b64 s[40:41], s[30:31], 1
	s_add_u32 s0, s38, s40
	s_addc_u32 s1, s39, s41
	v_lshlrev_b32_e32 v1, 2, v0
	global_load_dword v2, v1, s[0:1]
	global_load_dword v3, v1, s[0:1] offset:1024
	global_load_dword v4, v1, s[0:1] offset:2048
	;; [unrolled: 1-line block ×3, first 2 shown]
	s_lshl_b32 s28, s35, 16
	s_xor_b32 s0, s28, 0x80000000
	s_bfe_u32 s1, s0, 0x10010
	s_add_i32 s0, s0, s1
	s_addk_i32 s0, 0x7fff
	s_and_b32 s0, s0, 0xffff0000
	v_mov_b32_e32 v6, 0x7fc00000
	v_mov_b32_e32 v7, s0
	v_cmp_o_f32_e64 vcc, s28, s28
	v_cndmask_b32_e32 v6, v6, v7, vcc
	s_waitcnt vmcnt(3)
	v_lshlrev_b32_e32 v11, 16, v2
	v_and_b32_e32 v7, 0xffff0000, v2
	s_waitcnt vmcnt(2)
	v_and_b32_e32 v8, 0xffff0000, v3
	v_cmp_nle_f32_e32 vcc, v6, v11
	v_cmp_nge_f32_e64 s[0:1], s28, v11
	v_and_b32_e32 v2, 0xffff, v2
	v_lshlrev_b32_e32 v12, 16, v3
	v_cmp_nle_f32_e64 s[2:3], v6, v7
	v_cmp_nge_f32_e64 s[4:5], s28, v7
	v_cmp_nle_f32_e64 s[10:11], v6, v8
	v_cmp_nge_f32_e64 s[12:13], s28, v8
	s_or_b64 vcc, s[0:1], vcc
	s_waitcnt vmcnt(1)
	v_and_b32_e32 v9, 0xffff0000, v4
	s_waitcnt vmcnt(0)
	v_and_b32_e32 v10, 0xffff0000, v5
	v_lshlrev_b32_e32 v13, 16, v4
	v_lshlrev_b32_e32 v14, 16, v5
	v_cmp_nle_f32_e64 s[6:7], v6, v12
	v_cmp_nge_f32_e64 s[8:9], s28, v12
	s_or_b64 s[2:3], s[4:5], s[2:3]
	v_cndmask_b32_e32 v2, 0, v2, vcc
	s_or_b64 vcc, s[12:13], s[10:11]
	v_and_b32_e32 v3, 0xffff, v3
	v_cmp_nle_f32_e64 s[14:15], v6, v13
	v_cmp_nle_f32_e64 s[18:19], v6, v9
	v_cmp_nge_f32_e64 s[20:21], s28, v9
	v_cmp_nle_f32_e64 s[22:23], v6, v14
	v_cmp_nle_f32_e64 s[26:27], v6, v10
	v_cndmask_b32_e64 v6, 0, v7, s[2:3]
	v_cndmask_b32_e32 v7, 0, v8, vcc
	s_or_b64 vcc, s[8:9], s[6:7]
	v_cmp_nge_f32_e64 s[16:17], s28, v13
	v_cndmask_b32_e32 v3, 0, v3, vcc
	s_or_b64 vcc, s[20:21], s[18:19]
	v_and_b32_e32 v4, 0xffff, v4
	v_cmp_nge_f32_e64 s[24:25], s28, v14
	v_cmp_nge_f32_e64 s[28:29], s28, v10
	v_cndmask_b32_e32 v8, 0, v9, vcc
	s_or_b64 vcc, s[16:17], s[14:15]
	v_cndmask_b32_e32 v4, 0, v4, vcc
	s_or_b64 vcc, s[28:29], s[26:27]
	;; [unrolled: 2-line block ×3, first 2 shown]
	v_and_b32_e32 v5, 0xffff, v5
	s_add_u32 s0, s36, s40
	v_cndmask_b32_e32 v5, 0, v5, vcc
	v_or_b32_e32 v2, v6, v2
	s_addc_u32 s1, s37, s41
	v_or_b32_e32 v3, v7, v3
	v_or_b32_e32 v4, v8, v4
	;; [unrolled: 1-line block ×3, first 2 shown]
	global_store_dword v1, v2, s[0:1]
	global_store_dword v1, v3, s[0:1] offset:1024
	global_store_dword v1, v4, s[0:1] offset:2048
	;; [unrolled: 1-line block ×3, first 2 shown]
	s_mov_b64 s[0:1], 0
.LBB27_2:
	s_andn2_b64 vcc, exec, s[0:1]
	s_cbranch_vccnz .LBB27_28
; %bb.3:
	v_cmp_gt_i32_e32 vcc, s33, v0
	v_mov_b32_e32 v5, 0
	v_or_b32_e32 v2, s30, v0
	v_mov_b32_e32 v7, 0
	v_mov_b32_e32 v3, v0
	s_and_saveexec_b64 s[2:3], vcc
	s_cbranch_execz .LBB27_5
; %bb.4:
	v_mov_b32_e32 v3, 0
	v_lshlrev_b64 v[6:7], 1, v[2:3]
	v_mov_b32_e32 v1, s39
	v_add_co_u32_e64 v6, s[0:1], s38, v6
	v_addc_co_u32_e64 v7, s[0:1], v1, v7, s[0:1]
	global_load_ushort v7, v[6:7], off
	v_or_b32_e32 v3, 0x100, v0
.LBB27_5:
	s_or_b64 exec, exec, s[2:3]
	v_cmp_gt_i32_e64 s[0:1], s33, v3
	s_and_saveexec_b64 s[2:3], s[0:1]
	s_cbranch_execz .LBB27_7
; %bb.6:
	v_add_u32_e32 v4, s30, v3
	v_mov_b32_e32 v5, 0
	v_lshlrev_b64 v[4:5], 1, v[4:5]
	v_mov_b32_e32 v1, s39
	v_add_co_u32_e64 v4, s[0:1], s38, v4
	v_addc_co_u32_e64 v5, s[0:1], v1, v5, s[0:1]
	global_load_ushort v5, v[4:5], off
	v_add_u32_e32 v3, 0x100, v3
.LBB27_7:
	s_or_b64 exec, exec, s[2:3]
	v_cmp_gt_i32_e64 s[0:1], s33, v3
	v_mov_b32_e32 v6, 0
	v_mov_b32_e32 v10, 0
	s_and_saveexec_b64 s[2:3], s[0:1]
	s_cbranch_execz .LBB27_9
; %bb.8:
	v_add_u32_e32 v8, s30, v3
	v_mov_b32_e32 v9, 0
	v_lshlrev_b64 v[8:9], 1, v[8:9]
	v_mov_b32_e32 v1, s39
	v_add_co_u32_e64 v8, s[0:1], s38, v8
	v_addc_co_u32_e64 v9, s[0:1], v1, v9, s[0:1]
	global_load_ushort v10, v[8:9], off
	v_add_u32_e32 v3, 0x100, v3
.LBB27_9:
	s_or_b64 exec, exec, s[2:3]
	v_cmp_gt_i32_e64 s[0:1], s33, v3
	s_and_saveexec_b64 s[2:3], s[0:1]
	s_cbranch_execz .LBB27_11
; %bb.10:
	v_add_u32_e32 v8, s30, v3
	v_mov_b32_e32 v9, 0
	v_lshlrev_b64 v[8:9], 1, v[8:9]
	v_mov_b32_e32 v1, s39
	v_add_co_u32_e64 v8, s[0:1], s38, v8
	v_addc_co_u32_e64 v9, s[0:1], v1, v9, s[0:1]
	global_load_ushort v6, v[8:9], off
	v_add_u32_e32 v3, 0x100, v3
.LBB27_11:
	s_or_b64 exec, exec, s[2:3]
	v_cmp_gt_i32_e64 s[0:1], s33, v3
	v_mov_b32_e32 v4, 0
	v_mov_b32_e32 v9, 0
	s_and_saveexec_b64 s[2:3], s[0:1]
	s_cbranch_execz .LBB27_13
; %bb.12:
	v_add_u32_e32 v8, s30, v3
	v_mov_b32_e32 v9, 0
	v_lshlrev_b64 v[8:9], 1, v[8:9]
	v_mov_b32_e32 v1, s39
	v_add_co_u32_e64 v8, s[0:1], s38, v8
	v_addc_co_u32_e64 v9, s[0:1], v1, v9, s[0:1]
	global_load_ushort v9, v[8:9], off
	v_add_u32_e32 v3, 0x100, v3
.LBB27_13:
	;; [unrolled: 30-line block ×3, first 2 shown]
	s_or_b64 exec, exec, s[2:3]
	v_cmp_gt_i32_e64 s[0:1], s33, v3
	s_and_saveexec_b64 s[2:3], s[0:1]
	s_cbranch_execz .LBB27_19
; %bb.18:
	v_add_u32_e32 v12, s30, v3
	v_mov_b32_e32 v13, 0
	v_lshlrev_b64 v[12:13], 1, v[12:13]
	v_mov_b32_e32 v1, s39
	v_add_co_u32_e64 v12, s[0:1], s38, v12
	v_addc_co_u32_e64 v13, s[0:1], v1, v13, s[0:1]
	global_load_ushort v1, v[12:13], off
.LBB27_19:
	s_or_b64 exec, exec, s[2:3]
	s_lshl_b32 s0, s35, 16
	s_xor_b32 s1, s0, 0x80000000
	s_bfe_u32 s2, s1, 0x10010
	s_add_i32 s1, s1, s2
	s_addk_i32 s1, 0x7fff
	s_and_b32 s1, s1, 0xffff0000
	v_mov_b32_e32 v11, s0
	v_mov_b32_e32 v3, 0x7fc00000
	;; [unrolled: 1-line block ×3, first 2 shown]
	v_cmp_o_f32_e64 s[0:1], s0, s0
	v_cndmask_b32_e64 v12, v3, v12, s[0:1]
	s_and_saveexec_b64 s[2:3], vcc
	s_cbranch_execnz .LBB27_29
; %bb.20:
	s_or_b64 exec, exec, s[2:3]
	v_cmp_gt_i32_e32 vcc, s33, v0
	s_and_saveexec_b64 s[2:3], vcc
	s_cbranch_execnz .LBB27_30
.LBB27_21:
	s_or_b64 exec, exec, s[2:3]
	v_cmp_gt_i32_e32 vcc, s33, v0
	s_and_saveexec_b64 s[2:3], vcc
	s_cbranch_execnz .LBB27_31
.LBB27_22:
	s_or_b64 exec, exec, s[2:3]
	v_cmp_gt_i32_e32 vcc, s33, v0
	s_and_saveexec_b64 s[2:3], vcc
	s_cbranch_execnz .LBB27_32
.LBB27_23:
	s_or_b64 exec, exec, s[2:3]
	v_cmp_gt_i32_e32 vcc, s33, v0
	s_and_saveexec_b64 s[2:3], vcc
	s_cbranch_execnz .LBB27_33
.LBB27_24:
	s_or_b64 exec, exec, s[2:3]
	v_cmp_gt_i32_e32 vcc, s33, v0
	s_and_saveexec_b64 s[2:3], vcc
	s_cbranch_execnz .LBB27_34
.LBB27_25:
	s_or_b64 exec, exec, s[2:3]
	v_cmp_gt_i32_e32 vcc, s33, v0
	s_and_saveexec_b64 s[2:3], vcc
	s_cbranch_execnz .LBB27_35
.LBB27_26:
	s_or_b64 exec, exec, s[2:3]
	v_cmp_gt_i32_e32 vcc, s33, v0
	s_and_saveexec_b64 s[0:1], vcc
	s_cbranch_execz .LBB27_28
.LBB27_27:
	s_waitcnt vmcnt(0)
	v_lshlrev_b32_e32 v2, 16, v1
	v_cmp_nle_f32_e32 vcc, v12, v2
	v_cmp_nle_f32_e64 s[0:1], v2, v11
	s_or_b64 vcc, s[0:1], vcc
	v_cndmask_b32_e32 v2, 0, v1, vcc
	v_add_u32_e32 v0, s30, v0
	v_mov_b32_e32 v1, 0
	v_lshlrev_b64 v[0:1], 1, v[0:1]
	v_mov_b32_e32 v3, s37
	v_add_co_u32_e32 v0, vcc, s36, v0
	v_addc_co_u32_e32 v1, vcc, v3, v1, vcc
	global_store_short v[0:1], v2, off
.LBB27_28:
	s_endpgm
.LBB27_29:
	v_mov_b32_e32 v3, 0
	v_lshlrev_b64 v[2:3], 1, v[2:3]
	v_mov_b32_e32 v13, s37
	v_add_co_u32_e32 v2, vcc, s36, v2
	v_addc_co_u32_e32 v3, vcc, v13, v3, vcc
	s_waitcnt vmcnt(0)
	v_lshlrev_b32_e32 v13, 16, v7
	v_cmp_nge_f32_e32 vcc, v11, v13
	v_cmp_nle_f32_e64 s[0:1], v12, v13
	s_or_b64 vcc, vcc, s[0:1]
	v_or_b32_e32 v0, 0x100, v0
	v_cndmask_b32_e32 v7, 0, v7, vcc
	global_store_short v[2:3], v7, off
	s_or_b64 exec, exec, s[2:3]
	v_cmp_gt_i32_e32 vcc, s33, v0
	s_and_saveexec_b64 s[2:3], vcc
	s_cbranch_execz .LBB27_21
.LBB27_30:
	s_waitcnt vmcnt(0)
	v_lshlrev_b32_e32 v2, 16, v5
	v_cmp_nle_f32_e32 vcc, v12, v2
	v_cmp_nge_f32_e64 s[0:1], v11, v2
	v_add_u32_e32 v2, s30, v0
	v_mov_b32_e32 v3, 0
	s_or_b64 vcc, s[0:1], vcc
	v_lshlrev_b64 v[2:3], 1, v[2:3]
	v_cndmask_b32_e32 v5, 0, v5, vcc
	v_mov_b32_e32 v7, s37
	v_add_co_u32_e32 v2, vcc, s36, v2
	v_addc_co_u32_e32 v3, vcc, v7, v3, vcc
	v_add_u32_e32 v0, 0x100, v0
	global_store_short v[2:3], v5, off
	s_or_b64 exec, exec, s[2:3]
	v_cmp_gt_i32_e32 vcc, s33, v0
	s_and_saveexec_b64 s[2:3], vcc
	s_cbranch_execz .LBB27_22
.LBB27_31:
	s_waitcnt vmcnt(0)
	v_lshlrev_b32_e32 v2, 16, v10
	v_cmp_nle_f32_e32 vcc, v12, v2
	v_cmp_nge_f32_e64 s[0:1], v11, v2
	v_add_u32_e32 v2, s30, v0
	v_mov_b32_e32 v3, 0
	s_or_b64 vcc, s[0:1], vcc
	v_lshlrev_b64 v[2:3], 1, v[2:3]
	v_cndmask_b32_e32 v5, 0, v10, vcc
	v_mov_b32_e32 v7, s37
	v_add_co_u32_e32 v2, vcc, s36, v2
	v_addc_co_u32_e32 v3, vcc, v7, v3, vcc
	v_add_u32_e32 v0, 0x100, v0
	global_store_short v[2:3], v5, off
	s_or_b64 exec, exec, s[2:3]
	v_cmp_gt_i32_e32 vcc, s33, v0
	s_and_saveexec_b64 s[2:3], vcc
	s_cbranch_execz .LBB27_23
.LBB27_32:
	s_waitcnt vmcnt(0)
	v_lshlrev_b32_e32 v2, 16, v6
	v_cmp_nle_f32_e32 vcc, v12, v2
	v_cmp_nge_f32_e64 s[0:1], v11, v2
	v_add_u32_e32 v2, s30, v0
	v_mov_b32_e32 v3, 0
	s_or_b64 vcc, s[0:1], vcc
	v_lshlrev_b64 v[2:3], 1, v[2:3]
	v_cndmask_b32_e32 v5, 0, v6, vcc
	v_mov_b32_e32 v6, s37
	v_add_co_u32_e32 v2, vcc, s36, v2
	v_addc_co_u32_e32 v3, vcc, v6, v3, vcc
	v_add_u32_e32 v0, 0x100, v0
	global_store_short v[2:3], v5, off
	s_or_b64 exec, exec, s[2:3]
	v_cmp_gt_i32_e32 vcc, s33, v0
	s_and_saveexec_b64 s[2:3], vcc
	s_cbranch_execz .LBB27_24
.LBB27_33:
	s_waitcnt vmcnt(0)
	v_lshlrev_b32_e32 v2, 16, v9
	v_cmp_nle_f32_e32 vcc, v12, v2
	v_cmp_nge_f32_e64 s[0:1], v11, v2
	v_add_u32_e32 v2, s30, v0
	v_mov_b32_e32 v3, 0
	s_or_b64 vcc, s[0:1], vcc
	v_lshlrev_b64 v[2:3], 1, v[2:3]
	v_cndmask_b32_e32 v5, 0, v9, vcc
	v_mov_b32_e32 v6, s37
	v_add_co_u32_e32 v2, vcc, s36, v2
	v_addc_co_u32_e32 v3, vcc, v6, v3, vcc
	v_add_u32_e32 v0, 0x100, v0
	global_store_short v[2:3], v5, off
	s_or_b64 exec, exec, s[2:3]
	v_cmp_gt_i32_e32 vcc, s33, v0
	s_and_saveexec_b64 s[2:3], vcc
	s_cbranch_execz .LBB27_25
.LBB27_34:
	s_waitcnt vmcnt(0)
	v_lshlrev_b32_e32 v2, 16, v4
	v_cmp_nle_f32_e32 vcc, v12, v2
	v_cmp_nge_f32_e64 s[0:1], v11, v2
	v_add_u32_e32 v2, s30, v0
	v_mov_b32_e32 v3, 0
	s_or_b64 vcc, s[0:1], vcc
	v_lshlrev_b64 v[2:3], 1, v[2:3]
	v_cndmask_b32_e32 v4, 0, v4, vcc
	v_mov_b32_e32 v5, s37
	v_add_co_u32_e32 v2, vcc, s36, v2
	v_addc_co_u32_e32 v3, vcc, v5, v3, vcc
	v_add_u32_e32 v0, 0x100, v0
	global_store_short v[2:3], v4, off
	s_or_b64 exec, exec, s[2:3]
	v_cmp_gt_i32_e32 vcc, s33, v0
	s_and_saveexec_b64 s[2:3], vcc
	s_cbranch_execz .LBB27_26
.LBB27_35:
	s_waitcnt vmcnt(0)
	v_lshlrev_b32_e32 v2, 16, v8
	v_cmp_nle_f32_e32 vcc, v12, v2
	v_cmp_nge_f32_e64 s[0:1], v11, v2
	v_add_u32_e32 v2, s30, v0
	v_mov_b32_e32 v3, 0
	s_or_b64 vcc, s[0:1], vcc
	v_lshlrev_b64 v[2:3], 1, v[2:3]
	v_cndmask_b32_e32 v4, 0, v8, vcc
	v_mov_b32_e32 v5, s37
	v_add_co_u32_e32 v2, vcc, s36, v2
	v_addc_co_u32_e32 v3, vcc, v5, v3, vcc
	v_add_u32_e32 v0, 0x100, v0
	global_store_short v[2:3], v4, off
	s_or_b64 exec, exec, s[2:3]
	v_cmp_gt_i32_e32 vcc, s33, v0
	s_and_saveexec_b64 s[0:1], vcc
	s_cbranch_execnz .LBB27_27
	s_branch .LBB27_28
	.section	.rodata,"a",@progbits
	.p2align	6, 0x0
	.amdhsa_kernel _ZN2at6native29vectorized_elementwise_kernelILi2EZZZNS0_12_GLOBAL__N_117hardshrink_kernelERNS_18TensorIteratorBaseERKN3c106ScalarEENKUlvE_clEvENKUlvE2_clEvEUlNS5_8BFloat16EE_St5arrayIPcLm2EEEEviT0_T1_
		.amdhsa_group_segment_fixed_size 0
		.amdhsa_private_segment_fixed_size 0
		.amdhsa_kernarg_size 24
		.amdhsa_user_sgpr_count 6
		.amdhsa_user_sgpr_private_segment_buffer 1
		.amdhsa_user_sgpr_dispatch_ptr 0
		.amdhsa_user_sgpr_queue_ptr 0
		.amdhsa_user_sgpr_kernarg_segment_ptr 1
		.amdhsa_user_sgpr_dispatch_id 0
		.amdhsa_user_sgpr_flat_scratch_init 0
		.amdhsa_user_sgpr_kernarg_preload_length 0
		.amdhsa_user_sgpr_kernarg_preload_offset 0
		.amdhsa_user_sgpr_private_segment_size 0
		.amdhsa_uses_dynamic_stack 0
		.amdhsa_system_sgpr_private_segment_wavefront_offset 0
		.amdhsa_system_sgpr_workgroup_id_x 1
		.amdhsa_system_sgpr_workgroup_id_y 0
		.amdhsa_system_sgpr_workgroup_id_z 0
		.amdhsa_system_sgpr_workgroup_info 0
		.amdhsa_system_vgpr_workitem_id 0
		.amdhsa_next_free_vgpr 15
		.amdhsa_next_free_sgpr 42
		.amdhsa_accum_offset 16
		.amdhsa_reserve_vcc 1
		.amdhsa_reserve_flat_scratch 0
		.amdhsa_float_round_mode_32 0
		.amdhsa_float_round_mode_16_64 0
		.amdhsa_float_denorm_mode_32 3
		.amdhsa_float_denorm_mode_16_64 3
		.amdhsa_dx10_clamp 1
		.amdhsa_ieee_mode 1
		.amdhsa_fp16_overflow 0
		.amdhsa_tg_split 0
		.amdhsa_exception_fp_ieee_invalid_op 0
		.amdhsa_exception_fp_denorm_src 0
		.amdhsa_exception_fp_ieee_div_zero 0
		.amdhsa_exception_fp_ieee_overflow 0
		.amdhsa_exception_fp_ieee_underflow 0
		.amdhsa_exception_fp_ieee_inexact 0
		.amdhsa_exception_int_div_zero 0
	.end_amdhsa_kernel
	.section	.text._ZN2at6native29vectorized_elementwise_kernelILi2EZZZNS0_12_GLOBAL__N_117hardshrink_kernelERNS_18TensorIteratorBaseERKN3c106ScalarEENKUlvE_clEvENKUlvE2_clEvEUlNS5_8BFloat16EE_St5arrayIPcLm2EEEEviT0_T1_,"axG",@progbits,_ZN2at6native29vectorized_elementwise_kernelILi2EZZZNS0_12_GLOBAL__N_117hardshrink_kernelERNS_18TensorIteratorBaseERKN3c106ScalarEENKUlvE_clEvENKUlvE2_clEvEUlNS5_8BFloat16EE_St5arrayIPcLm2EEEEviT0_T1_,comdat
.Lfunc_end27:
	.size	_ZN2at6native29vectorized_elementwise_kernelILi2EZZZNS0_12_GLOBAL__N_117hardshrink_kernelERNS_18TensorIteratorBaseERKN3c106ScalarEENKUlvE_clEvENKUlvE2_clEvEUlNS5_8BFloat16EE_St5arrayIPcLm2EEEEviT0_T1_, .Lfunc_end27-_ZN2at6native29vectorized_elementwise_kernelILi2EZZZNS0_12_GLOBAL__N_117hardshrink_kernelERNS_18TensorIteratorBaseERKN3c106ScalarEENKUlvE_clEvENKUlvE2_clEvEUlNS5_8BFloat16EE_St5arrayIPcLm2EEEEviT0_T1_
                                        ; -- End function
	.section	.AMDGPU.csdata,"",@progbits
; Kernel info:
; codeLenInByte = 1980
; NumSgprs: 46
; NumVgprs: 15
; NumAgprs: 0
; TotalNumVgprs: 15
; ScratchSize: 0
; MemoryBound: 0
; FloatMode: 240
; IeeeMode: 1
; LDSByteSize: 0 bytes/workgroup (compile time only)
; SGPRBlocks: 5
; VGPRBlocks: 1
; NumSGPRsForWavesPerEU: 46
; NumVGPRsForWavesPerEU: 15
; AccumOffset: 16
; Occupancy: 8
; WaveLimiterHint : 1
; COMPUTE_PGM_RSRC2:SCRATCH_EN: 0
; COMPUTE_PGM_RSRC2:USER_SGPR: 6
; COMPUTE_PGM_RSRC2:TRAP_HANDLER: 0
; COMPUTE_PGM_RSRC2:TGID_X_EN: 1
; COMPUTE_PGM_RSRC2:TGID_Y_EN: 0
; COMPUTE_PGM_RSRC2:TGID_Z_EN: 0
; COMPUTE_PGM_RSRC2:TIDIG_COMP_CNT: 0
; COMPUTE_PGM_RSRC3_GFX90A:ACCUM_OFFSET: 3
; COMPUTE_PGM_RSRC3_GFX90A:TG_SPLIT: 0
	.section	.text._ZN2at6native27unrolled_elementwise_kernelIZZZNS0_12_GLOBAL__N_117hardshrink_kernelERNS_18TensorIteratorBaseERKN3c106ScalarEENKUlvE_clEvENKUlvE2_clEvEUlNS5_8BFloat16EE_St5arrayIPcLm2EELi4E23TrivialOffsetCalculatorILi1EjESH_NS0_6memory15LoadWithoutCastENSI_16StoreWithoutCastEEEviT_T0_T2_T3_T4_T5_,"axG",@progbits,_ZN2at6native27unrolled_elementwise_kernelIZZZNS0_12_GLOBAL__N_117hardshrink_kernelERNS_18TensorIteratorBaseERKN3c106ScalarEENKUlvE_clEvENKUlvE2_clEvEUlNS5_8BFloat16EE_St5arrayIPcLm2EELi4E23TrivialOffsetCalculatorILi1EjESH_NS0_6memory15LoadWithoutCastENSI_16StoreWithoutCastEEEviT_T0_T2_T3_T4_T5_,comdat
	.globl	_ZN2at6native27unrolled_elementwise_kernelIZZZNS0_12_GLOBAL__N_117hardshrink_kernelERNS_18TensorIteratorBaseERKN3c106ScalarEENKUlvE_clEvENKUlvE2_clEvEUlNS5_8BFloat16EE_St5arrayIPcLm2EELi4E23TrivialOffsetCalculatorILi1EjESH_NS0_6memory15LoadWithoutCastENSI_16StoreWithoutCastEEEviT_T0_T2_T3_T4_T5_ ; -- Begin function _ZN2at6native27unrolled_elementwise_kernelIZZZNS0_12_GLOBAL__N_117hardshrink_kernelERNS_18TensorIteratorBaseERKN3c106ScalarEENKUlvE_clEvENKUlvE2_clEvEUlNS5_8BFloat16EE_St5arrayIPcLm2EELi4E23TrivialOffsetCalculatorILi1EjESH_NS0_6memory15LoadWithoutCastENSI_16StoreWithoutCastEEEviT_T0_T2_T3_T4_T5_
	.p2align	8
	.type	_ZN2at6native27unrolled_elementwise_kernelIZZZNS0_12_GLOBAL__N_117hardshrink_kernelERNS_18TensorIteratorBaseERKN3c106ScalarEENKUlvE_clEvENKUlvE2_clEvEUlNS5_8BFloat16EE_St5arrayIPcLm2EELi4E23TrivialOffsetCalculatorILi1EjESH_NS0_6memory15LoadWithoutCastENSI_16StoreWithoutCastEEEviT_T0_T2_T3_T4_T5_,@function
_ZN2at6native27unrolled_elementwise_kernelIZZZNS0_12_GLOBAL__N_117hardshrink_kernelERNS_18TensorIteratorBaseERKN3c106ScalarEENKUlvE_clEvENKUlvE2_clEvEUlNS5_8BFloat16EE_St5arrayIPcLm2EELi4E23TrivialOffsetCalculatorILi1EjESH_NS0_6memory15LoadWithoutCastENSI_16StoreWithoutCastEEEviT_T0_T2_T3_T4_T5_: ; @_ZN2at6native27unrolled_elementwise_kernelIZZZNS0_12_GLOBAL__N_117hardshrink_kernelERNS_18TensorIteratorBaseERKN3c106ScalarEENKUlvE_clEvENKUlvE2_clEvEUlNS5_8BFloat16EE_St5arrayIPcLm2EELi4E23TrivialOffsetCalculatorILi1EjESH_NS0_6memory15LoadWithoutCastENSI_16StoreWithoutCastEEEviT_T0_T2_T3_T4_T5_
; %bb.0:
	s_load_dwordx2 s[2:3], s[4:5], 0x0
	s_load_dwordx4 s[8:11], s[4:5], 0x8
	s_lshl_b32 s6, s6, 10
	v_mov_b32_e32 v4, 0
	v_or_b32_e32 v2, s6, v0
	s_waitcnt lgkmcnt(0)
	s_sub_i32 s7, s2, s6
	v_cmp_gt_i32_e32 vcc, s7, v0
	v_mov_b32_e32 v5, 0
	v_mov_b32_e32 v3, v0
	s_and_saveexec_b64 s[4:5], vcc
	s_cbranch_execz .LBB28_2
; %bb.1:
	v_mov_b32_e32 v3, 0
	v_lshlrev_b64 v[6:7], 1, v[2:3]
	v_mov_b32_e32 v1, s11
	v_add_co_u32_e64 v6, s[0:1], s10, v6
	v_addc_co_u32_e64 v7, s[0:1], v1, v7, s[0:1]
	global_load_ushort v5, v[6:7], off
	v_or_b32_e32 v3, 0x100, v0
.LBB28_2:
	s_or_b64 exec, exec, s[4:5]
	v_cmp_gt_i32_e64 s[0:1], s7, v3
	s_and_saveexec_b64 s[4:5], s[0:1]
	s_cbranch_execz .LBB28_4
; %bb.3:
	v_add_u32_e32 v6, s6, v3
	v_mov_b32_e32 v7, 0
	v_lshlrev_b64 v[6:7], 1, v[6:7]
	v_mov_b32_e32 v1, s11
	v_add_co_u32_e64 v6, s[0:1], s10, v6
	v_addc_co_u32_e64 v7, s[0:1], v1, v7, s[0:1]
	global_load_ushort v4, v[6:7], off
	v_add_u32_e32 v3, 0x100, v3
.LBB28_4:
	s_or_b64 exec, exec, s[4:5]
	v_cmp_gt_i32_e64 s[0:1], s7, v3
	v_mov_b32_e32 v1, 0
	v_mov_b32_e32 v6, 0
	s_and_saveexec_b64 s[4:5], s[0:1]
	s_cbranch_execz .LBB28_6
; %bb.5:
	v_add_u32_e32 v6, s6, v3
	v_mov_b32_e32 v7, 0
	v_lshlrev_b64 v[6:7], 1, v[6:7]
	v_mov_b32_e32 v8, s11
	v_add_co_u32_e64 v6, s[0:1], s10, v6
	v_addc_co_u32_e64 v7, s[0:1], v8, v7, s[0:1]
	global_load_ushort v6, v[6:7], off
	v_add_u32_e32 v3, 0x100, v3
.LBB28_6:
	s_or_b64 exec, exec, s[4:5]
	v_cmp_gt_i32_e64 s[0:1], s7, v3
	s_and_saveexec_b64 s[4:5], s[0:1]
	s_cbranch_execz .LBB28_8
; %bb.7:
	v_add_u32_e32 v8, s6, v3
	v_mov_b32_e32 v9, 0
	v_lshlrev_b64 v[8:9], 1, v[8:9]
	v_mov_b32_e32 v1, s11
	v_add_co_u32_e64 v8, s[0:1], s10, v8
	v_addc_co_u32_e64 v9, s[0:1], v1, v9, s[0:1]
	global_load_ushort v1, v[8:9], off
.LBB28_8:
	s_or_b64 exec, exec, s[4:5]
	s_lshl_b32 s0, s3, 16
	s_xor_b32 s1, s0, 0x80000000
	s_bfe_u32 s2, s1, 0x10010
	s_add_i32 s1, s1, s2
	s_addk_i32 s1, 0x7fff
	s_and_b32 s1, s1, 0xffff0000
	v_mov_b32_e32 v7, s0
	v_mov_b32_e32 v3, 0x7fc00000
	;; [unrolled: 1-line block ×3, first 2 shown]
	v_cmp_o_f32_e64 s[0:1], s0, s0
	v_cndmask_b32_e64 v8, v3, v8, s[0:1]
	s_and_saveexec_b64 s[2:3], vcc
	s_cbranch_execnz .LBB28_13
; %bb.9:
	s_or_b64 exec, exec, s[2:3]
	v_cmp_gt_i32_e32 vcc, s7, v0
	s_and_saveexec_b64 s[2:3], vcc
	s_cbranch_execnz .LBB28_14
.LBB28_10:
	s_or_b64 exec, exec, s[2:3]
	v_cmp_gt_i32_e32 vcc, s7, v0
	s_and_saveexec_b64 s[2:3], vcc
	s_cbranch_execnz .LBB28_15
.LBB28_11:
	s_or_b64 exec, exec, s[2:3]
	v_cmp_gt_i32_e32 vcc, s7, v0
	s_and_saveexec_b64 s[0:1], vcc
	s_cbranch_execnz .LBB28_16
.LBB28_12:
	s_endpgm
.LBB28_13:
	v_mov_b32_e32 v3, 0
	v_lshlrev_b64 v[2:3], 1, v[2:3]
	v_mov_b32_e32 v9, s9
	v_add_co_u32_e32 v2, vcc, s8, v2
	v_addc_co_u32_e32 v3, vcc, v9, v3, vcc
	s_waitcnt vmcnt(0)
	v_lshlrev_b32_e32 v9, 16, v5
	v_cmp_nge_f32_e32 vcc, v7, v9
	v_cmp_nle_f32_e64 s[0:1], v8, v9
	s_or_b64 vcc, vcc, s[0:1]
	v_or_b32_e32 v0, 0x100, v0
	v_cndmask_b32_e32 v5, 0, v5, vcc
	global_store_short v[2:3], v5, off
	s_or_b64 exec, exec, s[2:3]
	v_cmp_gt_i32_e32 vcc, s7, v0
	s_and_saveexec_b64 s[2:3], vcc
	s_cbranch_execz .LBB28_10
.LBB28_14:
	s_waitcnt vmcnt(0)
	v_lshlrev_b32_e32 v2, 16, v4
	v_cmp_nle_f32_e32 vcc, v8, v2
	v_cmp_nge_f32_e64 s[0:1], v7, v2
	v_add_u32_e32 v2, s6, v0
	v_mov_b32_e32 v3, 0
	s_or_b64 vcc, s[0:1], vcc
	v_lshlrev_b64 v[2:3], 1, v[2:3]
	v_cndmask_b32_e32 v4, 0, v4, vcc
	v_add_u32_e32 v5, 0x100, v0
	v_mov_b32_e32 v0, s9
	v_add_co_u32_e32 v2, vcc, s8, v2
	v_addc_co_u32_e32 v3, vcc, v0, v3, vcc
	v_mov_b32_e32 v0, v5
	global_store_short v[2:3], v4, off
	s_or_b64 exec, exec, s[2:3]
	v_cmp_gt_i32_e32 vcc, s7, v0
	s_and_saveexec_b64 s[2:3], vcc
	s_cbranch_execz .LBB28_11
.LBB28_15:
	s_waitcnt vmcnt(0)
	v_lshlrev_b32_e32 v2, 16, v6
	v_cmp_nle_f32_e32 vcc, v8, v2
	v_cmp_nge_f32_e64 s[0:1], v7, v2
	v_add_u32_e32 v2, s6, v0
	v_mov_b32_e32 v3, 0
	s_or_b64 vcc, s[0:1], vcc
	v_lshlrev_b64 v[2:3], 1, v[2:3]
	v_cndmask_b32_e32 v4, 0, v6, vcc
	v_add_u32_e32 v5, 0x100, v0
	v_mov_b32_e32 v0, s9
	v_add_co_u32_e32 v2, vcc, s8, v2
	v_addc_co_u32_e32 v3, vcc, v0, v3, vcc
	v_mov_b32_e32 v0, v5
	global_store_short v[2:3], v4, off
	s_or_b64 exec, exec, s[2:3]
	v_cmp_gt_i32_e32 vcc, s7, v0
	s_and_saveexec_b64 s[0:1], vcc
	s_cbranch_execz .LBB28_12
.LBB28_16:
	s_waitcnt vmcnt(0)
	v_lshlrev_b32_e32 v2, 16, v1
	v_cmp_nle_f32_e32 vcc, v8, v2
	v_cmp_nle_f32_e64 s[0:1], v2, v7
	s_or_b64 vcc, s[0:1], vcc
	v_cndmask_b32_e32 v2, 0, v1, vcc
	v_add_u32_e32 v0, s6, v0
	v_mov_b32_e32 v1, 0
	v_lshlrev_b64 v[0:1], 1, v[0:1]
	v_mov_b32_e32 v3, s9
	v_add_co_u32_e32 v0, vcc, s8, v0
	v_addc_co_u32_e32 v1, vcc, v3, v1, vcc
	global_store_short v[0:1], v2, off
	s_endpgm
	.section	.rodata,"a",@progbits
	.p2align	6, 0x0
	.amdhsa_kernel _ZN2at6native27unrolled_elementwise_kernelIZZZNS0_12_GLOBAL__N_117hardshrink_kernelERNS_18TensorIteratorBaseERKN3c106ScalarEENKUlvE_clEvENKUlvE2_clEvEUlNS5_8BFloat16EE_St5arrayIPcLm2EELi4E23TrivialOffsetCalculatorILi1EjESH_NS0_6memory15LoadWithoutCastENSI_16StoreWithoutCastEEEviT_T0_T2_T3_T4_T5_
		.amdhsa_group_segment_fixed_size 0
		.amdhsa_private_segment_fixed_size 0
		.amdhsa_kernarg_size 28
		.amdhsa_user_sgpr_count 6
		.amdhsa_user_sgpr_private_segment_buffer 1
		.amdhsa_user_sgpr_dispatch_ptr 0
		.amdhsa_user_sgpr_queue_ptr 0
		.amdhsa_user_sgpr_kernarg_segment_ptr 1
		.amdhsa_user_sgpr_dispatch_id 0
		.amdhsa_user_sgpr_flat_scratch_init 0
		.amdhsa_user_sgpr_kernarg_preload_length 0
		.amdhsa_user_sgpr_kernarg_preload_offset 0
		.amdhsa_user_sgpr_private_segment_size 0
		.amdhsa_uses_dynamic_stack 0
		.amdhsa_system_sgpr_private_segment_wavefront_offset 0
		.amdhsa_system_sgpr_workgroup_id_x 1
		.amdhsa_system_sgpr_workgroup_id_y 0
		.amdhsa_system_sgpr_workgroup_id_z 0
		.amdhsa_system_sgpr_workgroup_info 0
		.amdhsa_system_vgpr_workitem_id 0
		.amdhsa_next_free_vgpr 10
		.amdhsa_next_free_sgpr 12
		.amdhsa_accum_offset 12
		.amdhsa_reserve_vcc 1
		.amdhsa_reserve_flat_scratch 0
		.amdhsa_float_round_mode_32 0
		.amdhsa_float_round_mode_16_64 0
		.amdhsa_float_denorm_mode_32 3
		.amdhsa_float_denorm_mode_16_64 3
		.amdhsa_dx10_clamp 1
		.amdhsa_ieee_mode 1
		.amdhsa_fp16_overflow 0
		.amdhsa_tg_split 0
		.amdhsa_exception_fp_ieee_invalid_op 0
		.amdhsa_exception_fp_denorm_src 0
		.amdhsa_exception_fp_ieee_div_zero 0
		.amdhsa_exception_fp_ieee_overflow 0
		.amdhsa_exception_fp_ieee_underflow 0
		.amdhsa_exception_fp_ieee_inexact 0
		.amdhsa_exception_int_div_zero 0
	.end_amdhsa_kernel
	.section	.text._ZN2at6native27unrolled_elementwise_kernelIZZZNS0_12_GLOBAL__N_117hardshrink_kernelERNS_18TensorIteratorBaseERKN3c106ScalarEENKUlvE_clEvENKUlvE2_clEvEUlNS5_8BFloat16EE_St5arrayIPcLm2EELi4E23TrivialOffsetCalculatorILi1EjESH_NS0_6memory15LoadWithoutCastENSI_16StoreWithoutCastEEEviT_T0_T2_T3_T4_T5_,"axG",@progbits,_ZN2at6native27unrolled_elementwise_kernelIZZZNS0_12_GLOBAL__N_117hardshrink_kernelERNS_18TensorIteratorBaseERKN3c106ScalarEENKUlvE_clEvENKUlvE2_clEvEUlNS5_8BFloat16EE_St5arrayIPcLm2EELi4E23TrivialOffsetCalculatorILi1EjESH_NS0_6memory15LoadWithoutCastENSI_16StoreWithoutCastEEEviT_T0_T2_T3_T4_T5_,comdat
.Lfunc_end28:
	.size	_ZN2at6native27unrolled_elementwise_kernelIZZZNS0_12_GLOBAL__N_117hardshrink_kernelERNS_18TensorIteratorBaseERKN3c106ScalarEENKUlvE_clEvENKUlvE2_clEvEUlNS5_8BFloat16EE_St5arrayIPcLm2EELi4E23TrivialOffsetCalculatorILi1EjESH_NS0_6memory15LoadWithoutCastENSI_16StoreWithoutCastEEEviT_T0_T2_T3_T4_T5_, .Lfunc_end28-_ZN2at6native27unrolled_elementwise_kernelIZZZNS0_12_GLOBAL__N_117hardshrink_kernelERNS_18TensorIteratorBaseERKN3c106ScalarEENKUlvE_clEvENKUlvE2_clEvEUlNS5_8BFloat16EE_St5arrayIPcLm2EELi4E23TrivialOffsetCalculatorILi1EjESH_NS0_6memory15LoadWithoutCastENSI_16StoreWithoutCastEEEviT_T0_T2_T3_T4_T5_
                                        ; -- End function
	.section	.AMDGPU.csdata,"",@progbits
; Kernel info:
; codeLenInByte = 788
; NumSgprs: 16
; NumVgprs: 10
; NumAgprs: 0
; TotalNumVgprs: 10
; ScratchSize: 0
; MemoryBound: 0
; FloatMode: 240
; IeeeMode: 1
; LDSByteSize: 0 bytes/workgroup (compile time only)
; SGPRBlocks: 1
; VGPRBlocks: 1
; NumSGPRsForWavesPerEU: 16
; NumVGPRsForWavesPerEU: 10
; AccumOffset: 12
; Occupancy: 8
; WaveLimiterHint : 0
; COMPUTE_PGM_RSRC2:SCRATCH_EN: 0
; COMPUTE_PGM_RSRC2:USER_SGPR: 6
; COMPUTE_PGM_RSRC2:TRAP_HANDLER: 0
; COMPUTE_PGM_RSRC2:TGID_X_EN: 1
; COMPUTE_PGM_RSRC2:TGID_Y_EN: 0
; COMPUTE_PGM_RSRC2:TGID_Z_EN: 0
; COMPUTE_PGM_RSRC2:TIDIG_COMP_CNT: 0
; COMPUTE_PGM_RSRC3_GFX90A:ACCUM_OFFSET: 2
; COMPUTE_PGM_RSRC3_GFX90A:TG_SPLIT: 0
	.section	.text._ZN2at6native32elementwise_kernel_manual_unrollILi128ELi8EZNS0_22gpu_kernel_impl_nocastIZZZNS0_12_GLOBAL__N_117hardshrink_kernelERNS_18TensorIteratorBaseERKN3c106ScalarEENKUlvE_clEvENKUlvE2_clEvEUlNS6_8BFloat16EE_EEvS5_RKT_EUlibE_EEviT1_,"axG",@progbits,_ZN2at6native32elementwise_kernel_manual_unrollILi128ELi8EZNS0_22gpu_kernel_impl_nocastIZZZNS0_12_GLOBAL__N_117hardshrink_kernelERNS_18TensorIteratorBaseERKN3c106ScalarEENKUlvE_clEvENKUlvE2_clEvEUlNS6_8BFloat16EE_EEvS5_RKT_EUlibE_EEviT1_,comdat
	.globl	_ZN2at6native32elementwise_kernel_manual_unrollILi128ELi8EZNS0_22gpu_kernel_impl_nocastIZZZNS0_12_GLOBAL__N_117hardshrink_kernelERNS_18TensorIteratorBaseERKN3c106ScalarEENKUlvE_clEvENKUlvE2_clEvEUlNS6_8BFloat16EE_EEvS5_RKT_EUlibE_EEviT1_ ; -- Begin function _ZN2at6native32elementwise_kernel_manual_unrollILi128ELi8EZNS0_22gpu_kernel_impl_nocastIZZZNS0_12_GLOBAL__N_117hardshrink_kernelERNS_18TensorIteratorBaseERKN3c106ScalarEENKUlvE_clEvENKUlvE2_clEvEUlNS6_8BFloat16EE_EEvS5_RKT_EUlibE_EEviT1_
	.p2align	8
	.type	_ZN2at6native32elementwise_kernel_manual_unrollILi128ELi8EZNS0_22gpu_kernel_impl_nocastIZZZNS0_12_GLOBAL__N_117hardshrink_kernelERNS_18TensorIteratorBaseERKN3c106ScalarEENKUlvE_clEvENKUlvE2_clEvEUlNS6_8BFloat16EE_EEvS5_RKT_EUlibE_EEviT1_,@function
_ZN2at6native32elementwise_kernel_manual_unrollILi128ELi8EZNS0_22gpu_kernel_impl_nocastIZZZNS0_12_GLOBAL__N_117hardshrink_kernelERNS_18TensorIteratorBaseERKN3c106ScalarEENKUlvE_clEvENKUlvE2_clEvEUlNS6_8BFloat16EE_EEvS5_RKT_EUlibE_EEviT1_: ; @_ZN2at6native32elementwise_kernel_manual_unrollILi128ELi8EZNS0_22gpu_kernel_impl_nocastIZZZNS0_12_GLOBAL__N_117hardshrink_kernelERNS_18TensorIteratorBaseERKN3c106ScalarEENKUlvE_clEvENKUlvE2_clEvEUlNS6_8BFloat16EE_EEvS5_RKT_EUlibE_EEviT1_
; %bb.0:
	s_load_dword s58, s[4:5], 0x0
	s_load_dword s33, s[4:5], 0x8
	s_or_b32 s4, s4, 8
	v_lshl_or_b32 v24, s6, 10, v0
	v_or_b32_e32 v31, 0x380, v24
	s_waitcnt lgkmcnt(0)
	v_cmp_le_i32_e32 vcc, s58, v31
	s_add_i32 s56, s33, -1
	s_cmp_gt_u32 s56, 1
	s_cselect_b64 s[6:7], -1, 0
	s_and_saveexec_b64 s[0:1], vcc
	s_xor_b64 s[34:35], exec, s[0:1]
	s_cbranch_execz .LBB29_8
; %bb.1:
	s_load_dwordx4 s[28:31], s[4:5], 0x4
	s_load_dwordx2 s[40:41], s[4:5], 0x14
	s_load_dword s0, s[4:5], 0x158
	s_cmp_lg_u32 s33, 0
	s_cselect_b64 s[46:47], -1, 0
	s_add_u32 s44, s4, 0xc4
	s_addc_u32 s45, s5, 0
	s_min_u32 s59, s56, 15
	s_cmp_gt_u32 s33, 1
	s_cselect_b64 s[42:43], -1, 0
	s_waitcnt lgkmcnt(0)
	s_lshl_b32 s57, s0, 16
	s_xor_b32 s0, s57, 0x80000000
	s_bfe_u32 s1, s0, 0x10010
	s_load_dwordx4 s[36:39], s[4:5], 0xc4
	s_load_dwordx4 s[24:27], s[4:5], 0x148
	s_add_i32 s0, s0, s1
	s_addk_i32 s0, 0x7fff
	s_and_b32 s0, s0, 0xffff0000
	v_mov_b32_e32 v0, 0x7fc00000
	v_mov_b32_e32 v1, s0
	v_cmp_o_f32_e64 vcc, s57, s57
	v_cndmask_b32_e32 v4, v0, v1, vcc
	v_cmp_gt_i32_e32 vcc, s58, v24
	s_and_saveexec_b64 s[48:49], vcc
	s_cbranch_execz .LBB29_16
; %bb.2:
	s_andn2_b64 vcc, exec, s[6:7]
	s_cbranch_vccnz .LBB29_24
; %bb.3:
	s_mov_b32 s50, 0
	s_andn2_b64 vcc, exec, s[46:47]
	v_mov_b32_e32 v2, 0
	v_mov_b32_e32 v0, 0
	s_cbranch_vccnz .LBB29_136
; %bb.4:
	s_add_i32 s60, s59, 1
	s_cmp_eq_u32 s56, 2
	s_cbranch_scc1 .LBB29_131
; %bb.5:
	s_and_b32 s50, s60, 28
	s_mov_b32 s51, 0
	v_mov_b32_e32 v0, 0
	s_mov_b64 s[52:53], s[4:5]
	s_mov_b64 s[54:55], s[44:45]
	v_mov_b32_e32 v3, v24
	v_mov_b32_e32 v2, 0
.LBB29_6:                               ; =>This Inner Loop Header: Depth=1
	s_load_dwordx8 s[16:23], s[52:53], 0x4
	s_load_dwordx4 s[0:3], s[52:53], 0x24
	s_load_dwordx8 s[8:15], s[54:55], 0x0
	s_add_u32 s52, s52, 48
	s_addc_u32 s53, s53, 0
	s_waitcnt lgkmcnt(0)
	v_mul_hi_u32 v1, s17, v3
	v_add_u32_e32 v1, v3, v1
	v_lshrrev_b32_e32 v1, s18, v1
	v_mul_lo_u32 v5, v1, s16
	v_mul_hi_u32 v6, s20, v1
	v_sub_u32_e32 v3, v3, v5
	v_add_u32_e32 v5, v1, v6
	v_lshrrev_b32_e32 v5, s21, v5
	v_mul_lo_u32 v7, v5, s19
	v_mul_hi_u32 v8, s23, v5
	v_sub_u32_e32 v1, v1, v7
	v_add_u32_e32 v7, v5, v8
	v_mul_lo_u32 v6, v3, s9
	v_mul_lo_u32 v3, v3, s8
	;; [unrolled: 1-line block ×4, first 2 shown]
	v_lshrrev_b32_e32 v7, s0, v7
	v_add3_u32 v0, v3, v0, v1
	v_mul_hi_u32 v3, s2, v7
	v_add_u32_e32 v3, v7, v3
	v_lshrrev_b32_e32 v3, s3, v3
	s_add_i32 s51, s51, 4
	v_add3_u32 v1, v6, v2, v8
	v_mul_lo_u32 v2, v7, s22
	v_mul_lo_u32 v6, v3, s1
	s_add_u32 s54, s54, 32
	v_sub_u32_e32 v2, v5, v2
	v_sub_u32_e32 v6, v7, v6
	s_addc_u32 s55, s55, 0
	v_mul_lo_u32 v5, v2, s12
	v_mul_lo_u32 v2, v2, s13
	;; [unrolled: 1-line block ×4, first 2 shown]
	s_cmp_lg_u32 s50, s51
	v_add3_u32 v2, v2, v1, v6
	v_add3_u32 v0, v5, v0, v7
	s_cbranch_scc1 .LBB29_6
; %bb.7:
	v_mov_b32_e32 v1, v2
	s_branch .LBB29_132
.LBB29_8:
	s_andn2_saveexec_b64 s[0:1], s[34:35]
	s_cbranch_execz .LBB29_227
.LBB29_9:
	v_cndmask_b32_e64 v0, 0, 1, s[6:7]
	v_cmp_ne_u32_e64 s[0:1], 1, v0
	s_andn2_b64 vcc, exec, s[6:7]
	s_cbranch_vccnz .LBB29_23
; %bb.10:
	s_mov_b32 s2, 0
	s_cmp_lg_u32 s33, 0
	v_mov_b32_e32 v2, 0
	v_mov_b32_e32 v0, 0
	s_cbranch_scc0 .LBB29_15
; %bb.11:
	s_min_u32 s30, s56, 15
	s_add_i32 s30, s30, 1
	s_cmp_eq_u32 s56, 2
	s_cbranch_scc1 .LBB29_26
; %bb.12:
	s_add_u32 s6, s4, 0xc4
	s_addc_u32 s7, s5, 0
	s_and_b32 s2, s30, 28
	s_mov_b32 s3, 0
	v_mov_b32_e32 v0, 0
	s_mov_b64 s[28:29], s[4:5]
	v_mov_b32_e32 v3, v24
	v_mov_b32_e32 v2, 0
.LBB29_13:                              ; =>This Inner Loop Header: Depth=1
	s_load_dwordx8 s[16:23], s[28:29], 0x4
	s_waitcnt lgkmcnt(0)
	s_load_dwordx4 s[24:27], s[28:29], 0x24
	s_load_dwordx8 s[8:15], s[6:7], 0x0
	s_add_u32 s28, s28, 48
	s_addc_u32 s29, s29, 0
	v_mul_hi_u32 v1, s17, v3
	v_add_u32_e32 v1, v3, v1
	v_lshrrev_b32_e32 v1, s18, v1
	v_mul_lo_u32 v4, v1, s16
	v_mul_hi_u32 v5, s20, v1
	v_sub_u32_e32 v3, v3, v4
	v_add_u32_e32 v4, v1, v5
	v_lshrrev_b32_e32 v4, s21, v4
	v_mul_lo_u32 v6, v4, s19
	v_mul_hi_u32 v7, s23, v4
	v_sub_u32_e32 v1, v1, v6
	v_add_u32_e32 v6, v4, v7
	s_waitcnt lgkmcnt(0)
	v_mul_lo_u32 v5, v3, s9
	v_mul_lo_u32 v3, v3, s8
	;; [unrolled: 1-line block ×4, first 2 shown]
	v_lshrrev_b32_e32 v6, s24, v6
	v_add3_u32 v0, v3, v0, v1
	v_mul_hi_u32 v3, s26, v6
	v_add_u32_e32 v3, v6, v3
	v_lshrrev_b32_e32 v3, s27, v3
	s_add_i32 s3, s3, 4
	v_add3_u32 v1, v5, v2, v7
	v_mul_lo_u32 v2, v6, s22
	v_mul_lo_u32 v5, v3, s25
	s_add_u32 s6, s6, 32
	v_sub_u32_e32 v2, v4, v2
	v_sub_u32_e32 v5, v6, v5
	s_addc_u32 s7, s7, 0
	v_mul_lo_u32 v4, v2, s12
	v_mul_lo_u32 v2, v2, s13
	;; [unrolled: 1-line block ×4, first 2 shown]
	s_cmp_lg_u32 s2, s3
	v_add3_u32 v2, v2, v1, v5
	v_add3_u32 v0, v4, v0, v6
	s_cbranch_scc1 .LBB29_13
; %bb.14:
	v_mov_b32_e32 v1, v2
	s_and_b32 s8, s30, 3
	s_cmp_eq_u32 s8, 0
	s_cbranch_scc0 .LBB29_27
.LBB29_15:
	s_cbranch_execz .LBB29_30
	s_branch .LBB29_32
.LBB29_16:
	s_or_b64 exec, exec, s[48:49]
	v_cmp_gt_i32_e32 vcc, s58, v24
	s_and_saveexec_b64 s[48:49], vcc
	s_cbranch_execz .LBB29_140
.LBB29_17:
	s_andn2_b64 vcc, exec, s[6:7]
	s_cbranch_vccnz .LBB29_25
; %bb.18:
	s_mov_b32 s50, 0
	s_andn2_b64 vcc, exec, s[46:47]
	v_mov_b32_e32 v2, 0
	v_mov_b32_e32 v0, 0
	s_cbranch_vccnz .LBB29_153
; %bb.19:
	s_add_i32 s60, s59, 1
	s_cmp_eq_u32 s56, 2
	s_cbranch_scc1 .LBB29_148
; %bb.20:
	s_and_b32 s50, s60, 28
	s_mov_b32 s51, 0
	v_mov_b32_e32 v0, 0
	s_mov_b64 s[52:53], s[4:5]
	s_mov_b64 s[54:55], s[44:45]
	v_mov_b32_e32 v3, v24
	v_mov_b32_e32 v2, 0
.LBB29_21:                              ; =>This Inner Loop Header: Depth=1
	s_load_dwordx8 s[16:23], s[52:53], 0x4
	s_load_dwordx4 s[0:3], s[52:53], 0x24
	s_load_dwordx8 s[8:15], s[54:55], 0x0
	s_add_u32 s52, s52, 48
	s_addc_u32 s53, s53, 0
	s_waitcnt lgkmcnt(0)
	v_mul_hi_u32 v1, s17, v3
	v_add_u32_e32 v1, v3, v1
	v_lshrrev_b32_e32 v1, s18, v1
	v_mul_lo_u32 v5, v1, s16
	v_mul_hi_u32 v6, s20, v1
	v_sub_u32_e32 v3, v3, v5
	v_add_u32_e32 v5, v1, v6
	v_lshrrev_b32_e32 v5, s21, v5
	v_mul_lo_u32 v7, v5, s19
	v_mul_hi_u32 v8, s23, v5
	v_sub_u32_e32 v1, v1, v7
	v_add_u32_e32 v7, v5, v8
	v_mul_lo_u32 v6, v3, s9
	v_mul_lo_u32 v3, v3, s8
	;; [unrolled: 1-line block ×4, first 2 shown]
	v_lshrrev_b32_e32 v7, s0, v7
	v_add3_u32 v0, v3, v0, v1
	v_mul_hi_u32 v3, s2, v7
	v_add_u32_e32 v3, v7, v3
	v_lshrrev_b32_e32 v3, s3, v3
	s_add_i32 s51, s51, 4
	v_add3_u32 v1, v6, v2, v8
	v_mul_lo_u32 v2, v7, s22
	v_mul_lo_u32 v6, v3, s1
	s_add_u32 s54, s54, 32
	v_sub_u32_e32 v2, v5, v2
	v_sub_u32_e32 v6, v7, v6
	s_addc_u32 s55, s55, 0
	v_mul_lo_u32 v5, v2, s12
	v_mul_lo_u32 v2, v2, s13
	;; [unrolled: 1-line block ×4, first 2 shown]
	s_cmp_eq_u32 s50, s51
	v_add3_u32 v2, v2, v1, v6
	v_add3_u32 v0, v5, v0, v7
	s_cbranch_scc0 .LBB29_21
; %bb.22:
	v_mov_b32_e32 v1, v2
	s_branch .LBB29_149
.LBB29_23:
                                        ; implicit-def: $vgpr2
                                        ; implicit-def: $vgpr0
	s_branch .LBB29_30
.LBB29_24:
                                        ; implicit-def: $vgpr2
                                        ; implicit-def: $vgpr0
	s_branch .LBB29_137
.LBB29_25:
                                        ; implicit-def: $vgpr2
                                        ; implicit-def: $vgpr0
	s_branch .LBB29_154
.LBB29_26:
	s_mov_b32 s3, s2
	v_pk_mov_b32 v[0:1], s[2:3], s[2:3] op_sel:[0,1]
                                        ; implicit-def: $vgpr2
	v_mov_b32_e32 v3, v24
	s_and_b32 s8, s30, 3
	s_cmp_eq_u32 s8, 0
	s_cbranch_scc1 .LBB29_15
.LBB29_27:
	s_lshl_b32 s3, s2, 3
	s_add_u32 s3, s3, s4
	s_addc_u32 s7, 0, s5
	s_add_u32 s6, s3, 0xc4
	s_addc_u32 s7, s7, 0
	s_mul_i32 s2, s2, 12
	s_add_u32 s2, s4, s2
	s_addc_u32 s3, 0, s5
.LBB29_28:                              ; =>This Inner Loop Header: Depth=1
	s_load_dwordx2 s[10:11], s[2:3], 0x4
	s_load_dword s9, s[2:3], 0xc
	s_load_dwordx2 s[12:13], s[6:7], 0x0
	v_mov_b32_e32 v2, v1
	s_add_u32 s2, s2, 12
	s_waitcnt lgkmcnt(0)
	v_mul_hi_u32 v1, s11, v3
	v_add_u32_e32 v1, v3, v1
	v_lshrrev_b32_e32 v1, s9, v1
	s_addc_u32 s3, s3, 0
	v_mul_lo_u32 v4, v1, s10
	s_add_u32 s6, s6, 8
	v_sub_u32_e32 v6, v3, v4
	v_mov_b32_e32 v3, v1
	s_addc_u32 s7, s7, 0
	s_add_i32 s8, s8, -1
	v_mad_u64_u32 v[4:5], s[10:11], v6, s13, v[2:3]
	v_mad_u64_u32 v[0:1], s[10:11], v6, s12, v[0:1]
	s_cmp_lg_u32 s8, 0
	v_mov_b32_e32 v1, v4
	s_cbranch_scc1 .LBB29_28
; %bb.29:
	v_mov_b32_e32 v2, v1
	s_cbranch_execnz .LBB29_32
.LBB29_30:
	s_load_dwordx4 s[8:11], s[4:5], 0x4
	s_load_dwordx2 s[2:3], s[4:5], 0xc4
	s_cmp_lt_u32 s33, 2
	s_waitcnt lgkmcnt(0)
	v_mul_hi_u32 v0, s9, v24
	v_add_u32_e32 v0, v24, v0
	v_lshrrev_b32_e32 v1, s10, v0
	v_mul_lo_u32 v0, v1, s8
	v_sub_u32_e32 v0, v24, v0
	v_mul_lo_u32 v2, v0, s3
	v_mul_lo_u32 v0, v0, s2
	s_cbranch_scc1 .LBB29_32
; %bb.31:
	s_load_dwordx4 s[8:11], s[4:5], 0x10
	s_load_dwordx2 s[2:3], s[4:5], 0xcc
	s_waitcnt lgkmcnt(0)
	v_mul_hi_u32 v3, s9, v1
	v_add_u32_e32 v3, v1, v3
	v_lshrrev_b32_e32 v3, s10, v3
	v_mul_lo_u32 v3, v3, s8
	v_sub_u32_e32 v3, v1, v3
	v_mad_u64_u32 v[0:1], s[6:7], v3, s2, v[0:1]
	v_mad_u64_u32 v[2:3], s[2:3], v3, s3, v[2:3]
.LBB29_32:
	s_and_b64 vcc, exec, s[0:1]
	v_add_u32_e32 v1, 0x80, v24
	s_cbranch_vccnz .LBB29_39
; %bb.33:
	s_mov_b32 s2, 0
	s_cmp_lg_u32 s33, 0
	v_mov_b32_e32 v6, 0
	v_mov_b32_e32 v4, 0
	s_cbranch_scc0 .LBB29_38
; %bb.34:
	s_min_u32 s30, s56, 15
	s_add_i32 s30, s30, 1
	s_cmp_eq_u32 s56, 2
	s_cbranch_scc1 .LBB29_40
; %bb.35:
	s_add_u32 s6, s4, 0xc4
	s_addc_u32 s7, s5, 0
	s_and_b32 s2, s30, 28
	s_mov_b32 s3, 0
	v_mov_b32_e32 v4, 0
	s_mov_b64 s[28:29], s[4:5]
	v_mov_b32_e32 v3, v1
	v_mov_b32_e32 v6, 0
.LBB29_36:                              ; =>This Inner Loop Header: Depth=1
	s_load_dwordx8 s[16:23], s[28:29], 0x4
	s_waitcnt lgkmcnt(0)
	s_load_dwordx4 s[24:27], s[28:29], 0x24
	s_load_dwordx8 s[8:15], s[6:7], 0x0
	s_add_u32 s28, s28, 48
	s_addc_u32 s29, s29, 0
	v_mul_hi_u32 v5, s17, v3
	v_add_u32_e32 v5, v3, v5
	v_lshrrev_b32_e32 v5, s18, v5
	v_mul_lo_u32 v7, v5, s16
	v_mul_hi_u32 v8, s20, v5
	v_sub_u32_e32 v3, v3, v7
	v_add_u32_e32 v7, v5, v8
	v_lshrrev_b32_e32 v7, s21, v7
	v_mul_lo_u32 v9, v7, s19
	v_mul_hi_u32 v10, s23, v7
	v_sub_u32_e32 v5, v5, v9
	v_add_u32_e32 v9, v7, v10
	s_waitcnt lgkmcnt(0)
	v_mul_lo_u32 v8, v3, s9
	v_mul_lo_u32 v3, v3, s8
	;; [unrolled: 1-line block ×4, first 2 shown]
	v_lshrrev_b32_e32 v9, s24, v9
	v_add3_u32 v4, v3, v4, v5
	v_add3_u32 v5, v8, v6, v10
	v_mul_lo_u32 v3, v9, s22
	v_mul_hi_u32 v6, s26, v9
	v_sub_u32_e32 v3, v7, v3
	v_add_u32_e32 v6, v9, v6
	v_mul_lo_u32 v7, v3, s12
	v_mul_lo_u32 v8, v3, s13
	v_lshrrev_b32_e32 v3, s27, v6
	s_add_i32 s3, s3, 4
	v_mul_lo_u32 v6, v3, s25
	s_add_u32 s6, s6, 32
	v_sub_u32_e32 v6, v9, v6
	s_addc_u32 s7, s7, 0
	v_mul_lo_u32 v9, v6, s14
	v_mul_lo_u32 v6, v6, s15
	s_cmp_lg_u32 s2, s3
	v_add3_u32 v6, v8, v5, v6
	v_add3_u32 v4, v7, v4, v9
	s_cbranch_scc1 .LBB29_36
; %bb.37:
	v_mov_b32_e32 v5, v6
	s_and_b32 s8, s30, 3
	s_cmp_eq_u32 s8, 0
	s_cbranch_scc0 .LBB29_41
.LBB29_38:
	s_cbranch_execz .LBB29_44
	s_branch .LBB29_46
.LBB29_39:
                                        ; implicit-def: $vgpr6
                                        ; implicit-def: $vgpr4
	s_branch .LBB29_44
.LBB29_40:
	s_mov_b32 s3, s2
	v_pk_mov_b32 v[4:5], s[2:3], s[2:3] op_sel:[0,1]
                                        ; implicit-def: $vgpr6
	v_mov_b32_e32 v3, v1
	s_and_b32 s8, s30, 3
	s_cmp_eq_u32 s8, 0
	s_cbranch_scc1 .LBB29_38
.LBB29_41:
	s_lshl_b32 s3, s2, 3
	s_add_u32 s3, s3, s4
	s_addc_u32 s7, 0, s5
	s_add_u32 s6, s3, 0xc4
	s_addc_u32 s7, s7, 0
	s_mul_i32 s2, s2, 12
	s_add_u32 s2, s4, s2
	s_addc_u32 s3, 0, s5
.LBB29_42:                              ; =>This Inner Loop Header: Depth=1
	s_load_dwordx2 s[10:11], s[2:3], 0x4
	s_load_dword s9, s[2:3], 0xc
	s_load_dwordx2 s[12:13], s[6:7], 0x0
	v_mov_b32_e32 v6, v5
	s_add_u32 s2, s2, 12
	s_waitcnt lgkmcnt(0)
	v_mul_hi_u32 v5, s11, v3
	v_add_u32_e32 v5, v3, v5
	v_lshrrev_b32_e32 v5, s9, v5
	s_addc_u32 s3, s3, 0
	v_mul_lo_u32 v7, v5, s10
	s_add_u32 s6, s6, 8
	v_sub_u32_e32 v8, v3, v7
	s_addc_u32 s7, s7, 0
	s_add_i32 s8, s8, -1
	v_mov_b32_e32 v3, v5
	v_mad_u64_u32 v[6:7], s[10:11], v8, s13, v[6:7]
	v_mad_u64_u32 v[4:5], s[10:11], v8, s12, v[4:5]
	s_cmp_lg_u32 s8, 0
	v_mov_b32_e32 v5, v6
	s_cbranch_scc1 .LBB29_42
; %bb.43:
	v_mov_b32_e32 v6, v5
	s_cbranch_execnz .LBB29_46
.LBB29_44:
	s_load_dwordx4 s[8:11], s[4:5], 0x4
	s_load_dwordx2 s[2:3], s[4:5], 0xc4
	s_cmp_lt_u32 s33, 2
	s_waitcnt lgkmcnt(0)
	v_mul_hi_u32 v3, s9, v1
	v_add_u32_e32 v3, v1, v3
	v_lshrrev_b32_e32 v3, s10, v3
	v_mul_lo_u32 v4, v3, s8
	v_sub_u32_e32 v1, v1, v4
	v_mul_lo_u32 v6, v1, s3
	v_mul_lo_u32 v4, v1, s2
	s_cbranch_scc1 .LBB29_46
; %bb.45:
	s_load_dwordx4 s[8:11], s[4:5], 0x10
	s_load_dwordx2 s[2:3], s[4:5], 0xcc
	s_waitcnt lgkmcnt(0)
	v_mul_hi_u32 v1, s9, v3
	v_add_u32_e32 v1, v3, v1
	v_lshrrev_b32_e32 v1, s10, v1
	v_mul_lo_u32 v1, v1, s8
	v_sub_u32_e32 v1, v3, v1
	v_mad_u64_u32 v[4:5], s[6:7], v1, s2, v[4:5]
	v_mad_u64_u32 v[6:7], s[2:3], v1, s3, v[6:7]
.LBB29_46:
	s_and_b64 vcc, exec, s[0:1]
	v_add_u32_e32 v1, 0x100, v24
	s_cbranch_vccnz .LBB29_53
; %bb.47:
	s_mov_b32 s2, 0
	s_cmp_lg_u32 s33, 0
	v_mov_b32_e32 v10, 0
	v_mov_b32_e32 v8, 0
	s_cbranch_scc0 .LBB29_52
; %bb.48:
	s_min_u32 s30, s56, 15
	s_add_i32 s30, s30, 1
	s_cmp_eq_u32 s56, 2
	s_cbranch_scc1 .LBB29_54
; %bb.49:
	s_add_u32 s6, s4, 0xc4
	s_addc_u32 s7, s5, 0
	s_and_b32 s2, s30, 28
	s_mov_b32 s3, 0
	v_mov_b32_e32 v8, 0
	s_mov_b64 s[28:29], s[4:5]
	v_mov_b32_e32 v3, v1
	v_mov_b32_e32 v10, 0
.LBB29_50:                              ; =>This Inner Loop Header: Depth=1
	s_load_dwordx8 s[16:23], s[28:29], 0x4
	s_waitcnt lgkmcnt(0)
	s_load_dwordx4 s[24:27], s[28:29], 0x24
	s_load_dwordx8 s[8:15], s[6:7], 0x0
	s_add_u32 s28, s28, 48
	s_addc_u32 s29, s29, 0
	v_mul_hi_u32 v5, s17, v3
	v_add_u32_e32 v5, v3, v5
	v_lshrrev_b32_e32 v5, s18, v5
	v_mul_lo_u32 v7, v5, s16
	v_mul_hi_u32 v9, s20, v5
	v_sub_u32_e32 v3, v3, v7
	v_add_u32_e32 v7, v5, v9
	v_lshrrev_b32_e32 v7, s21, v7
	v_mul_lo_u32 v11, v7, s19
	v_mul_hi_u32 v12, s23, v7
	v_sub_u32_e32 v5, v5, v11
	v_add_u32_e32 v11, v7, v12
	s_waitcnt lgkmcnt(0)
	v_mul_lo_u32 v9, v3, s9
	v_mul_lo_u32 v3, v3, s8
	;; [unrolled: 1-line block ×4, first 2 shown]
	v_lshrrev_b32_e32 v11, s24, v11
	v_add3_u32 v5, v3, v8, v5
	v_add3_u32 v8, v9, v10, v12
	v_mul_lo_u32 v3, v11, s22
	v_mul_hi_u32 v9, s26, v11
	v_sub_u32_e32 v3, v7, v3
	v_add_u32_e32 v7, v11, v9
	v_mul_lo_u32 v9, v3, s12
	v_mul_lo_u32 v10, v3, s13
	v_lshrrev_b32_e32 v3, s27, v7
	s_add_i32 s3, s3, 4
	v_mul_lo_u32 v7, v3, s25
	s_add_u32 s6, s6, 32
	v_sub_u32_e32 v7, v11, v7
	s_addc_u32 s7, s7, 0
	v_mul_lo_u32 v11, v7, s14
	v_mul_lo_u32 v7, v7, s15
	s_cmp_lg_u32 s2, s3
	v_add3_u32 v10, v10, v8, v7
	v_add3_u32 v8, v9, v5, v11
	s_cbranch_scc1 .LBB29_50
; %bb.51:
	v_mov_b32_e32 v9, v10
	s_and_b32 s8, s30, 3
	s_cmp_eq_u32 s8, 0
	s_cbranch_scc0 .LBB29_55
.LBB29_52:
	s_cbranch_execz .LBB29_58
	s_branch .LBB29_60
.LBB29_53:
                                        ; implicit-def: $vgpr10
                                        ; implicit-def: $vgpr8
	s_branch .LBB29_58
.LBB29_54:
	s_mov_b32 s3, s2
	v_pk_mov_b32 v[8:9], s[2:3], s[2:3] op_sel:[0,1]
                                        ; implicit-def: $vgpr10
	v_mov_b32_e32 v3, v1
	s_and_b32 s8, s30, 3
	s_cmp_eq_u32 s8, 0
	s_cbranch_scc1 .LBB29_52
.LBB29_55:
	s_lshl_b32 s3, s2, 3
	s_add_u32 s3, s3, s4
	s_addc_u32 s7, 0, s5
	s_add_u32 s6, s3, 0xc4
	s_addc_u32 s7, s7, 0
	s_mul_i32 s2, s2, 12
	s_add_u32 s2, s4, s2
	s_addc_u32 s3, 0, s5
.LBB29_56:                              ; =>This Inner Loop Header: Depth=1
	s_load_dwordx2 s[10:11], s[2:3], 0x4
	s_load_dword s9, s[2:3], 0xc
	s_load_dwordx2 s[12:13], s[6:7], 0x0
	s_add_u32 s2, s2, 12
	s_addc_u32 s3, s3, 0
	s_waitcnt lgkmcnt(0)
	v_mul_hi_u32 v5, s11, v3
	v_add_u32_e32 v5, v3, v5
	v_lshrrev_b32_e32 v5, s9, v5
	v_mul_lo_u32 v7, v5, s10
	v_mov_b32_e32 v10, v9
	s_add_u32 s6, s6, 8
	v_sub_u32_e32 v7, v3, v7
	s_addc_u32 s7, s7, 0
	s_add_i32 s8, s8, -1
	v_mad_u64_u32 v[10:11], s[10:11], v7, s13, v[10:11]
	v_mad_u64_u32 v[8:9], s[10:11], v7, s12, v[8:9]
	s_cmp_lg_u32 s8, 0
	v_mov_b32_e32 v3, v5
	v_mov_b32_e32 v9, v10
	s_cbranch_scc1 .LBB29_56
; %bb.57:
	v_mov_b32_e32 v10, v9
	s_cbranch_execnz .LBB29_60
.LBB29_58:
	s_load_dwordx4 s[8:11], s[4:5], 0x4
	s_load_dwordx2 s[2:3], s[4:5], 0xc4
	s_cmp_lt_u32 s33, 2
	s_waitcnt lgkmcnt(0)
	v_mul_hi_u32 v3, s9, v1
	v_add_u32_e32 v3, v1, v3
	v_lshrrev_b32_e32 v3, s10, v3
	v_mul_lo_u32 v5, v3, s8
	v_sub_u32_e32 v1, v1, v5
	v_mul_lo_u32 v10, v1, s3
	v_mul_lo_u32 v8, v1, s2
	s_cbranch_scc1 .LBB29_60
; %bb.59:
	s_load_dwordx4 s[8:11], s[4:5], 0x10
	s_load_dwordx2 s[2:3], s[4:5], 0xcc
	s_waitcnt lgkmcnt(0)
	v_mul_hi_u32 v1, s9, v3
	v_add_u32_e32 v1, v3, v1
	v_lshrrev_b32_e32 v1, s10, v1
	v_mul_lo_u32 v1, v1, s8
	v_sub_u32_e32 v1, v3, v1
	v_mad_u64_u32 v[8:9], s[6:7], v1, s2, v[8:9]
	v_mad_u64_u32 v[10:11], s[2:3], v1, s3, v[10:11]
.LBB29_60:
	s_and_b64 vcc, exec, s[0:1]
	v_add_u32_e32 v1, 0x180, v24
	s_cbranch_vccnz .LBB29_67
; %bb.61:
	s_mov_b32 s2, 0
	s_cmp_lg_u32 s33, 0
	v_mov_b32_e32 v14, 0
	v_mov_b32_e32 v12, 0
	s_cbranch_scc0 .LBB29_66
; %bb.62:
	s_min_u32 s30, s56, 15
	s_add_i32 s30, s30, 1
	s_cmp_eq_u32 s56, 2
	s_cbranch_scc1 .LBB29_68
; %bb.63:
	s_add_u32 s6, s4, 0xc4
	s_addc_u32 s7, s5, 0
	s_and_b32 s2, s30, 28
	s_mov_b32 s3, 0
	v_mov_b32_e32 v12, 0
	s_mov_b64 s[28:29], s[4:5]
	v_mov_b32_e32 v3, v1
	v_mov_b32_e32 v14, 0
.LBB29_64:                              ; =>This Inner Loop Header: Depth=1
	s_load_dwordx8 s[16:23], s[28:29], 0x4
	s_waitcnt lgkmcnt(0)
	s_load_dwordx4 s[24:27], s[28:29], 0x24
	s_load_dwordx8 s[8:15], s[6:7], 0x0
	s_add_u32 s28, s28, 48
	s_addc_u32 s29, s29, 0
	v_mul_hi_u32 v5, s17, v3
	v_add_u32_e32 v5, v3, v5
	v_lshrrev_b32_e32 v5, s18, v5
	v_mul_lo_u32 v7, v5, s16
	v_mul_hi_u32 v9, s20, v5
	v_sub_u32_e32 v3, v3, v7
	v_add_u32_e32 v7, v5, v9
	v_lshrrev_b32_e32 v7, s21, v7
	v_mul_lo_u32 v11, v7, s19
	v_mul_hi_u32 v13, s23, v7
	v_sub_u32_e32 v5, v5, v11
	v_add_u32_e32 v11, v7, v13
	s_waitcnt lgkmcnt(0)
	v_mul_lo_u32 v9, v3, s9
	v_mul_lo_u32 v3, v3, s8
	;; [unrolled: 1-line block ×4, first 2 shown]
	v_lshrrev_b32_e32 v11, s24, v11
	v_add3_u32 v5, v3, v12, v5
	v_mul_lo_u32 v3, v11, s22
	v_mul_hi_u32 v12, s26, v11
	v_sub_u32_e32 v3, v7, v3
	v_add_u32_e32 v7, v11, v12
	v_add3_u32 v9, v9, v14, v13
	v_mul_lo_u32 v12, v3, s12
	v_mul_lo_u32 v13, v3, s13
	v_lshrrev_b32_e32 v3, s27, v7
	s_add_i32 s3, s3, 4
	v_mul_lo_u32 v7, v3, s25
	s_add_u32 s6, s6, 32
	v_sub_u32_e32 v7, v11, v7
	s_addc_u32 s7, s7, 0
	v_mul_lo_u32 v11, v7, s14
	v_mul_lo_u32 v7, v7, s15
	s_cmp_lg_u32 s2, s3
	v_add3_u32 v14, v13, v9, v7
	v_add3_u32 v12, v12, v5, v11
	s_cbranch_scc1 .LBB29_64
; %bb.65:
	v_mov_b32_e32 v13, v14
	s_and_b32 s8, s30, 3
	s_cmp_eq_u32 s8, 0
	s_cbranch_scc0 .LBB29_69
.LBB29_66:
	s_cbranch_execz .LBB29_72
	s_branch .LBB29_74
.LBB29_67:
                                        ; implicit-def: $vgpr14
                                        ; implicit-def: $vgpr12
	s_branch .LBB29_72
.LBB29_68:
	s_mov_b32 s3, s2
	v_pk_mov_b32 v[12:13], s[2:3], s[2:3] op_sel:[0,1]
                                        ; implicit-def: $vgpr14
	v_mov_b32_e32 v3, v1
	s_and_b32 s8, s30, 3
	s_cmp_eq_u32 s8, 0
	s_cbranch_scc1 .LBB29_66
.LBB29_69:
	s_lshl_b32 s3, s2, 3
	s_add_u32 s3, s3, s4
	s_addc_u32 s7, 0, s5
	s_add_u32 s6, s3, 0xc4
	s_addc_u32 s7, s7, 0
	s_mul_i32 s2, s2, 12
	s_add_u32 s2, s4, s2
	s_addc_u32 s3, 0, s5
.LBB29_70:                              ; =>This Inner Loop Header: Depth=1
	s_load_dwordx2 s[10:11], s[2:3], 0x4
	s_load_dword s9, s[2:3], 0xc
	s_load_dwordx2 s[12:13], s[6:7], 0x0
	s_add_u32 s2, s2, 12
	s_addc_u32 s3, s3, 0
	s_waitcnt lgkmcnt(0)
	v_mul_hi_u32 v5, s11, v3
	v_add_u32_e32 v5, v3, v5
	v_lshrrev_b32_e32 v5, s9, v5
	v_mul_lo_u32 v7, v5, s10
	v_mov_b32_e32 v14, v13
	s_add_u32 s6, s6, 8
	v_sub_u32_e32 v7, v3, v7
	s_addc_u32 s7, s7, 0
	s_add_i32 s8, s8, -1
	v_mad_u64_u32 v[14:15], s[10:11], v7, s13, v[14:15]
	v_mad_u64_u32 v[12:13], s[10:11], v7, s12, v[12:13]
	s_cmp_lg_u32 s8, 0
	v_mov_b32_e32 v3, v5
	v_mov_b32_e32 v13, v14
	s_cbranch_scc1 .LBB29_70
; %bb.71:
	v_mov_b32_e32 v14, v13
	s_cbranch_execnz .LBB29_74
.LBB29_72:
	s_load_dwordx4 s[8:11], s[4:5], 0x4
	s_load_dwordx2 s[2:3], s[4:5], 0xc4
	s_cmp_lt_u32 s33, 2
	s_waitcnt lgkmcnt(0)
	v_mul_hi_u32 v3, s9, v1
	v_add_u32_e32 v3, v1, v3
	v_lshrrev_b32_e32 v3, s10, v3
	v_mul_lo_u32 v5, v3, s8
	v_sub_u32_e32 v1, v1, v5
	v_mul_lo_u32 v14, v1, s3
	v_mul_lo_u32 v12, v1, s2
	s_cbranch_scc1 .LBB29_74
; %bb.73:
	s_load_dwordx4 s[8:11], s[4:5], 0x10
	s_load_dwordx2 s[2:3], s[4:5], 0xcc
	s_waitcnt lgkmcnt(0)
	v_mul_hi_u32 v1, s9, v3
	v_add_u32_e32 v1, v3, v1
	v_lshrrev_b32_e32 v1, s10, v1
	v_mul_lo_u32 v1, v1, s8
	v_sub_u32_e32 v1, v3, v1
	v_mad_u64_u32 v[12:13], s[6:7], v1, s2, v[12:13]
	v_mad_u64_u32 v[14:15], s[2:3], v1, s3, v[14:15]
.LBB29_74:
	s_and_b64 vcc, exec, s[0:1]
	v_add_u32_e32 v1, 0x200, v24
	s_cbranch_vccnz .LBB29_81
; %bb.75:
	s_mov_b32 s2, 0
	s_cmp_lg_u32 s33, 0
	v_mov_b32_e32 v18, 0
	v_mov_b32_e32 v16, 0
	s_cbranch_scc0 .LBB29_80
; %bb.76:
	s_min_u32 s30, s56, 15
	s_add_i32 s30, s30, 1
	s_cmp_eq_u32 s56, 2
	s_cbranch_scc1 .LBB29_82
; %bb.77:
	s_add_u32 s6, s4, 0xc4
	s_addc_u32 s7, s5, 0
	s_and_b32 s2, s30, 28
	s_mov_b32 s3, 0
	v_mov_b32_e32 v16, 0
	s_mov_b64 s[28:29], s[4:5]
	v_mov_b32_e32 v3, v1
	v_mov_b32_e32 v18, 0
.LBB29_78:                              ; =>This Inner Loop Header: Depth=1
	s_load_dwordx8 s[16:23], s[28:29], 0x4
	s_waitcnt lgkmcnt(0)
	s_load_dwordx4 s[24:27], s[28:29], 0x24
	s_load_dwordx8 s[8:15], s[6:7], 0x0
	s_add_u32 s28, s28, 48
	s_addc_u32 s29, s29, 0
	v_mul_hi_u32 v5, s17, v3
	v_add_u32_e32 v5, v3, v5
	v_lshrrev_b32_e32 v5, s18, v5
	v_mul_lo_u32 v7, v5, s16
	v_mul_hi_u32 v9, s20, v5
	v_sub_u32_e32 v3, v3, v7
	v_add_u32_e32 v7, v5, v9
	v_lshrrev_b32_e32 v7, s21, v7
	v_mul_lo_u32 v11, v7, s19
	v_mul_hi_u32 v13, s23, v7
	v_sub_u32_e32 v5, v5, v11
	v_add_u32_e32 v11, v7, v13
	s_waitcnt lgkmcnt(0)
	v_mul_lo_u32 v9, v3, s9
	v_mul_lo_u32 v3, v3, s8
	v_mul_lo_u32 v13, v5, s11
	v_mul_lo_u32 v5, v5, s10
	v_lshrrev_b32_e32 v11, s24, v11
	v_add3_u32 v5, v3, v16, v5
	v_add3_u32 v9, v9, v18, v13
	v_mul_lo_u32 v3, v11, s22
	v_mul_hi_u32 v13, s26, v11
	v_sub_u32_e32 v3, v7, v3
	v_add_u32_e32 v7, v11, v13
	v_mul_lo_u32 v13, v3, s12
	v_mul_lo_u32 v15, v3, s13
	v_lshrrev_b32_e32 v3, s27, v7
	s_add_i32 s3, s3, 4
	v_mul_lo_u32 v7, v3, s25
	s_add_u32 s6, s6, 32
	v_sub_u32_e32 v7, v11, v7
	s_addc_u32 s7, s7, 0
	v_mul_lo_u32 v11, v7, s14
	v_mul_lo_u32 v7, v7, s15
	s_cmp_lg_u32 s2, s3
	v_add3_u32 v18, v15, v9, v7
	v_add3_u32 v16, v13, v5, v11
	s_cbranch_scc1 .LBB29_78
; %bb.79:
	v_mov_b32_e32 v17, v18
	s_and_b32 s8, s30, 3
	s_cmp_eq_u32 s8, 0
	s_cbranch_scc0 .LBB29_83
.LBB29_80:
	s_cbranch_execz .LBB29_86
	s_branch .LBB29_88
.LBB29_81:
                                        ; implicit-def: $vgpr18
                                        ; implicit-def: $vgpr16
	s_branch .LBB29_86
.LBB29_82:
	s_mov_b32 s3, s2
	v_pk_mov_b32 v[16:17], s[2:3], s[2:3] op_sel:[0,1]
                                        ; implicit-def: $vgpr18
	v_mov_b32_e32 v3, v1
	s_and_b32 s8, s30, 3
	s_cmp_eq_u32 s8, 0
	s_cbranch_scc1 .LBB29_80
.LBB29_83:
	s_lshl_b32 s3, s2, 3
	s_add_u32 s3, s3, s4
	s_addc_u32 s7, 0, s5
	s_add_u32 s6, s3, 0xc4
	s_addc_u32 s7, s7, 0
	s_mul_i32 s2, s2, 12
	s_add_u32 s2, s4, s2
	s_addc_u32 s3, 0, s5
.LBB29_84:                              ; =>This Inner Loop Header: Depth=1
	s_load_dwordx2 s[10:11], s[2:3], 0x4
	s_load_dword s9, s[2:3], 0xc
	s_load_dwordx2 s[12:13], s[6:7], 0x0
	s_add_u32 s2, s2, 12
	s_addc_u32 s3, s3, 0
	s_waitcnt lgkmcnt(0)
	v_mul_hi_u32 v5, s11, v3
	v_add_u32_e32 v5, v3, v5
	v_lshrrev_b32_e32 v5, s9, v5
	v_mul_lo_u32 v7, v5, s10
	v_mov_b32_e32 v18, v17
	s_add_u32 s6, s6, 8
	v_sub_u32_e32 v7, v3, v7
	s_addc_u32 s7, s7, 0
	s_add_i32 s8, s8, -1
	v_mad_u64_u32 v[18:19], s[10:11], v7, s13, v[18:19]
	v_mad_u64_u32 v[16:17], s[10:11], v7, s12, v[16:17]
	s_cmp_lg_u32 s8, 0
	v_mov_b32_e32 v3, v5
	v_mov_b32_e32 v17, v18
	s_cbranch_scc1 .LBB29_84
; %bb.85:
	v_mov_b32_e32 v18, v17
	s_cbranch_execnz .LBB29_88
.LBB29_86:
	s_load_dwordx4 s[8:11], s[4:5], 0x4
	s_load_dwordx2 s[2:3], s[4:5], 0xc4
	s_cmp_lt_u32 s33, 2
	s_waitcnt lgkmcnt(0)
	v_mul_hi_u32 v3, s9, v1
	v_add_u32_e32 v3, v1, v3
	v_lshrrev_b32_e32 v3, s10, v3
	v_mul_lo_u32 v5, v3, s8
	v_sub_u32_e32 v1, v1, v5
	v_mul_lo_u32 v18, v1, s3
	v_mul_lo_u32 v16, v1, s2
	s_cbranch_scc1 .LBB29_88
; %bb.87:
	s_load_dwordx4 s[8:11], s[4:5], 0x10
	s_load_dwordx2 s[2:3], s[4:5], 0xcc
	s_waitcnt lgkmcnt(0)
	v_mul_hi_u32 v1, s9, v3
	v_add_u32_e32 v1, v3, v1
	v_lshrrev_b32_e32 v1, s10, v1
	v_mul_lo_u32 v1, v1, s8
	v_sub_u32_e32 v1, v3, v1
	v_mad_u64_u32 v[16:17], s[6:7], v1, s2, v[16:17]
	v_mad_u64_u32 v[18:19], s[2:3], v1, s3, v[18:19]
.LBB29_88:
	s_and_b64 vcc, exec, s[0:1]
	v_add_u32_e32 v1, 0x280, v24
	s_cbranch_vccnz .LBB29_95
; %bb.89:
	s_mov_b32 s2, 0
	s_cmp_lg_u32 s33, 0
	v_mov_b32_e32 v22, 0
	v_mov_b32_e32 v20, 0
	s_cbranch_scc0 .LBB29_94
; %bb.90:
	s_min_u32 s30, s56, 15
	s_add_i32 s30, s30, 1
	s_cmp_eq_u32 s56, 2
	s_cbranch_scc1 .LBB29_96
; %bb.91:
	s_add_u32 s6, s4, 0xc4
	s_addc_u32 s7, s5, 0
	s_and_b32 s2, s30, 28
	s_mov_b32 s3, 0
	v_mov_b32_e32 v20, 0
	s_mov_b64 s[28:29], s[4:5]
	v_mov_b32_e32 v3, v1
	v_mov_b32_e32 v22, 0
.LBB29_92:                              ; =>This Inner Loop Header: Depth=1
	s_load_dwordx8 s[16:23], s[28:29], 0x4
	s_waitcnt lgkmcnt(0)
	s_load_dwordx4 s[24:27], s[28:29], 0x24
	s_load_dwordx8 s[8:15], s[6:7], 0x0
	s_add_u32 s28, s28, 48
	s_addc_u32 s29, s29, 0
	v_mul_hi_u32 v5, s17, v3
	v_add_u32_e32 v5, v3, v5
	v_lshrrev_b32_e32 v5, s18, v5
	v_mul_lo_u32 v7, v5, s16
	v_mul_hi_u32 v9, s20, v5
	v_sub_u32_e32 v3, v3, v7
	v_add_u32_e32 v7, v5, v9
	v_lshrrev_b32_e32 v7, s21, v7
	v_mul_lo_u32 v11, v7, s19
	v_mul_hi_u32 v13, s23, v7
	v_sub_u32_e32 v5, v5, v11
	v_add_u32_e32 v11, v7, v13
	s_waitcnt lgkmcnt(0)
	v_mul_lo_u32 v9, v3, s9
	v_mul_lo_u32 v3, v3, s8
	;; [unrolled: 1-line block ×4, first 2 shown]
	v_lshrrev_b32_e32 v11, s24, v11
	v_add3_u32 v5, v3, v20, v5
	v_add3_u32 v9, v9, v22, v13
	v_mul_lo_u32 v3, v11, s22
	v_mul_hi_u32 v13, s26, v11
	v_sub_u32_e32 v3, v7, v3
	v_add_u32_e32 v7, v11, v13
	v_mul_lo_u32 v13, v3, s12
	v_mul_lo_u32 v15, v3, s13
	v_lshrrev_b32_e32 v3, s27, v7
	s_add_i32 s3, s3, 4
	v_mul_lo_u32 v7, v3, s25
	s_add_u32 s6, s6, 32
	v_sub_u32_e32 v7, v11, v7
	s_addc_u32 s7, s7, 0
	v_mul_lo_u32 v11, v7, s14
	v_mul_lo_u32 v7, v7, s15
	s_cmp_lg_u32 s2, s3
	v_add3_u32 v22, v15, v9, v7
	v_add3_u32 v20, v13, v5, v11
	s_cbranch_scc1 .LBB29_92
; %bb.93:
	v_mov_b32_e32 v21, v22
	s_and_b32 s8, s30, 3
	s_cmp_eq_u32 s8, 0
	s_cbranch_scc0 .LBB29_97
.LBB29_94:
	s_cbranch_execz .LBB29_100
	s_branch .LBB29_102
.LBB29_95:
                                        ; implicit-def: $vgpr22
                                        ; implicit-def: $vgpr20
	s_branch .LBB29_100
.LBB29_96:
	s_mov_b32 s3, s2
	v_pk_mov_b32 v[20:21], s[2:3], s[2:3] op_sel:[0,1]
                                        ; implicit-def: $vgpr22
	v_mov_b32_e32 v3, v1
	s_and_b32 s8, s30, 3
	s_cmp_eq_u32 s8, 0
	s_cbranch_scc1 .LBB29_94
.LBB29_97:
	s_lshl_b32 s3, s2, 3
	s_add_u32 s3, s3, s4
	s_addc_u32 s7, 0, s5
	s_add_u32 s6, s3, 0xc4
	s_addc_u32 s7, s7, 0
	s_mul_i32 s2, s2, 12
	s_add_u32 s2, s4, s2
	s_addc_u32 s3, 0, s5
.LBB29_98:                              ; =>This Inner Loop Header: Depth=1
	s_load_dwordx2 s[10:11], s[2:3], 0x4
	s_load_dword s9, s[2:3], 0xc
	s_load_dwordx2 s[12:13], s[6:7], 0x0
	s_add_u32 s2, s2, 12
	s_addc_u32 s3, s3, 0
	s_waitcnt lgkmcnt(0)
	v_mul_hi_u32 v5, s11, v3
	v_add_u32_e32 v5, v3, v5
	v_lshrrev_b32_e32 v5, s9, v5
	v_mul_lo_u32 v7, v5, s10
	v_mov_b32_e32 v22, v21
	s_add_u32 s6, s6, 8
	v_sub_u32_e32 v7, v3, v7
	s_addc_u32 s7, s7, 0
	s_add_i32 s8, s8, -1
	v_mad_u64_u32 v[22:23], s[10:11], v7, s13, v[22:23]
	v_mad_u64_u32 v[20:21], s[10:11], v7, s12, v[20:21]
	s_cmp_lg_u32 s8, 0
	v_mov_b32_e32 v3, v5
	v_mov_b32_e32 v21, v22
	s_cbranch_scc1 .LBB29_98
; %bb.99:
	v_mov_b32_e32 v22, v21
	s_cbranch_execnz .LBB29_102
.LBB29_100:
	s_load_dwordx4 s[8:11], s[4:5], 0x4
	s_load_dwordx2 s[2:3], s[4:5], 0xc4
	s_cmp_lt_u32 s33, 2
	s_waitcnt lgkmcnt(0)
	v_mul_hi_u32 v3, s9, v1
	v_add_u32_e32 v3, v1, v3
	v_lshrrev_b32_e32 v3, s10, v3
	v_mul_lo_u32 v5, v3, s8
	v_sub_u32_e32 v1, v1, v5
	v_mul_lo_u32 v22, v1, s3
	v_mul_lo_u32 v20, v1, s2
	s_cbranch_scc1 .LBB29_102
; %bb.101:
	s_load_dwordx4 s[8:11], s[4:5], 0x10
	s_load_dwordx2 s[2:3], s[4:5], 0xcc
	s_waitcnt lgkmcnt(0)
	v_mul_hi_u32 v1, s9, v3
	v_add_u32_e32 v1, v3, v1
	v_lshrrev_b32_e32 v1, s10, v1
	v_mul_lo_u32 v1, v1, s8
	v_sub_u32_e32 v1, v3, v1
	v_mad_u64_u32 v[20:21], s[6:7], v1, s2, v[20:21]
	v_mad_u64_u32 v[22:23], s[2:3], v1, s3, v[22:23]
.LBB29_102:
	s_and_b64 vcc, exec, s[0:1]
	v_add_u32_e32 v1, 0x300, v24
	s_cbranch_vccnz .LBB29_109
; %bb.103:
	s_mov_b32 s2, 0
	s_cmp_lg_u32 s33, 0
	v_mov_b32_e32 v26, 0
	v_mov_b32_e32 v24, 0
	s_cbranch_scc0 .LBB29_108
; %bb.104:
	s_min_u32 s30, s56, 15
	s_add_i32 s30, s30, 1
	s_cmp_eq_u32 s56, 2
	s_cbranch_scc1 .LBB29_110
; %bb.105:
	s_add_u32 s6, s4, 0xc4
	s_addc_u32 s7, s5, 0
	s_and_b32 s2, s30, 28
	s_mov_b32 s3, 0
	v_mov_b32_e32 v24, 0
	s_mov_b64 s[28:29], s[4:5]
	v_mov_b32_e32 v3, v1
	v_mov_b32_e32 v26, 0
.LBB29_106:                             ; =>This Inner Loop Header: Depth=1
	s_load_dwordx8 s[16:23], s[28:29], 0x4
	s_waitcnt lgkmcnt(0)
	s_load_dwordx4 s[24:27], s[28:29], 0x24
	s_load_dwordx8 s[8:15], s[6:7], 0x0
	s_add_u32 s28, s28, 48
	s_addc_u32 s29, s29, 0
	v_mul_hi_u32 v5, s17, v3
	v_add_u32_e32 v5, v3, v5
	v_lshrrev_b32_e32 v5, s18, v5
	v_mul_lo_u32 v7, v5, s16
	v_mul_hi_u32 v9, s20, v5
	v_sub_u32_e32 v3, v3, v7
	v_add_u32_e32 v7, v5, v9
	v_lshrrev_b32_e32 v7, s21, v7
	v_mul_lo_u32 v11, v7, s19
	v_mul_hi_u32 v13, s23, v7
	v_sub_u32_e32 v5, v5, v11
	v_add_u32_e32 v11, v7, v13
	s_waitcnt lgkmcnt(0)
	v_mul_lo_u32 v9, v3, s9
	v_mul_lo_u32 v3, v3, s8
	;; [unrolled: 1-line block ×4, first 2 shown]
	v_lshrrev_b32_e32 v11, s24, v11
	v_add3_u32 v5, v3, v24, v5
	v_add3_u32 v9, v9, v26, v13
	v_mul_lo_u32 v3, v11, s22
	v_mul_hi_u32 v13, s26, v11
	v_sub_u32_e32 v3, v7, v3
	v_add_u32_e32 v7, v11, v13
	v_mul_lo_u32 v13, v3, s12
	v_mul_lo_u32 v15, v3, s13
	v_lshrrev_b32_e32 v3, s27, v7
	s_add_i32 s3, s3, 4
	v_mul_lo_u32 v7, v3, s25
	s_add_u32 s6, s6, 32
	v_sub_u32_e32 v7, v11, v7
	s_addc_u32 s7, s7, 0
	v_mul_lo_u32 v11, v7, s14
	v_mul_lo_u32 v7, v7, s15
	s_cmp_lg_u32 s2, s3
	v_add3_u32 v26, v15, v9, v7
	v_add3_u32 v24, v13, v5, v11
	s_cbranch_scc1 .LBB29_106
; %bb.107:
	v_mov_b32_e32 v25, v26
	s_and_b32 s8, s30, 3
	s_cmp_eq_u32 s8, 0
	s_cbranch_scc0 .LBB29_111
.LBB29_108:
	s_cbranch_execz .LBB29_114
	s_branch .LBB29_116
.LBB29_109:
                                        ; implicit-def: $vgpr26
                                        ; implicit-def: $vgpr24
	s_branch .LBB29_114
.LBB29_110:
	s_mov_b32 s3, s2
	v_pk_mov_b32 v[24:25], s[2:3], s[2:3] op_sel:[0,1]
                                        ; implicit-def: $vgpr26
	v_mov_b32_e32 v3, v1
	s_and_b32 s8, s30, 3
	s_cmp_eq_u32 s8, 0
	s_cbranch_scc1 .LBB29_108
.LBB29_111:
	s_lshl_b32 s3, s2, 3
	s_add_u32 s3, s3, s4
	s_addc_u32 s7, 0, s5
	s_add_u32 s6, s3, 0xc4
	s_addc_u32 s7, s7, 0
	s_mul_i32 s2, s2, 12
	s_add_u32 s2, s4, s2
	s_addc_u32 s3, 0, s5
.LBB29_112:                             ; =>This Inner Loop Header: Depth=1
	s_load_dwordx2 s[10:11], s[2:3], 0x4
	s_load_dword s9, s[2:3], 0xc
	s_load_dwordx2 s[12:13], s[6:7], 0x0
	s_add_u32 s2, s2, 12
	s_addc_u32 s3, s3, 0
	s_waitcnt lgkmcnt(0)
	v_mul_hi_u32 v5, s11, v3
	v_add_u32_e32 v5, v3, v5
	v_lshrrev_b32_e32 v5, s9, v5
	v_mul_lo_u32 v7, v5, s10
	v_mov_b32_e32 v26, v25
	s_add_u32 s6, s6, 8
	v_sub_u32_e32 v7, v3, v7
	s_addc_u32 s7, s7, 0
	s_add_i32 s8, s8, -1
	v_mad_u64_u32 v[26:27], s[10:11], v7, s13, v[26:27]
	v_mad_u64_u32 v[24:25], s[10:11], v7, s12, v[24:25]
	s_cmp_lg_u32 s8, 0
	v_mov_b32_e32 v3, v5
	v_mov_b32_e32 v25, v26
	s_cbranch_scc1 .LBB29_112
; %bb.113:
	v_mov_b32_e32 v26, v25
	s_cbranch_execnz .LBB29_116
.LBB29_114:
	s_load_dwordx4 s[8:11], s[4:5], 0x4
	s_load_dwordx2 s[2:3], s[4:5], 0xc4
	s_cmp_lt_u32 s33, 2
	s_waitcnt lgkmcnt(0)
	v_mul_hi_u32 v3, s9, v1
	v_add_u32_e32 v3, v1, v3
	v_lshrrev_b32_e32 v3, s10, v3
	v_mul_lo_u32 v5, v3, s8
	v_sub_u32_e32 v1, v1, v5
	v_mul_lo_u32 v26, v1, s3
	v_mul_lo_u32 v24, v1, s2
	s_cbranch_scc1 .LBB29_116
; %bb.115:
	s_load_dwordx4 s[8:11], s[4:5], 0x10
	s_load_dwordx2 s[2:3], s[4:5], 0xcc
	s_waitcnt lgkmcnt(0)
	v_mul_hi_u32 v1, s9, v3
	v_add_u32_e32 v1, v3, v1
	v_lshrrev_b32_e32 v1, s10, v1
	v_mul_lo_u32 v1, v1, s8
	v_sub_u32_e32 v1, v3, v1
	v_mad_u64_u32 v[24:25], s[6:7], v1, s2, v[24:25]
	v_mad_u64_u32 v[26:27], s[2:3], v1, s3, v[26:27]
.LBB29_116:
	s_and_b64 vcc, exec, s[0:1]
	s_cbranch_vccnz .LBB29_123
; %bb.117:
	s_mov_b32 s6, 0
	s_cmp_lg_u32 s33, 0
	v_mov_b32_e32 v30, 0
	v_mov_b32_e32 v28, 0
	s_cbranch_scc0 .LBB29_122
; %bb.118:
	s_min_u32 s28, s56, 15
	s_add_i32 s28, s28, 1
	s_cmp_eq_u32 s56, 2
	s_cbranch_scc1 .LBB29_124
; %bb.119:
	s_waitcnt lgkmcnt(0)
	s_add_u32 s24, s4, 0xc4
	s_addc_u32 s25, s5, 0
	s_and_b32 s6, s28, 28
	s_mov_b32 s7, 0
	v_mov_b32_e32 v28, 0
	s_mov_b64 s[26:27], s[4:5]
	v_mov_b32_e32 v1, v31
	v_mov_b32_e32 v30, 0
.LBB29_120:                             ; =>This Inner Loop Header: Depth=1
	s_load_dwordx8 s[16:23], s[26:27], 0x4
	s_load_dwordx4 s[0:3], s[26:27], 0x24
	s_load_dwordx8 s[8:15], s[24:25], 0x0
	s_add_u32 s26, s26, 48
	s_addc_u32 s27, s27, 0
	s_waitcnt lgkmcnt(0)
	v_mul_hi_u32 v3, s17, v1
	v_add_u32_e32 v3, v1, v3
	v_lshrrev_b32_e32 v3, s18, v3
	v_mul_lo_u32 v5, v3, s16
	v_mul_hi_u32 v7, s20, v3
	v_sub_u32_e32 v1, v1, v5
	v_add_u32_e32 v5, v3, v7
	v_lshrrev_b32_e32 v5, s21, v5
	v_mul_lo_u32 v9, v5, s19
	v_mul_hi_u32 v11, s23, v5
	v_sub_u32_e32 v3, v3, v9
	v_add_u32_e32 v9, v5, v11
	v_mul_lo_u32 v7, v1, s9
	v_mul_lo_u32 v1, v1, s8
	;; [unrolled: 1-line block ×4, first 2 shown]
	v_lshrrev_b32_e32 v9, s0, v9
	v_add3_u32 v3, v1, v28, v3
	v_add3_u32 v7, v7, v30, v11
	v_mul_lo_u32 v1, v9, s22
	v_mul_hi_u32 v11, s2, v9
	v_sub_u32_e32 v1, v5, v1
	v_add_u32_e32 v5, v9, v11
	v_mul_lo_u32 v11, v1, s12
	v_mul_lo_u32 v13, v1, s13
	v_lshrrev_b32_e32 v1, s3, v5
	s_add_i32 s7, s7, 4
	v_mul_lo_u32 v5, v1, s1
	s_add_u32 s24, s24, 32
	v_sub_u32_e32 v5, v9, v5
	s_addc_u32 s25, s25, 0
	v_mul_lo_u32 v9, v5, s14
	v_mul_lo_u32 v5, v5, s15
	s_cmp_lg_u32 s6, s7
	v_add3_u32 v30, v13, v7, v5
	v_add3_u32 v28, v11, v3, v9
	s_cbranch_scc1 .LBB29_120
; %bb.121:
	v_mov_b32_e32 v29, v30
	s_and_b32 s7, s28, 3
	s_cmp_eq_u32 s7, 0
	s_cbranch_scc0 .LBB29_125
.LBB29_122:
	s_cbranch_execz .LBB29_128
	s_branch .LBB29_130
.LBB29_123:
                                        ; implicit-def: $vgpr30
                                        ; implicit-def: $vgpr28
	s_branch .LBB29_128
.LBB29_124:
	s_mov_b32 s7, s6
	v_pk_mov_b32 v[28:29], s[6:7], s[6:7] op_sel:[0,1]
                                        ; implicit-def: $vgpr30
	v_mov_b32_e32 v1, v31
	s_and_b32 s7, s28, 3
	s_cmp_eq_u32 s7, 0
	s_cbranch_scc1 .LBB29_122
.LBB29_125:
	s_lshl_b32 s0, s6, 3
	s_add_u32 s0, s0, s4
	s_addc_u32 s1, 0, s5
	s_add_u32 s0, s0, 0xc4
	s_addc_u32 s1, s1, 0
	s_mul_i32 s2, s6, 12
	s_add_u32 s2, s4, s2
	s_addc_u32 s3, 0, s5
.LBB29_126:                             ; =>This Inner Loop Header: Depth=1
	s_load_dwordx2 s[8:9], s[2:3], 0x4
	s_load_dword s6, s[2:3], 0xc
	s_load_dwordx2 s[10:11], s[0:1], 0x0
	s_add_u32 s2, s2, 12
	s_addc_u32 s3, s3, 0
	s_waitcnt lgkmcnt(0)
	v_mul_hi_u32 v3, s9, v1
	v_add_u32_e32 v3, v1, v3
	v_lshrrev_b32_e32 v3, s6, v3
	v_mul_lo_u32 v5, v3, s8
	v_mov_b32_e32 v30, v29
	s_add_u32 s0, s0, 8
	v_sub_u32_e32 v5, v1, v5
	s_addc_u32 s1, s1, 0
	s_add_i32 s7, s7, -1
	v_mad_u64_u32 v[32:33], s[8:9], v5, s11, v[30:31]
	v_mad_u64_u32 v[28:29], s[8:9], v5, s10, v[28:29]
	s_cmp_lg_u32 s7, 0
	v_mov_b32_e32 v1, v3
	v_mov_b32_e32 v29, v32
	s_cbranch_scc1 .LBB29_126
; %bb.127:
	v_mov_b32_e32 v30, v29
	s_cbranch_execnz .LBB29_130
.LBB29_128:
	s_load_dwordx4 s[0:3], s[4:5], 0x4
	s_load_dwordx2 s[6:7], s[4:5], 0xc4
	s_cmp_lt_u32 s33, 2
	s_waitcnt lgkmcnt(0)
	v_mul_hi_u32 v1, s1, v31
	v_add_u32_e32 v1, v31, v1
	v_lshrrev_b32_e32 v1, s2, v1
	v_mul_lo_u32 v3, v1, s0
	v_sub_u32_e32 v3, v31, v3
	v_mul_lo_u32 v30, v3, s7
	v_mul_lo_u32 v28, v3, s6
	s_cbranch_scc1 .LBB29_130
; %bb.129:
	s_load_dwordx4 s[0:3], s[4:5], 0x10
	s_load_dwordx2 s[6:7], s[4:5], 0xcc
	s_waitcnt lgkmcnt(0)
	v_mul_hi_u32 v3, s1, v1
	v_add_u32_e32 v3, v1, v3
	v_lshrrev_b32_e32 v3, s2, v3
	v_mul_lo_u32 v3, v3, s0
	v_sub_u32_e32 v1, v1, v3
	v_mad_u64_u32 v[28:29], s[0:1], v1, s6, v[28:29]
	v_mad_u64_u32 v[30:31], s[0:1], v1, s7, v[30:31]
.LBB29_130:
	s_waitcnt lgkmcnt(0)
	s_load_dwordx4 s[36:39], s[4:5], 0x148
	s_load_dword s0, s[4:5], 0x158
	s_waitcnt lgkmcnt(0)
	global_load_ushort v1, v2, s[38:39]
	global_load_ushort v3, v6, s[38:39]
	;; [unrolled: 1-line block ×8, first 2 shown]
	s_lshl_b32 s28, s0, 16
	s_xor_b32 s0, s28, 0x80000000
	s_bfe_u32 s1, s0, 0x10010
	s_add_i32 s0, s0, s1
	s_addk_i32 s0, 0x7fff
	s_and_b32 s0, s0, 0xffff0000
	v_mov_b32_e32 v2, 0x7fc00000
	v_mov_b32_e32 v6, s0
	v_cmp_o_f32_e64 vcc, s28, s28
	v_cndmask_b32_e32 v2, v2, v6, vcc
	s_waitcnt vmcnt(7)
	v_lshlrev_b32_e32 v6, 16, v1
	s_waitcnt vmcnt(6)
	v_lshlrev_b32_e32 v10, 16, v3
	v_cmp_nle_f32_e32 vcc, v2, v6
	v_cmp_nge_f32_e64 s[0:1], s28, v6
	s_waitcnt vmcnt(5)
	v_lshlrev_b32_e32 v14, 16, v5
	v_cmp_nle_f32_e64 s[2:3], v2, v10
	v_cmp_nge_f32_e64 s[4:5], s28, v10
	s_or_b64 vcc, s[0:1], vcc
	s_waitcnt vmcnt(4)
	v_lshlrev_b32_e32 v17, 16, v7
	s_waitcnt vmcnt(3)
	v_lshlrev_b32_e32 v18, 16, v9
	;; [unrolled: 2-line block ×5, first 2 shown]
	v_cmp_nle_f32_e64 s[6:7], v2, v14
	v_cmp_nge_f32_e64 s[8:9], s28, v14
	v_cndmask_b32_e32 v1, 0, v1, vcc
	s_or_b64 vcc, s[4:5], s[2:3]
	v_cmp_nle_f32_e64 s[10:11], v2, v17
	v_cmp_nge_f32_e64 s[12:13], s28, v17
	v_cmp_nle_f32_e64 s[14:15], v2, v18
	v_cmp_nle_f32_e64 s[18:19], v2, v19
	;; [unrolled: 1-line block ×4, first 2 shown]
	v_cndmask_b32_e32 v2, 0, v3, vcc
	s_or_b64 vcc, s[8:9], s[6:7]
	v_cmp_nge_f32_e64 s[16:17], s28, v18
	v_cndmask_b32_e32 v3, 0, v5, vcc
	s_or_b64 vcc, s[12:13], s[10:11]
	v_cmp_nge_f32_e64 s[20:21], s28, v19
	;; [unrolled: 3-line block ×4, first 2 shown]
	v_cndmask_b32_e32 v7, 0, v11, vcc
	s_or_b64 vcc, s[24:25], s[22:23]
	v_cndmask_b32_e32 v9, 0, v13, vcc
	s_or_b64 vcc, s[28:29], s[26:27]
	v_cndmask_b32_e32 v10, 0, v15, vcc
	global_store_short v0, v1, s[36:37]
	global_store_short v4, v2, s[36:37]
	;; [unrolled: 1-line block ×8, first 2 shown]
	s_endpgm
.LBB29_131:
	s_mov_b32 s51, s50
	v_pk_mov_b32 v[0:1], s[50:51], s[50:51] op_sel:[0,1]
                                        ; implicit-def: $vgpr2
	v_mov_b32_e32 v3, v24
.LBB29_132:
	s_and_b32 s8, s60, 3
	s_cmp_eq_u32 s8, 0
	s_cbranch_scc1 .LBB29_136
; %bb.133:
	s_lshl_b32 s0, s50, 3
	s_add_u32 s0, s0, s4
	s_addc_u32 s1, s5, 0
	s_add_u32 s0, s0, 0xc4
	s_addc_u32 s1, s1, 0
	s_mul_i32 s2, s50, 12
	s_add_u32 s2, s4, s2
	s_addc_u32 s3, s5, 0
.LBB29_134:                             ; =>This Inner Loop Header: Depth=1
	s_load_dwordx2 s[10:11], s[2:3], 0x4
	s_load_dword s9, s[2:3], 0xc
	s_load_dwordx2 s[12:13], s[0:1], 0x0
	v_mov_b32_e32 v2, v1
	s_add_u32 s2, s2, 12
	s_waitcnt lgkmcnt(0)
	v_mul_hi_u32 v1, s11, v3
	v_add_u32_e32 v1, v3, v1
	v_lshrrev_b32_e32 v1, s9, v1
	s_addc_u32 s3, s3, 0
	v_mul_lo_u32 v5, v1, s10
	s_add_u32 s0, s0, 8
	v_sub_u32_e32 v5, v3, v5
	v_mov_b32_e32 v3, v1
	s_addc_u32 s1, s1, 0
	s_add_i32 s8, s8, -1
	v_mad_u64_u32 v[6:7], s[10:11], v5, s13, v[2:3]
	v_mad_u64_u32 v[0:1], s[10:11], v5, s12, v[0:1]
	s_cmp_lg_u32 s8, 0
	v_mov_b32_e32 v1, v6
	s_cbranch_scc1 .LBB29_134
; %bb.135:
	v_mov_b32_e32 v2, v1
.LBB29_136:
	s_cbranch_execnz .LBB29_139
.LBB29_137:
	v_mul_hi_u32 v0, s29, v24
	v_add_u32_e32 v0, v24, v0
	v_lshrrev_b32_e32 v1, s30, v0
	v_mul_lo_u32 v0, v1, s28
	v_sub_u32_e32 v0, v24, v0
	s_waitcnt lgkmcnt(0)
	v_mul_lo_u32 v2, v0, s37
	s_andn2_b64 vcc, exec, s[42:43]
	v_mul_lo_u32 v0, v0, s36
	s_cbranch_vccnz .LBB29_139
; %bb.138:
	v_mul_hi_u32 v3, s40, v1
	v_add_u32_e32 v3, v1, v3
	v_lshrrev_b32_e32 v3, s41, v3
	v_mul_lo_u32 v3, v3, s31
	v_sub_u32_e32 v3, v1, v3
	v_mad_u64_u32 v[0:1], s[0:1], v3, s38, v[0:1]
	v_mad_u64_u32 v[2:3], s[0:1], v3, s39, v[2:3]
.LBB29_139:
	s_waitcnt lgkmcnt(0)
	global_load_ushort v1, v2, s[26:27]
	v_add_u32_e32 v24, 0x80, v24
	s_waitcnt vmcnt(0)
	v_lshlrev_b32_e32 v2, 16, v1
	v_cmp_nle_f32_e32 vcc, v4, v2
	v_cmp_nge_f32_e64 s[0:1], s57, v2
	s_or_b64 vcc, s[0:1], vcc
	v_cndmask_b32_e32 v1, 0, v1, vcc
	global_store_short v0, v1, s[24:25]
	s_or_b64 exec, exec, s[48:49]
	v_cmp_gt_i32_e32 vcc, s58, v24
	s_and_saveexec_b64 s[48:49], vcc
	s_cbranch_execnz .LBB29_17
.LBB29_140:
	s_or_b64 exec, exec, s[48:49]
	v_cmp_gt_i32_e32 vcc, s58, v24
	s_and_saveexec_b64 s[48:49], vcc
	s_cbranch_execz .LBB29_157
.LBB29_141:
	s_andn2_b64 vcc, exec, s[6:7]
	s_cbranch_vccnz .LBB29_147
; %bb.142:
	s_mov_b32 s50, 0
	s_andn2_b64 vcc, exec, s[46:47]
	v_mov_b32_e32 v2, 0
	v_mov_b32_e32 v0, 0
	s_cbranch_vccnz .LBB29_170
; %bb.143:
	s_add_i32 s60, s59, 1
	s_cmp_eq_u32 s56, 2
	s_cbranch_scc1 .LBB29_165
; %bb.144:
	s_and_b32 s50, s60, 28
	s_mov_b32 s51, 0
	v_mov_b32_e32 v0, 0
	s_mov_b64 s[52:53], s[4:5]
	s_mov_b64 s[54:55], s[44:45]
	v_mov_b32_e32 v3, v24
	v_mov_b32_e32 v2, 0
.LBB29_145:                             ; =>This Inner Loop Header: Depth=1
	s_load_dwordx8 s[16:23], s[52:53], 0x4
	s_load_dwordx4 s[0:3], s[52:53], 0x24
	s_load_dwordx8 s[8:15], s[54:55], 0x0
	s_add_u32 s52, s52, 48
	s_addc_u32 s53, s53, 0
	s_waitcnt lgkmcnt(0)
	v_mul_hi_u32 v1, s17, v3
	v_add_u32_e32 v1, v3, v1
	v_lshrrev_b32_e32 v1, s18, v1
	v_mul_lo_u32 v5, v1, s16
	v_mul_hi_u32 v6, s20, v1
	v_sub_u32_e32 v3, v3, v5
	v_add_u32_e32 v5, v1, v6
	v_lshrrev_b32_e32 v5, s21, v5
	v_mul_lo_u32 v7, v5, s19
	v_mul_hi_u32 v8, s23, v5
	v_sub_u32_e32 v1, v1, v7
	v_add_u32_e32 v7, v5, v8
	v_mul_lo_u32 v6, v3, s9
	v_mul_lo_u32 v3, v3, s8
	;; [unrolled: 1-line block ×4, first 2 shown]
	v_lshrrev_b32_e32 v7, s0, v7
	v_add3_u32 v0, v3, v0, v1
	v_mul_hi_u32 v3, s2, v7
	v_add_u32_e32 v3, v7, v3
	v_lshrrev_b32_e32 v3, s3, v3
	s_add_i32 s51, s51, 4
	v_add3_u32 v1, v6, v2, v8
	v_mul_lo_u32 v2, v7, s22
	v_mul_lo_u32 v6, v3, s1
	s_add_u32 s54, s54, 32
	v_sub_u32_e32 v2, v5, v2
	v_sub_u32_e32 v6, v7, v6
	s_addc_u32 s55, s55, 0
	v_mul_lo_u32 v5, v2, s12
	v_mul_lo_u32 v2, v2, s13
	;; [unrolled: 1-line block ×4, first 2 shown]
	s_cmp_eq_u32 s50, s51
	v_add3_u32 v2, v2, v1, v6
	v_add3_u32 v0, v5, v0, v7
	s_cbranch_scc0 .LBB29_145
; %bb.146:
	v_mov_b32_e32 v1, v2
	s_branch .LBB29_166
.LBB29_147:
                                        ; implicit-def: $vgpr2
                                        ; implicit-def: $vgpr0
	s_branch .LBB29_171
.LBB29_148:
	s_mov_b32 s51, s50
	v_pk_mov_b32 v[0:1], s[50:51], s[50:51] op_sel:[0,1]
                                        ; implicit-def: $vgpr2
	v_mov_b32_e32 v3, v24
.LBB29_149:
	s_and_b32 s8, s60, 3
	s_cmp_eq_u32 s8, 0
	s_cbranch_scc1 .LBB29_153
; %bb.150:
	s_lshl_b32 s0, s50, 3
	s_add_u32 s0, s0, s4
	s_addc_u32 s1, s5, 0
	s_add_u32 s0, s0, 0xc4
	s_addc_u32 s1, s1, 0
	s_mul_i32 s2, s50, 12
	s_add_u32 s2, s4, s2
	s_addc_u32 s3, s5, 0
.LBB29_151:                             ; =>This Inner Loop Header: Depth=1
	s_load_dwordx2 s[10:11], s[2:3], 0x4
	s_load_dword s9, s[2:3], 0xc
	s_load_dwordx2 s[12:13], s[0:1], 0x0
	v_mov_b32_e32 v2, v1
	s_add_u32 s2, s2, 12
	s_waitcnt lgkmcnt(0)
	v_mul_hi_u32 v1, s11, v3
	v_add_u32_e32 v1, v3, v1
	v_lshrrev_b32_e32 v1, s9, v1
	s_addc_u32 s3, s3, 0
	v_mul_lo_u32 v5, v1, s10
	s_add_u32 s0, s0, 8
	v_sub_u32_e32 v5, v3, v5
	v_mov_b32_e32 v3, v1
	s_addc_u32 s1, s1, 0
	s_add_i32 s8, s8, -1
	v_mad_u64_u32 v[6:7], s[10:11], v5, s13, v[2:3]
	v_mad_u64_u32 v[0:1], s[10:11], v5, s12, v[0:1]
	s_cmp_lg_u32 s8, 0
	v_mov_b32_e32 v1, v6
	s_cbranch_scc1 .LBB29_151
; %bb.152:
	v_mov_b32_e32 v2, v1
.LBB29_153:
	s_cbranch_execnz .LBB29_156
.LBB29_154:
	v_mul_hi_u32 v0, s29, v24
	v_add_u32_e32 v0, v24, v0
	v_lshrrev_b32_e32 v1, s30, v0
	v_mul_lo_u32 v0, v1, s28
	v_sub_u32_e32 v0, v24, v0
	s_waitcnt lgkmcnt(0)
	v_mul_lo_u32 v2, v0, s37
	s_andn2_b64 vcc, exec, s[42:43]
	v_mul_lo_u32 v0, v0, s36
	s_cbranch_vccnz .LBB29_156
; %bb.155:
	v_mul_hi_u32 v3, s40, v1
	v_add_u32_e32 v3, v1, v3
	v_lshrrev_b32_e32 v3, s41, v3
	v_mul_lo_u32 v3, v3, s31
	v_sub_u32_e32 v3, v1, v3
	v_mad_u64_u32 v[0:1], s[0:1], v3, s38, v[0:1]
	v_mad_u64_u32 v[2:3], s[0:1], v3, s39, v[2:3]
.LBB29_156:
	s_waitcnt lgkmcnt(0)
	global_load_ushort v1, v2, s[26:27]
	v_add_u32_e32 v24, 0x80, v24
	s_waitcnt vmcnt(0)
	v_lshlrev_b32_e32 v2, 16, v1
	v_cmp_nle_f32_e32 vcc, v4, v2
	v_cmp_nge_f32_e64 s[0:1], s57, v2
	s_or_b64 vcc, s[0:1], vcc
	v_cndmask_b32_e32 v1, 0, v1, vcc
	global_store_short v0, v1, s[24:25]
	s_or_b64 exec, exec, s[48:49]
	v_cmp_gt_i32_e32 vcc, s58, v24
	s_and_saveexec_b64 s[48:49], vcc
	s_cbranch_execnz .LBB29_141
.LBB29_157:
	s_or_b64 exec, exec, s[48:49]
	v_cmp_gt_i32_e32 vcc, s58, v24
	s_and_saveexec_b64 s[48:49], vcc
	s_cbranch_execz .LBB29_174
.LBB29_158:
	s_andn2_b64 vcc, exec, s[6:7]
	s_cbranch_vccnz .LBB29_164
; %bb.159:
	s_mov_b32 s50, 0
	s_andn2_b64 vcc, exec, s[46:47]
	v_mov_b32_e32 v2, 0
	v_mov_b32_e32 v0, 0
	s_cbranch_vccnz .LBB29_187
; %bb.160:
	s_add_i32 s60, s59, 1
	s_cmp_eq_u32 s56, 2
	s_cbranch_scc1 .LBB29_182
; %bb.161:
	s_and_b32 s50, s60, 28
	s_mov_b32 s51, 0
	v_mov_b32_e32 v0, 0
	s_mov_b64 s[52:53], s[4:5]
	s_mov_b64 s[54:55], s[44:45]
	v_mov_b32_e32 v3, v24
	v_mov_b32_e32 v2, 0
.LBB29_162:                             ; =>This Inner Loop Header: Depth=1
	s_load_dwordx8 s[16:23], s[52:53], 0x4
	s_load_dwordx4 s[0:3], s[52:53], 0x24
	s_load_dwordx8 s[8:15], s[54:55], 0x0
	s_add_u32 s52, s52, 48
	s_addc_u32 s53, s53, 0
	s_waitcnt lgkmcnt(0)
	v_mul_hi_u32 v1, s17, v3
	v_add_u32_e32 v1, v3, v1
	v_lshrrev_b32_e32 v1, s18, v1
	v_mul_lo_u32 v5, v1, s16
	v_mul_hi_u32 v6, s20, v1
	v_sub_u32_e32 v3, v3, v5
	v_add_u32_e32 v5, v1, v6
	v_lshrrev_b32_e32 v5, s21, v5
	v_mul_lo_u32 v7, v5, s19
	v_mul_hi_u32 v8, s23, v5
	v_sub_u32_e32 v1, v1, v7
	v_add_u32_e32 v7, v5, v8
	v_mul_lo_u32 v6, v3, s9
	v_mul_lo_u32 v3, v3, s8
	v_mul_lo_u32 v8, v1, s11
	v_mul_lo_u32 v1, v1, s10
	v_lshrrev_b32_e32 v7, s0, v7
	v_add3_u32 v0, v3, v0, v1
	v_mul_hi_u32 v3, s2, v7
	v_add_u32_e32 v3, v7, v3
	v_lshrrev_b32_e32 v3, s3, v3
	s_add_i32 s51, s51, 4
	v_add3_u32 v1, v6, v2, v8
	v_mul_lo_u32 v2, v7, s22
	v_mul_lo_u32 v6, v3, s1
	s_add_u32 s54, s54, 32
	v_sub_u32_e32 v2, v5, v2
	v_sub_u32_e32 v6, v7, v6
	s_addc_u32 s55, s55, 0
	v_mul_lo_u32 v5, v2, s12
	v_mul_lo_u32 v2, v2, s13
	;; [unrolled: 1-line block ×4, first 2 shown]
	s_cmp_eq_u32 s50, s51
	v_add3_u32 v2, v2, v1, v6
	v_add3_u32 v0, v5, v0, v7
	s_cbranch_scc0 .LBB29_162
; %bb.163:
	v_mov_b32_e32 v1, v2
	s_branch .LBB29_183
.LBB29_164:
                                        ; implicit-def: $vgpr2
                                        ; implicit-def: $vgpr0
	s_branch .LBB29_188
.LBB29_165:
	s_mov_b32 s51, s50
	v_pk_mov_b32 v[0:1], s[50:51], s[50:51] op_sel:[0,1]
                                        ; implicit-def: $vgpr2
	v_mov_b32_e32 v3, v24
.LBB29_166:
	s_and_b32 s8, s60, 3
	s_cmp_eq_u32 s8, 0
	s_cbranch_scc1 .LBB29_170
; %bb.167:
	s_lshl_b32 s0, s50, 3
	s_add_u32 s0, s0, s4
	s_addc_u32 s1, s5, 0
	s_add_u32 s0, s0, 0xc4
	s_addc_u32 s1, s1, 0
	s_mul_i32 s2, s50, 12
	s_add_u32 s2, s4, s2
	s_addc_u32 s3, s5, 0
.LBB29_168:                             ; =>This Inner Loop Header: Depth=1
	s_load_dwordx2 s[10:11], s[2:3], 0x4
	s_load_dword s9, s[2:3], 0xc
	s_load_dwordx2 s[12:13], s[0:1], 0x0
	v_mov_b32_e32 v2, v1
	s_add_u32 s2, s2, 12
	s_waitcnt lgkmcnt(0)
	v_mul_hi_u32 v1, s11, v3
	v_add_u32_e32 v1, v3, v1
	v_lshrrev_b32_e32 v1, s9, v1
	s_addc_u32 s3, s3, 0
	v_mul_lo_u32 v5, v1, s10
	s_add_u32 s0, s0, 8
	v_sub_u32_e32 v5, v3, v5
	v_mov_b32_e32 v3, v1
	s_addc_u32 s1, s1, 0
	s_add_i32 s8, s8, -1
	v_mad_u64_u32 v[6:7], s[10:11], v5, s13, v[2:3]
	v_mad_u64_u32 v[0:1], s[10:11], v5, s12, v[0:1]
	s_cmp_lg_u32 s8, 0
	v_mov_b32_e32 v1, v6
	s_cbranch_scc1 .LBB29_168
; %bb.169:
	v_mov_b32_e32 v2, v1
.LBB29_170:
	s_cbranch_execnz .LBB29_173
.LBB29_171:
	v_mul_hi_u32 v0, s29, v24
	v_add_u32_e32 v0, v24, v0
	v_lshrrev_b32_e32 v1, s30, v0
	v_mul_lo_u32 v0, v1, s28
	v_sub_u32_e32 v0, v24, v0
	s_waitcnt lgkmcnt(0)
	v_mul_lo_u32 v2, v0, s37
	s_andn2_b64 vcc, exec, s[42:43]
	v_mul_lo_u32 v0, v0, s36
	s_cbranch_vccnz .LBB29_173
; %bb.172:
	v_mul_hi_u32 v3, s40, v1
	v_add_u32_e32 v3, v1, v3
	v_lshrrev_b32_e32 v3, s41, v3
	v_mul_lo_u32 v3, v3, s31
	v_sub_u32_e32 v3, v1, v3
	v_mad_u64_u32 v[0:1], s[0:1], v3, s38, v[0:1]
	v_mad_u64_u32 v[2:3], s[0:1], v3, s39, v[2:3]
.LBB29_173:
	s_waitcnt lgkmcnt(0)
	global_load_ushort v1, v2, s[26:27]
	v_add_u32_e32 v24, 0x80, v24
	s_waitcnt vmcnt(0)
	v_lshlrev_b32_e32 v2, 16, v1
	v_cmp_nle_f32_e32 vcc, v4, v2
	v_cmp_nge_f32_e64 s[0:1], s57, v2
	s_or_b64 vcc, s[0:1], vcc
	v_cndmask_b32_e32 v1, 0, v1, vcc
	global_store_short v0, v1, s[24:25]
	s_or_b64 exec, exec, s[48:49]
	v_cmp_gt_i32_e32 vcc, s58, v24
	s_and_saveexec_b64 s[48:49], vcc
	s_cbranch_execnz .LBB29_158
.LBB29_174:
	s_or_b64 exec, exec, s[48:49]
	v_cmp_gt_i32_e32 vcc, s58, v24
	s_and_saveexec_b64 s[48:49], vcc
	s_cbranch_execz .LBB29_191
.LBB29_175:
	s_andn2_b64 vcc, exec, s[6:7]
	s_cbranch_vccnz .LBB29_181
; %bb.176:
	s_mov_b32 s50, 0
	s_andn2_b64 vcc, exec, s[46:47]
	v_mov_b32_e32 v2, 0
	v_mov_b32_e32 v0, 0
	s_cbranch_vccnz .LBB29_204
; %bb.177:
	s_add_i32 s60, s59, 1
	s_cmp_eq_u32 s56, 2
	s_cbranch_scc1 .LBB29_199
; %bb.178:
	s_and_b32 s50, s60, 28
	s_mov_b32 s51, 0
	v_mov_b32_e32 v0, 0
	s_mov_b64 s[52:53], s[4:5]
	s_mov_b64 s[54:55], s[44:45]
	v_mov_b32_e32 v3, v24
	v_mov_b32_e32 v2, 0
.LBB29_179:                             ; =>This Inner Loop Header: Depth=1
	s_load_dwordx8 s[16:23], s[52:53], 0x4
	s_load_dwordx4 s[0:3], s[52:53], 0x24
	s_load_dwordx8 s[8:15], s[54:55], 0x0
	s_add_u32 s52, s52, 48
	s_addc_u32 s53, s53, 0
	s_waitcnt lgkmcnt(0)
	v_mul_hi_u32 v1, s17, v3
	v_add_u32_e32 v1, v3, v1
	v_lshrrev_b32_e32 v1, s18, v1
	v_mul_lo_u32 v5, v1, s16
	v_mul_hi_u32 v6, s20, v1
	v_sub_u32_e32 v3, v3, v5
	v_add_u32_e32 v5, v1, v6
	v_lshrrev_b32_e32 v5, s21, v5
	v_mul_lo_u32 v7, v5, s19
	v_mul_hi_u32 v8, s23, v5
	v_sub_u32_e32 v1, v1, v7
	v_add_u32_e32 v7, v5, v8
	v_mul_lo_u32 v6, v3, s9
	v_mul_lo_u32 v3, v3, s8
	;; [unrolled: 1-line block ×4, first 2 shown]
	v_lshrrev_b32_e32 v7, s0, v7
	v_add3_u32 v0, v3, v0, v1
	v_mul_hi_u32 v3, s2, v7
	v_add_u32_e32 v3, v7, v3
	v_lshrrev_b32_e32 v3, s3, v3
	s_add_i32 s51, s51, 4
	v_add3_u32 v1, v6, v2, v8
	v_mul_lo_u32 v2, v7, s22
	v_mul_lo_u32 v6, v3, s1
	s_add_u32 s54, s54, 32
	v_sub_u32_e32 v2, v5, v2
	v_sub_u32_e32 v6, v7, v6
	s_addc_u32 s55, s55, 0
	v_mul_lo_u32 v5, v2, s12
	v_mul_lo_u32 v2, v2, s13
	v_mul_lo_u32 v7, v6, s14
	v_mul_lo_u32 v6, v6, s15
	s_cmp_eq_u32 s50, s51
	v_add3_u32 v2, v2, v1, v6
	v_add3_u32 v0, v5, v0, v7
	s_cbranch_scc0 .LBB29_179
; %bb.180:
	v_mov_b32_e32 v1, v2
	s_branch .LBB29_200
.LBB29_181:
                                        ; implicit-def: $vgpr2
                                        ; implicit-def: $vgpr0
	s_branch .LBB29_205
.LBB29_182:
	s_mov_b32 s51, s50
	v_pk_mov_b32 v[0:1], s[50:51], s[50:51] op_sel:[0,1]
                                        ; implicit-def: $vgpr2
	v_mov_b32_e32 v3, v24
.LBB29_183:
	s_and_b32 s8, s60, 3
	s_cmp_eq_u32 s8, 0
	s_cbranch_scc1 .LBB29_187
; %bb.184:
	s_lshl_b32 s0, s50, 3
	s_add_u32 s0, s0, s4
	s_addc_u32 s1, s5, 0
	s_add_u32 s0, s0, 0xc4
	s_addc_u32 s1, s1, 0
	s_mul_i32 s2, s50, 12
	s_add_u32 s2, s4, s2
	s_addc_u32 s3, s5, 0
.LBB29_185:                             ; =>This Inner Loop Header: Depth=1
	s_load_dwordx2 s[10:11], s[2:3], 0x4
	s_load_dword s9, s[2:3], 0xc
	s_load_dwordx2 s[12:13], s[0:1], 0x0
	v_mov_b32_e32 v2, v1
	s_add_u32 s2, s2, 12
	s_waitcnt lgkmcnt(0)
	v_mul_hi_u32 v1, s11, v3
	v_add_u32_e32 v1, v3, v1
	v_lshrrev_b32_e32 v1, s9, v1
	s_addc_u32 s3, s3, 0
	v_mul_lo_u32 v5, v1, s10
	s_add_u32 s0, s0, 8
	v_sub_u32_e32 v5, v3, v5
	v_mov_b32_e32 v3, v1
	s_addc_u32 s1, s1, 0
	s_add_i32 s8, s8, -1
	v_mad_u64_u32 v[6:7], s[10:11], v5, s13, v[2:3]
	v_mad_u64_u32 v[0:1], s[10:11], v5, s12, v[0:1]
	s_cmp_lg_u32 s8, 0
	v_mov_b32_e32 v1, v6
	s_cbranch_scc1 .LBB29_185
; %bb.186:
	v_mov_b32_e32 v2, v1
.LBB29_187:
	s_cbranch_execnz .LBB29_190
.LBB29_188:
	v_mul_hi_u32 v0, s29, v24
	v_add_u32_e32 v0, v24, v0
	v_lshrrev_b32_e32 v1, s30, v0
	v_mul_lo_u32 v0, v1, s28
	v_sub_u32_e32 v0, v24, v0
	s_waitcnt lgkmcnt(0)
	v_mul_lo_u32 v2, v0, s37
	s_andn2_b64 vcc, exec, s[42:43]
	v_mul_lo_u32 v0, v0, s36
	s_cbranch_vccnz .LBB29_190
; %bb.189:
	v_mul_hi_u32 v3, s40, v1
	v_add_u32_e32 v3, v1, v3
	v_lshrrev_b32_e32 v3, s41, v3
	v_mul_lo_u32 v3, v3, s31
	v_sub_u32_e32 v3, v1, v3
	v_mad_u64_u32 v[0:1], s[0:1], v3, s38, v[0:1]
	v_mad_u64_u32 v[2:3], s[0:1], v3, s39, v[2:3]
.LBB29_190:
	s_waitcnt lgkmcnt(0)
	global_load_ushort v1, v2, s[26:27]
	v_add_u32_e32 v24, 0x80, v24
	s_waitcnt vmcnt(0)
	v_lshlrev_b32_e32 v2, 16, v1
	v_cmp_nle_f32_e32 vcc, v4, v2
	v_cmp_nge_f32_e64 s[0:1], s57, v2
	s_or_b64 vcc, s[0:1], vcc
	v_cndmask_b32_e32 v1, 0, v1, vcc
	global_store_short v0, v1, s[24:25]
	s_or_b64 exec, exec, s[48:49]
	v_cmp_gt_i32_e32 vcc, s58, v24
	s_and_saveexec_b64 s[48:49], vcc
	s_cbranch_execnz .LBB29_175
.LBB29_191:
	s_or_b64 exec, exec, s[48:49]
	v_cmp_gt_i32_e32 vcc, s58, v24
	s_and_saveexec_b64 s[48:49], vcc
	s_cbranch_execz .LBB29_208
.LBB29_192:
	s_andn2_b64 vcc, exec, s[6:7]
	s_cbranch_vccnz .LBB29_198
; %bb.193:
	s_mov_b32 s50, 0
	s_andn2_b64 vcc, exec, s[46:47]
	v_mov_b32_e32 v2, 0
	v_mov_b32_e32 v0, 0
	s_cbranch_vccnz .LBB29_221
; %bb.194:
	s_add_i32 s60, s59, 1
	s_cmp_eq_u32 s56, 2
	s_cbranch_scc1 .LBB29_216
; %bb.195:
	s_and_b32 s50, s60, 28
	s_mov_b32 s51, 0
	v_mov_b32_e32 v0, 0
	s_mov_b64 s[52:53], s[4:5]
	s_mov_b64 s[54:55], s[44:45]
	v_mov_b32_e32 v3, v24
	v_mov_b32_e32 v2, 0
.LBB29_196:                             ; =>This Inner Loop Header: Depth=1
	s_load_dwordx8 s[16:23], s[52:53], 0x4
	s_load_dwordx4 s[0:3], s[52:53], 0x24
	s_load_dwordx8 s[8:15], s[54:55], 0x0
	s_add_u32 s52, s52, 48
	s_addc_u32 s53, s53, 0
	s_waitcnt lgkmcnt(0)
	v_mul_hi_u32 v1, s17, v3
	v_add_u32_e32 v1, v3, v1
	v_lshrrev_b32_e32 v1, s18, v1
	v_mul_lo_u32 v5, v1, s16
	v_mul_hi_u32 v6, s20, v1
	v_sub_u32_e32 v3, v3, v5
	v_add_u32_e32 v5, v1, v6
	v_lshrrev_b32_e32 v5, s21, v5
	v_mul_lo_u32 v7, v5, s19
	v_mul_hi_u32 v8, s23, v5
	v_sub_u32_e32 v1, v1, v7
	v_add_u32_e32 v7, v5, v8
	v_mul_lo_u32 v6, v3, s9
	v_mul_lo_u32 v3, v3, s8
	;; [unrolled: 1-line block ×4, first 2 shown]
	v_lshrrev_b32_e32 v7, s0, v7
	v_add3_u32 v0, v3, v0, v1
	v_mul_hi_u32 v3, s2, v7
	v_add_u32_e32 v3, v7, v3
	v_lshrrev_b32_e32 v3, s3, v3
	s_add_i32 s51, s51, 4
	v_add3_u32 v1, v6, v2, v8
	v_mul_lo_u32 v2, v7, s22
	v_mul_lo_u32 v6, v3, s1
	s_add_u32 s54, s54, 32
	v_sub_u32_e32 v2, v5, v2
	v_sub_u32_e32 v6, v7, v6
	s_addc_u32 s55, s55, 0
	v_mul_lo_u32 v5, v2, s12
	v_mul_lo_u32 v2, v2, s13
	;; [unrolled: 1-line block ×4, first 2 shown]
	s_cmp_eq_u32 s50, s51
	v_add3_u32 v2, v2, v1, v6
	v_add3_u32 v0, v5, v0, v7
	s_cbranch_scc0 .LBB29_196
; %bb.197:
	v_mov_b32_e32 v1, v2
	s_branch .LBB29_217
.LBB29_198:
                                        ; implicit-def: $vgpr2
                                        ; implicit-def: $vgpr0
	s_branch .LBB29_222
.LBB29_199:
	s_mov_b32 s51, s50
	v_pk_mov_b32 v[0:1], s[50:51], s[50:51] op_sel:[0,1]
                                        ; implicit-def: $vgpr2
	v_mov_b32_e32 v3, v24
.LBB29_200:
	s_and_b32 s8, s60, 3
	s_cmp_eq_u32 s8, 0
	s_cbranch_scc1 .LBB29_204
; %bb.201:
	s_lshl_b32 s0, s50, 3
	s_add_u32 s0, s0, s4
	s_addc_u32 s1, s5, 0
	s_add_u32 s0, s0, 0xc4
	s_addc_u32 s1, s1, 0
	s_mul_i32 s2, s50, 12
	s_add_u32 s2, s4, s2
	s_addc_u32 s3, s5, 0
.LBB29_202:                             ; =>This Inner Loop Header: Depth=1
	s_load_dwordx2 s[10:11], s[2:3], 0x4
	s_load_dword s9, s[2:3], 0xc
	s_load_dwordx2 s[12:13], s[0:1], 0x0
	v_mov_b32_e32 v2, v1
	s_add_u32 s2, s2, 12
	s_waitcnt lgkmcnt(0)
	v_mul_hi_u32 v1, s11, v3
	v_add_u32_e32 v1, v3, v1
	v_lshrrev_b32_e32 v1, s9, v1
	s_addc_u32 s3, s3, 0
	v_mul_lo_u32 v5, v1, s10
	s_add_u32 s0, s0, 8
	v_sub_u32_e32 v5, v3, v5
	v_mov_b32_e32 v3, v1
	s_addc_u32 s1, s1, 0
	s_add_i32 s8, s8, -1
	v_mad_u64_u32 v[6:7], s[10:11], v5, s13, v[2:3]
	v_mad_u64_u32 v[0:1], s[10:11], v5, s12, v[0:1]
	s_cmp_lg_u32 s8, 0
	v_mov_b32_e32 v1, v6
	s_cbranch_scc1 .LBB29_202
; %bb.203:
	v_mov_b32_e32 v2, v1
.LBB29_204:
	s_cbranch_execnz .LBB29_207
.LBB29_205:
	v_mul_hi_u32 v0, s29, v24
	v_add_u32_e32 v0, v24, v0
	v_lshrrev_b32_e32 v1, s30, v0
	v_mul_lo_u32 v0, v1, s28
	v_sub_u32_e32 v0, v24, v0
	s_waitcnt lgkmcnt(0)
	v_mul_lo_u32 v2, v0, s37
	s_andn2_b64 vcc, exec, s[42:43]
	v_mul_lo_u32 v0, v0, s36
	s_cbranch_vccnz .LBB29_207
; %bb.206:
	v_mul_hi_u32 v3, s40, v1
	v_add_u32_e32 v3, v1, v3
	v_lshrrev_b32_e32 v3, s41, v3
	v_mul_lo_u32 v3, v3, s31
	v_sub_u32_e32 v3, v1, v3
	v_mad_u64_u32 v[0:1], s[0:1], v3, s38, v[0:1]
	v_mad_u64_u32 v[2:3], s[0:1], v3, s39, v[2:3]
.LBB29_207:
	s_waitcnt lgkmcnt(0)
	global_load_ushort v1, v2, s[26:27]
	v_add_u32_e32 v24, 0x80, v24
	s_waitcnt vmcnt(0)
	v_lshlrev_b32_e32 v2, 16, v1
	v_cmp_nle_f32_e32 vcc, v4, v2
	v_cmp_nge_f32_e64 s[0:1], s57, v2
	s_or_b64 vcc, s[0:1], vcc
	v_cndmask_b32_e32 v1, 0, v1, vcc
	global_store_short v0, v1, s[24:25]
	s_or_b64 exec, exec, s[48:49]
	v_cmp_gt_i32_e32 vcc, s58, v24
	s_and_saveexec_b64 s[48:49], vcc
	s_cbranch_execnz .LBB29_192
.LBB29_208:
	s_or_b64 exec, exec, s[48:49]
	v_cmp_gt_i32_e32 vcc, s58, v24
	s_and_saveexec_b64 s[48:49], vcc
	s_cbranch_execz .LBB29_225
.LBB29_209:
	s_andn2_b64 vcc, exec, s[6:7]
	s_cbranch_vccnz .LBB29_215
; %bb.210:
	s_mov_b32 s50, 0
	s_andn2_b64 vcc, exec, s[46:47]
	v_mov_b32_e32 v2, 0
	v_mov_b32_e32 v0, 0
	s_cbranch_vccnz .LBB29_233
; %bb.211:
	s_add_i32 s60, s59, 1
	s_cmp_eq_u32 s56, 2
	s_cbranch_scc1 .LBB29_228
; %bb.212:
	s_and_b32 s50, s60, 28
	s_mov_b32 s51, 0
	v_mov_b32_e32 v0, 0
	s_mov_b64 s[52:53], s[4:5]
	s_mov_b64 s[54:55], s[44:45]
	v_mov_b32_e32 v3, v24
	v_mov_b32_e32 v2, 0
.LBB29_213:                             ; =>This Inner Loop Header: Depth=1
	s_load_dwordx8 s[16:23], s[52:53], 0x4
	s_load_dwordx4 s[0:3], s[52:53], 0x24
	s_load_dwordx8 s[8:15], s[54:55], 0x0
	s_add_u32 s52, s52, 48
	s_addc_u32 s53, s53, 0
	s_waitcnt lgkmcnt(0)
	v_mul_hi_u32 v1, s17, v3
	v_add_u32_e32 v1, v3, v1
	v_lshrrev_b32_e32 v1, s18, v1
	v_mul_lo_u32 v5, v1, s16
	v_mul_hi_u32 v6, s20, v1
	v_sub_u32_e32 v3, v3, v5
	v_add_u32_e32 v5, v1, v6
	v_lshrrev_b32_e32 v5, s21, v5
	v_mul_lo_u32 v7, v5, s19
	v_mul_hi_u32 v8, s23, v5
	v_sub_u32_e32 v1, v1, v7
	v_add_u32_e32 v7, v5, v8
	v_mul_lo_u32 v6, v3, s9
	v_mul_lo_u32 v3, v3, s8
	;; [unrolled: 1-line block ×4, first 2 shown]
	v_lshrrev_b32_e32 v7, s0, v7
	v_add3_u32 v0, v3, v0, v1
	v_mul_hi_u32 v3, s2, v7
	v_add_u32_e32 v3, v7, v3
	v_lshrrev_b32_e32 v3, s3, v3
	s_add_i32 s51, s51, 4
	v_add3_u32 v1, v6, v2, v8
	v_mul_lo_u32 v2, v7, s22
	v_mul_lo_u32 v6, v3, s1
	s_add_u32 s54, s54, 32
	v_sub_u32_e32 v2, v5, v2
	v_sub_u32_e32 v6, v7, v6
	s_addc_u32 s55, s55, 0
	v_mul_lo_u32 v5, v2, s12
	v_mul_lo_u32 v2, v2, s13
	;; [unrolled: 1-line block ×4, first 2 shown]
	s_cmp_eq_u32 s50, s51
	v_add3_u32 v2, v2, v1, v6
	v_add3_u32 v0, v5, v0, v7
	s_cbranch_scc0 .LBB29_213
; %bb.214:
	v_mov_b32_e32 v1, v2
	s_branch .LBB29_229
.LBB29_215:
                                        ; implicit-def: $vgpr2
                                        ; implicit-def: $vgpr0
	s_branch .LBB29_234
.LBB29_216:
	s_mov_b32 s51, s50
	v_pk_mov_b32 v[0:1], s[50:51], s[50:51] op_sel:[0,1]
                                        ; implicit-def: $vgpr2
	v_mov_b32_e32 v3, v24
.LBB29_217:
	s_and_b32 s8, s60, 3
	s_cmp_eq_u32 s8, 0
	s_cbranch_scc1 .LBB29_221
; %bb.218:
	s_lshl_b32 s0, s50, 3
	s_add_u32 s0, s0, s4
	s_addc_u32 s1, s5, 0
	s_add_u32 s0, s0, 0xc4
	s_addc_u32 s1, s1, 0
	s_mul_i32 s2, s50, 12
	s_add_u32 s2, s4, s2
	s_addc_u32 s3, s5, 0
.LBB29_219:                             ; =>This Inner Loop Header: Depth=1
	s_load_dwordx2 s[10:11], s[2:3], 0x4
	s_load_dword s9, s[2:3], 0xc
	s_load_dwordx2 s[12:13], s[0:1], 0x0
	v_mov_b32_e32 v2, v1
	s_add_u32 s2, s2, 12
	s_waitcnt lgkmcnt(0)
	v_mul_hi_u32 v1, s11, v3
	v_add_u32_e32 v1, v3, v1
	v_lshrrev_b32_e32 v1, s9, v1
	s_addc_u32 s3, s3, 0
	v_mul_lo_u32 v5, v1, s10
	s_add_u32 s0, s0, 8
	v_sub_u32_e32 v5, v3, v5
	v_mov_b32_e32 v3, v1
	s_addc_u32 s1, s1, 0
	s_add_i32 s8, s8, -1
	v_mad_u64_u32 v[6:7], s[10:11], v5, s13, v[2:3]
	v_mad_u64_u32 v[0:1], s[10:11], v5, s12, v[0:1]
	s_cmp_lg_u32 s8, 0
	v_mov_b32_e32 v1, v6
	s_cbranch_scc1 .LBB29_219
; %bb.220:
	v_mov_b32_e32 v2, v1
.LBB29_221:
	s_cbranch_execnz .LBB29_224
.LBB29_222:
	v_mul_hi_u32 v0, s29, v24
	v_add_u32_e32 v0, v24, v0
	v_lshrrev_b32_e32 v1, s30, v0
	v_mul_lo_u32 v0, v1, s28
	v_sub_u32_e32 v0, v24, v0
	s_waitcnt lgkmcnt(0)
	v_mul_lo_u32 v2, v0, s37
	s_andn2_b64 vcc, exec, s[42:43]
	v_mul_lo_u32 v0, v0, s36
	s_cbranch_vccnz .LBB29_224
; %bb.223:
	v_mul_hi_u32 v3, s40, v1
	v_add_u32_e32 v3, v1, v3
	v_lshrrev_b32_e32 v3, s41, v3
	v_mul_lo_u32 v3, v3, s31
	v_sub_u32_e32 v3, v1, v3
	v_mad_u64_u32 v[0:1], s[0:1], v3, s38, v[0:1]
	v_mad_u64_u32 v[2:3], s[0:1], v3, s39, v[2:3]
.LBB29_224:
	s_waitcnt lgkmcnt(0)
	global_load_ushort v1, v2, s[26:27]
	v_add_u32_e32 v24, 0x80, v24
	s_waitcnt vmcnt(0)
	v_lshlrev_b32_e32 v2, 16, v1
	v_cmp_nle_f32_e32 vcc, v4, v2
	v_cmp_nge_f32_e64 s[0:1], s57, v2
	s_or_b64 vcc, s[0:1], vcc
	v_cndmask_b32_e32 v1, 0, v1, vcc
	global_store_short v0, v1, s[24:25]
	s_or_b64 exec, exec, s[48:49]
	v_cmp_gt_i32_e32 vcc, s58, v24
	s_and_saveexec_b64 s[48:49], vcc
	s_cbranch_execnz .LBB29_209
.LBB29_225:
	s_or_b64 exec, exec, s[48:49]
	v_cmp_gt_i32_e32 vcc, s58, v24
	s_and_saveexec_b64 s[48:49], vcc
	s_cbranch_execnz .LBB29_237
.LBB29_226:
	s_or_b64 exec, exec, s[48:49]
                                        ; implicit-def: $vgpr31
                                        ; implicit-def: $vgpr24
	s_andn2_saveexec_b64 s[0:1], s[34:35]
	s_cbranch_execnz .LBB29_9
.LBB29_227:
	s_endpgm
.LBB29_228:
	s_mov_b32 s51, s50
	v_pk_mov_b32 v[0:1], s[50:51], s[50:51] op_sel:[0,1]
                                        ; implicit-def: $vgpr2
	v_mov_b32_e32 v3, v24
.LBB29_229:
	s_and_b32 s8, s60, 3
	s_cmp_eq_u32 s8, 0
	s_cbranch_scc1 .LBB29_233
; %bb.230:
	s_lshl_b32 s0, s50, 3
	s_add_u32 s0, s0, s4
	s_addc_u32 s1, s5, 0
	s_add_u32 s0, s0, 0xc4
	s_addc_u32 s1, s1, 0
	s_mul_i32 s2, s50, 12
	s_add_u32 s2, s4, s2
	s_addc_u32 s3, s5, 0
.LBB29_231:                             ; =>This Inner Loop Header: Depth=1
	s_load_dwordx2 s[10:11], s[2:3], 0x4
	s_load_dword s9, s[2:3], 0xc
	s_load_dwordx2 s[12:13], s[0:1], 0x0
	v_mov_b32_e32 v2, v1
	s_add_u32 s2, s2, 12
	s_waitcnt lgkmcnt(0)
	v_mul_hi_u32 v1, s11, v3
	v_add_u32_e32 v1, v3, v1
	v_lshrrev_b32_e32 v1, s9, v1
	s_addc_u32 s3, s3, 0
	v_mul_lo_u32 v5, v1, s10
	s_add_u32 s0, s0, 8
	v_sub_u32_e32 v5, v3, v5
	v_mov_b32_e32 v3, v1
	s_addc_u32 s1, s1, 0
	s_add_i32 s8, s8, -1
	v_mad_u64_u32 v[6:7], s[10:11], v5, s13, v[2:3]
	v_mad_u64_u32 v[0:1], s[10:11], v5, s12, v[0:1]
	s_cmp_lg_u32 s8, 0
	v_mov_b32_e32 v1, v6
	s_cbranch_scc1 .LBB29_231
; %bb.232:
	v_mov_b32_e32 v2, v1
.LBB29_233:
	s_cbranch_execnz .LBB29_236
.LBB29_234:
	v_mul_hi_u32 v0, s29, v24
	v_add_u32_e32 v0, v24, v0
	v_lshrrev_b32_e32 v1, s30, v0
	v_mul_lo_u32 v0, v1, s28
	v_sub_u32_e32 v0, v24, v0
	s_waitcnt lgkmcnt(0)
	v_mul_lo_u32 v2, v0, s37
	s_andn2_b64 vcc, exec, s[42:43]
	v_mul_lo_u32 v0, v0, s36
	s_cbranch_vccnz .LBB29_236
; %bb.235:
	v_mul_hi_u32 v3, s40, v1
	v_add_u32_e32 v3, v1, v3
	v_lshrrev_b32_e32 v3, s41, v3
	v_mul_lo_u32 v3, v3, s31
	v_sub_u32_e32 v3, v1, v3
	v_mad_u64_u32 v[0:1], s[0:1], v3, s38, v[0:1]
	v_mad_u64_u32 v[2:3], s[0:1], v3, s39, v[2:3]
.LBB29_236:
	s_waitcnt lgkmcnt(0)
	global_load_ushort v1, v2, s[26:27]
	v_add_u32_e32 v24, 0x80, v24
	s_waitcnt vmcnt(0)
	v_lshlrev_b32_e32 v2, 16, v1
	v_cmp_nle_f32_e32 vcc, v4, v2
	v_cmp_nge_f32_e64 s[0:1], s57, v2
	s_or_b64 vcc, s[0:1], vcc
	v_cndmask_b32_e32 v1, 0, v1, vcc
	global_store_short v0, v1, s[24:25]
	s_or_b64 exec, exec, s[48:49]
	v_cmp_gt_i32_e32 vcc, s58, v24
	s_and_saveexec_b64 s[48:49], vcc
	s_cbranch_execz .LBB29_226
.LBB29_237:
	s_andn2_b64 vcc, exec, s[6:7]
	s_cbranch_vccnz .LBB29_243
; %bb.238:
	s_mov_b32 s50, 0
	s_andn2_b64 vcc, exec, s[46:47]
	v_mov_b32_e32 v2, 0
	v_mov_b32_e32 v0, 0
	s_cbranch_vccnz .LBB29_249
; %bb.239:
	s_add_i32 s59, s59, 1
	s_cmp_eq_u32 s56, 2
	s_cbranch_scc1 .LBB29_244
; %bb.240:
	s_and_b32 s50, s59, 28
	s_mov_b32 s51, 0
	v_mov_b32_e32 v0, 0
	s_mov_b64 s[46:47], s[4:5]
	v_mov_b32_e32 v3, v24
	v_mov_b32_e32 v2, 0
.LBB29_241:                             ; =>This Inner Loop Header: Depth=1
	s_load_dwordx8 s[16:23], s[46:47], 0x4
	s_load_dwordx4 s[0:3], s[46:47], 0x24
	s_load_dwordx8 s[8:15], s[44:45], 0x0
	s_add_u32 s46, s46, 48
	s_addc_u32 s47, s47, 0
	s_waitcnt lgkmcnt(0)
	v_mul_hi_u32 v1, s17, v3
	v_add_u32_e32 v1, v3, v1
	v_lshrrev_b32_e32 v1, s18, v1
	v_mul_lo_u32 v5, v1, s16
	v_mul_hi_u32 v6, s20, v1
	v_sub_u32_e32 v3, v3, v5
	v_add_u32_e32 v5, v1, v6
	v_lshrrev_b32_e32 v5, s21, v5
	v_mul_lo_u32 v7, v5, s19
	v_mul_hi_u32 v8, s23, v5
	v_sub_u32_e32 v1, v1, v7
	v_add_u32_e32 v7, v5, v8
	v_mul_lo_u32 v6, v3, s9
	v_mul_lo_u32 v3, v3, s8
	;; [unrolled: 1-line block ×4, first 2 shown]
	v_lshrrev_b32_e32 v7, s0, v7
	v_add3_u32 v0, v3, v0, v1
	v_mul_hi_u32 v3, s2, v7
	v_add_u32_e32 v3, v7, v3
	v_lshrrev_b32_e32 v3, s3, v3
	s_add_i32 s51, s51, 4
	v_add3_u32 v1, v6, v2, v8
	v_mul_lo_u32 v2, v7, s22
	v_mul_lo_u32 v6, v3, s1
	s_add_u32 s44, s44, 32
	v_sub_u32_e32 v2, v5, v2
	v_sub_u32_e32 v6, v7, v6
	s_addc_u32 s45, s45, 0
	v_mul_lo_u32 v5, v2, s12
	v_mul_lo_u32 v2, v2, s13
	;; [unrolled: 1-line block ×4, first 2 shown]
	s_cmp_eq_u32 s50, s51
	v_add3_u32 v2, v2, v1, v6
	v_add3_u32 v0, v5, v0, v7
	s_cbranch_scc0 .LBB29_241
; %bb.242:
	v_mov_b32_e32 v1, v2
	s_branch .LBB29_245
.LBB29_243:
                                        ; implicit-def: $vgpr2
                                        ; implicit-def: $vgpr0
	s_branch .LBB29_250
.LBB29_244:
	s_mov_b32 s51, s50
	v_pk_mov_b32 v[0:1], s[50:51], s[50:51] op_sel:[0,1]
                                        ; implicit-def: $vgpr2
	v_mov_b32_e32 v3, v24
.LBB29_245:
	s_and_b32 s8, s59, 3
	s_cmp_eq_u32 s8, 0
	s_cbranch_scc1 .LBB29_249
; %bb.246:
	s_lshl_b32 s0, s50, 3
	s_add_u32 s0, s0, s4
	s_addc_u32 s1, s5, 0
	s_add_u32 s0, s0, 0xc4
	s_addc_u32 s1, s1, 0
	s_mul_i32 s2, s50, 12
	s_add_u32 s2, s4, s2
	s_addc_u32 s3, s5, 0
.LBB29_247:                             ; =>This Inner Loop Header: Depth=1
	s_load_dwordx2 s[10:11], s[2:3], 0x4
	s_load_dword s9, s[2:3], 0xc
	s_load_dwordx2 s[12:13], s[0:1], 0x0
	v_mov_b32_e32 v2, v1
	s_add_u32 s2, s2, 12
	s_waitcnt lgkmcnt(0)
	v_mul_hi_u32 v1, s11, v3
	v_add_u32_e32 v1, v3, v1
	v_lshrrev_b32_e32 v1, s9, v1
	s_addc_u32 s3, s3, 0
	v_mul_lo_u32 v5, v1, s10
	s_add_u32 s0, s0, 8
	v_sub_u32_e32 v5, v3, v5
	v_mov_b32_e32 v3, v1
	s_addc_u32 s1, s1, 0
	s_add_i32 s8, s8, -1
	v_mad_u64_u32 v[6:7], s[10:11], v5, s13, v[2:3]
	v_mad_u64_u32 v[0:1], s[10:11], v5, s12, v[0:1]
	s_cmp_lg_u32 s8, 0
	v_mov_b32_e32 v1, v6
	s_cbranch_scc1 .LBB29_247
; %bb.248:
	v_mov_b32_e32 v2, v1
.LBB29_249:
	s_cbranch_execnz .LBB29_252
.LBB29_250:
	v_mul_hi_u32 v0, s29, v24
	v_add_u32_e32 v0, v24, v0
	v_lshrrev_b32_e32 v1, s30, v0
	v_mul_lo_u32 v0, v1, s28
	v_sub_u32_e32 v0, v24, v0
	s_waitcnt lgkmcnt(0)
	v_mul_lo_u32 v2, v0, s37
	s_andn2_b64 vcc, exec, s[42:43]
	v_mul_lo_u32 v0, v0, s36
	s_cbranch_vccnz .LBB29_252
; %bb.251:
	v_mul_hi_u32 v3, s40, v1
	v_add_u32_e32 v3, v1, v3
	v_lshrrev_b32_e32 v3, s41, v3
	v_mul_lo_u32 v3, v3, s31
	v_sub_u32_e32 v3, v1, v3
	v_mad_u64_u32 v[0:1], s[0:1], v3, s38, v[0:1]
	v_mad_u64_u32 v[2:3], s[0:1], v3, s39, v[2:3]
.LBB29_252:
	s_waitcnt lgkmcnt(0)
	global_load_ushort v1, v2, s[26:27]
	s_waitcnt vmcnt(0)
	v_lshlrev_b32_e32 v2, 16, v1
	v_cmp_nle_f32_e32 vcc, v4, v2
	v_cmp_nge_f32_e64 s[0:1], s57, v2
	s_or_b64 vcc, s[0:1], vcc
	v_cndmask_b32_e32 v1, 0, v1, vcc
	global_store_short v0, v1, s[24:25]
	s_or_b64 exec, exec, s[48:49]
                                        ; implicit-def: $vgpr31
                                        ; implicit-def: $vgpr24
	s_andn2_saveexec_b64 s[0:1], s[34:35]
	s_cbranch_execz .LBB29_227
	s_branch .LBB29_9
	.section	.rodata,"a",@progbits
	.p2align	6, 0x0
	.amdhsa_kernel _ZN2at6native32elementwise_kernel_manual_unrollILi128ELi8EZNS0_22gpu_kernel_impl_nocastIZZZNS0_12_GLOBAL__N_117hardshrink_kernelERNS_18TensorIteratorBaseERKN3c106ScalarEENKUlvE_clEvENKUlvE2_clEvEUlNS6_8BFloat16EE_EEvS5_RKT_EUlibE_EEviT1_
		.amdhsa_group_segment_fixed_size 0
		.amdhsa_private_segment_fixed_size 0
		.amdhsa_kernarg_size 360
		.amdhsa_user_sgpr_count 6
		.amdhsa_user_sgpr_private_segment_buffer 1
		.amdhsa_user_sgpr_dispatch_ptr 0
		.amdhsa_user_sgpr_queue_ptr 0
		.amdhsa_user_sgpr_kernarg_segment_ptr 1
		.amdhsa_user_sgpr_dispatch_id 0
		.amdhsa_user_sgpr_flat_scratch_init 0
		.amdhsa_user_sgpr_kernarg_preload_length 0
		.amdhsa_user_sgpr_kernarg_preload_offset 0
		.amdhsa_user_sgpr_private_segment_size 0
		.amdhsa_uses_dynamic_stack 0
		.amdhsa_system_sgpr_private_segment_wavefront_offset 0
		.amdhsa_system_sgpr_workgroup_id_x 1
		.amdhsa_system_sgpr_workgroup_id_y 0
		.amdhsa_system_sgpr_workgroup_id_z 0
		.amdhsa_system_sgpr_workgroup_info 0
		.amdhsa_system_vgpr_workitem_id 0
		.amdhsa_next_free_vgpr 34
		.amdhsa_next_free_sgpr 61
		.amdhsa_accum_offset 36
		.amdhsa_reserve_vcc 1
		.amdhsa_reserve_flat_scratch 0
		.amdhsa_float_round_mode_32 0
		.amdhsa_float_round_mode_16_64 0
		.amdhsa_float_denorm_mode_32 3
		.amdhsa_float_denorm_mode_16_64 3
		.amdhsa_dx10_clamp 1
		.amdhsa_ieee_mode 1
		.amdhsa_fp16_overflow 0
		.amdhsa_tg_split 0
		.amdhsa_exception_fp_ieee_invalid_op 0
		.amdhsa_exception_fp_denorm_src 0
		.amdhsa_exception_fp_ieee_div_zero 0
		.amdhsa_exception_fp_ieee_overflow 0
		.amdhsa_exception_fp_ieee_underflow 0
		.amdhsa_exception_fp_ieee_inexact 0
		.amdhsa_exception_int_div_zero 0
	.end_amdhsa_kernel
	.section	.text._ZN2at6native32elementwise_kernel_manual_unrollILi128ELi8EZNS0_22gpu_kernel_impl_nocastIZZZNS0_12_GLOBAL__N_117hardshrink_kernelERNS_18TensorIteratorBaseERKN3c106ScalarEENKUlvE_clEvENKUlvE2_clEvEUlNS6_8BFloat16EE_EEvS5_RKT_EUlibE_EEviT1_,"axG",@progbits,_ZN2at6native32elementwise_kernel_manual_unrollILi128ELi8EZNS0_22gpu_kernel_impl_nocastIZZZNS0_12_GLOBAL__N_117hardshrink_kernelERNS_18TensorIteratorBaseERKN3c106ScalarEENKUlvE_clEvENKUlvE2_clEvEUlNS6_8BFloat16EE_EEvS5_RKT_EUlibE_EEviT1_,comdat
.Lfunc_end29:
	.size	_ZN2at6native32elementwise_kernel_manual_unrollILi128ELi8EZNS0_22gpu_kernel_impl_nocastIZZZNS0_12_GLOBAL__N_117hardshrink_kernelERNS_18TensorIteratorBaseERKN3c106ScalarEENKUlvE_clEvENKUlvE2_clEvEUlNS6_8BFloat16EE_EEvS5_RKT_EUlibE_EEviT1_, .Lfunc_end29-_ZN2at6native32elementwise_kernel_manual_unrollILi128ELi8EZNS0_22gpu_kernel_impl_nocastIZZZNS0_12_GLOBAL__N_117hardshrink_kernelERNS_18TensorIteratorBaseERKN3c106ScalarEENKUlvE_clEvENKUlvE2_clEvEUlNS6_8BFloat16EE_EEvS5_RKT_EUlibE_EEviT1_
                                        ; -- End function
	.section	.AMDGPU.csdata,"",@progbits
; Kernel info:
; codeLenInByte = 12040
; NumSgprs: 65
; NumVgprs: 34
; NumAgprs: 0
; TotalNumVgprs: 34
; ScratchSize: 0
; MemoryBound: 0
; FloatMode: 240
; IeeeMode: 1
; LDSByteSize: 0 bytes/workgroup (compile time only)
; SGPRBlocks: 8
; VGPRBlocks: 4
; NumSGPRsForWavesPerEU: 65
; NumVGPRsForWavesPerEU: 34
; AccumOffset: 36
; Occupancy: 8
; WaveLimiterHint : 1
; COMPUTE_PGM_RSRC2:SCRATCH_EN: 0
; COMPUTE_PGM_RSRC2:USER_SGPR: 6
; COMPUTE_PGM_RSRC2:TRAP_HANDLER: 0
; COMPUTE_PGM_RSRC2:TGID_X_EN: 1
; COMPUTE_PGM_RSRC2:TGID_Y_EN: 0
; COMPUTE_PGM_RSRC2:TGID_Z_EN: 0
; COMPUTE_PGM_RSRC2:TIDIG_COMP_CNT: 0
; COMPUTE_PGM_RSRC3_GFX90A:ACCUM_OFFSET: 8
; COMPUTE_PGM_RSRC3_GFX90A:TG_SPLIT: 0
	.section	.text._ZN2at6native32elementwise_kernel_manual_unrollILi128ELi4EZNS0_15gpu_kernel_implIZZZNS0_12_GLOBAL__N_117hardshrink_kernelERNS_18TensorIteratorBaseERKN3c106ScalarEENKUlvE_clEvENKUlvE2_clEvEUlNS6_8BFloat16EE_EEvS5_RKT_EUlibE_EEviT1_,"axG",@progbits,_ZN2at6native32elementwise_kernel_manual_unrollILi128ELi4EZNS0_15gpu_kernel_implIZZZNS0_12_GLOBAL__N_117hardshrink_kernelERNS_18TensorIteratorBaseERKN3c106ScalarEENKUlvE_clEvENKUlvE2_clEvEUlNS6_8BFloat16EE_EEvS5_RKT_EUlibE_EEviT1_,comdat
	.globl	_ZN2at6native32elementwise_kernel_manual_unrollILi128ELi4EZNS0_15gpu_kernel_implIZZZNS0_12_GLOBAL__N_117hardshrink_kernelERNS_18TensorIteratorBaseERKN3c106ScalarEENKUlvE_clEvENKUlvE2_clEvEUlNS6_8BFloat16EE_EEvS5_RKT_EUlibE_EEviT1_ ; -- Begin function _ZN2at6native32elementwise_kernel_manual_unrollILi128ELi4EZNS0_15gpu_kernel_implIZZZNS0_12_GLOBAL__N_117hardshrink_kernelERNS_18TensorIteratorBaseERKN3c106ScalarEENKUlvE_clEvENKUlvE2_clEvEUlNS6_8BFloat16EE_EEvS5_RKT_EUlibE_EEviT1_
	.p2align	8
	.type	_ZN2at6native32elementwise_kernel_manual_unrollILi128ELi4EZNS0_15gpu_kernel_implIZZZNS0_12_GLOBAL__N_117hardshrink_kernelERNS_18TensorIteratorBaseERKN3c106ScalarEENKUlvE_clEvENKUlvE2_clEvEUlNS6_8BFloat16EE_EEvS5_RKT_EUlibE_EEviT1_,@function
_ZN2at6native32elementwise_kernel_manual_unrollILi128ELi4EZNS0_15gpu_kernel_implIZZZNS0_12_GLOBAL__N_117hardshrink_kernelERNS_18TensorIteratorBaseERKN3c106ScalarEENKUlvE_clEvENKUlvE2_clEvEUlNS6_8BFloat16EE_EEvS5_RKT_EUlibE_EEviT1_: ; @_ZN2at6native32elementwise_kernel_manual_unrollILi128ELi4EZNS0_15gpu_kernel_implIZZZNS0_12_GLOBAL__N_117hardshrink_kernelERNS_18TensorIteratorBaseERKN3c106ScalarEENKUlvE_clEvENKUlvE2_clEvEUlNS6_8BFloat16EE_EEvS5_RKT_EUlibE_EEviT1_
; %bb.0:
	s_load_dword s0, s[4:5], 0x20
	s_load_dwordx2 s[2:3], s[4:5], 0x18
	s_load_dword s38, s[4:5], 0x0
	s_load_dwordx4 s[8:11], s[4:5], 0x8
	v_lshl_or_b32 v2, s6, 9, v0
	v_or_b32_e32 v0, 0x180, v2
	s_waitcnt lgkmcnt(0)
	s_and_b32 s42, s0, 0xffff
	s_lshr_b32 s33, s0, 16
	s_lshr_b32 s43, s0, 24
	v_cmp_le_i32_e32 vcc, s38, v0
	s_mov_b64 s[4:5], 0
	s_mov_b64 s[12:13], 0
	s_and_saveexec_b64 s[0:1], vcc
	s_xor_b64 s[6:7], exec, s[0:1]
	s_cbranch_execz .LBB30_1029
; %bb.1:
	s_lshl_b32 s44, s42, 16
	s_xor_b32 s0, s44, 0x80000000
	s_bfe_u32 s1, s0, 0x10010
	s_add_i32 s0, s0, s1
	s_addk_i32 s0, 0x7fff
	s_and_b32 s0, s0, 0xffff0000
	v_mov_b32_e32 v0, 0x7fc00000
	v_mov_b32_e32 v1, s0
	v_cmp_o_f32_e64 vcc, s44, s44
	v_cndmask_b32_e32 v3, v0, v1, vcc
	v_cmp_gt_i32_e32 vcc, s38, v2
	s_mov_b64 s[18:19], -1
	s_mov_b64 s[20:21], 0
	s_mov_b64 s[14:15], 0
	s_and_saveexec_b64 s[16:17], vcc
	s_cbranch_execz .LBB30_252
; %bb.2:
	v_mul_lo_u32 v0, v2, s3
	v_ashrrev_i32_e32 v1, 31, v0
	v_mov_b32_e32 v4, s11
	v_add_co_u32_e32 v0, vcc, s10, v0
	v_addc_co_u32_e32 v1, vcc, v4, v1, vcc
	v_cmp_lt_i16_e64 s[0:1], s43, 11
	s_and_b64 vcc, exec, s[0:1]
	s_cbranch_vccnz .LBB30_9
; %bb.3:
	v_cmp_gt_i16_e64 s[0:1], s43, 25
	s_and_b64 vcc, exec, s[0:1]
	s_cbranch_vccz .LBB30_18
; %bb.4:
	v_cmp_gt_i16_e64 s[0:1], s43, 28
	s_and_b64 vcc, exec, s[0:1]
	s_cbranch_vccz .LBB30_22
	;; [unrolled: 4-line block ×4, first 2 shown]
; %bb.7:
	v_cmp_eq_u16_e64 s[0:1], s43, 46
	s_and_b64 vcc, exec, s[0:1]
	s_cbranch_vccz .LBB30_28
; %bb.8:
	global_load_dword v4, v[0:1], off
	s_mov_b64 s[0:1], -1
	s_branch .LBB30_30
.LBB30_9:
                                        ; implicit-def: $vgpr4
	s_mov_b64 s[0:1], 0
	s_cbranch_execnz .LBB30_203
.LBB30_10:
	s_andn2_b64 vcc, exec, s[0:1]
	s_cbranch_vccnz .LBB30_250
.LBB30_11:
	s_waitcnt vmcnt(0)
	v_lshlrev_b32_e32 v0, 16, v4
	v_cmp_nle_f32_e32 vcc, v3, v0
	v_cmp_nge_f32_e64 s[0:1], s44, v0
	s_or_b64 vcc, s[0:1], vcc
	v_mul_lo_u32 v0, v2, s2
	v_cndmask_b32_e32 v4, 0, v4, vcc
	v_ashrrev_i32_e32 v1, 31, v0
	v_mov_b32_e32 v5, s9
	v_add_co_u32_e32 v0, vcc, s8, v0
	v_addc_co_u32_e32 v1, vcc, v5, v1, vcc
	v_mov_b32_e32 v5, 11
	v_cmp_lt_i16_sdwa s[0:1], s33, v5 src0_sel:BYTE_0 src1_sel:DWORD
	s_and_b64 vcc, exec, s[0:1]
	s_cbranch_vccnz .LBB30_19
; %bb.12:
	v_mov_b32_e32 v5, 25
	v_cmp_gt_i16_sdwa s[0:1], s33, v5 src0_sel:BYTE_0 src1_sel:DWORD
	s_and_b64 vcc, exec, s[0:1]
	s_cbranch_vccz .LBB30_23
; %bb.13:
	v_mov_b32_e32 v5, 28
	v_cmp_gt_i16_sdwa s[0:1], s33, v5 src0_sel:BYTE_0 src1_sel:DWORD
	s_and_b64 vcc, exec, s[0:1]
	s_cbranch_vccz .LBB30_25
; %bb.14:
	v_mov_b32_e32 v5, 43
	v_cmp_gt_i16_sdwa s[0:1], s33, v5 src0_sel:BYTE_0 src1_sel:DWORD
	s_and_b64 vcc, exec, s[0:1]
	s_cbranch_vccz .LBB30_27
; %bb.15:
	v_mov_b32_e32 v5, 45
	v_cmp_gt_i16_sdwa s[0:1], s33, v5 src0_sel:BYTE_0 src1_sel:DWORD
	s_and_b64 vcc, exec, s[0:1]
	s_cbranch_vccz .LBB30_33
; %bb.16:
	v_mov_b32_e32 v5, 46
	v_cmp_eq_u16_sdwa s[12:13], s33, v5 src0_sel:BYTE_0 src1_sel:DWORD
	s_mov_b64 s[18:19], 0
	s_mov_b64 s[0:1], -1
	s_and_b64 vcc, exec, s[12:13]
	s_mov_b64 s[12:13], 0
	s_cbranch_vccz .LBB30_34
; %bb.17:
	v_and_b32_e32 v5, 0xffff, v4
	global_store_dword v[0:1], v5, off
	s_mov_b64 s[12:13], -1
	s_mov_b64 s[0:1], 0
	s_branch .LBB30_34
.LBB30_18:
	s_mov_b64 s[0:1], 0
                                        ; implicit-def: $vgpr4
	s_cbranch_execnz .LBB30_168
	s_branch .LBB30_202
.LBB30_19:
	s_mov_b64 s[0:1], 0
	s_mov_b64 s[12:13], 0
	s_cbranch_execnz .LBB30_103
.LBB30_20:
	s_andn2_b64 vcc, exec, s[12:13]
	s_cbranch_vccnz .LBB30_141
.LBB30_21:
	v_add_u32_e32 v2, 0x80, v2
	s_mov_b64 s[18:19], -1
	s_branch .LBB30_251
.LBB30_22:
	s_mov_b64 s[12:13], -1
	s_mov_b64 s[0:1], 0
                                        ; implicit-def: $vgpr4
	s_branch .LBB30_149
.LBB30_23:
	s_mov_b64 s[18:19], -1
	s_mov_b64 s[0:1], 0
	s_mov_b64 s[12:13], 0
	s_branch .LBB30_61
.LBB30_24:
	s_mov_b64 s[12:13], -1
	s_mov_b64 s[0:1], 0
                                        ; implicit-def: $vgpr4
	s_branch .LBB30_144
.LBB30_25:
	s_mov_b64 s[18:19], -1
	s_mov_b64 s[0:1], 0
	s_mov_b64 s[12:13], 0
	s_branch .LBB30_44
.LBB30_26:
	s_mov_b64 s[12:13], -1
	s_branch .LBB30_29
.LBB30_27:
	s_mov_b64 s[18:19], -1
	s_mov_b64 s[0:1], 0
	s_mov_b64 s[12:13], 0
	s_branch .LBB30_40
.LBB30_28:
	s_mov_b64 s[14:15], -1
.LBB30_29:
	s_mov_b64 s[0:1], 0
                                        ; implicit-def: $vgpr4
.LBB30_30:
	s_and_b64 vcc, exec, s[12:13]
	s_cbranch_vccz .LBB30_143
; %bb.31:
	v_cmp_eq_u16_e64 s[12:13], s43, 44
	s_and_b64 vcc, exec, s[12:13]
	s_cbranch_vccz .LBB30_142
; %bb.32:
	global_load_ubyte v4, v[0:1], off
	s_movk_i32 s12, 0xff
	v_mov_b32_e32 v5, 0x7f800001
	v_mov_b32_e32 v6, 0x400000
	v_mov_b32_e32 v7, 0x7fc0
	s_mov_b64 s[0:1], -1
	s_mov_b64 s[14:15], 0
	s_waitcnt vmcnt(0)
	v_lshlrev_b32_e32 v8, 23, v4
	v_cmp_ne_u32_e32 vcc, s12, v4
	v_cndmask_b32_e32 v5, v5, v8, vcc
	v_cmp_ne_u32_e32 vcc, 0, v4
	v_cndmask_b32_e32 v4, v6, v5, vcc
	v_add_u32_e32 v5, 0x7fff, v4
	v_lshrrev_b32_e32 v5, 16, v5
	v_cmp_o_f32_e32 vcc, v4, v4
	v_cndmask_b32_e32 v4, v7, v5, vcc
	s_branch .LBB30_143
.LBB30_33:
	s_mov_b64 s[18:19], -1
	s_mov_b64 s[0:1], 0
	s_mov_b64 s[12:13], 0
.LBB30_34:
	s_and_b64 vcc, exec, s[18:19]
	s_cbranch_vccz .LBB30_39
; %bb.35:
	v_mov_b32_e32 v5, 44
	v_cmp_eq_u16_sdwa s[18:19], s33, v5 src0_sel:BYTE_0 src1_sel:DWORD
	s_mov_b64 s[0:1], -1
	s_and_b64 vcc, exec, s[18:19]
	s_cbranch_vccz .LBB30_39
; %bb.36:
	v_and_b32_e32 v6, 0xffff, v4
	v_bfe_u32 v5, v6, 7, 8
	s_movk_i32 s0, 0xff
	v_cmp_ne_u32_e32 vcc, s0, v5
	v_mov_b32_e32 v7, 0xff
	s_and_saveexec_b64 s[12:13], vcc
; %bb.37:
	v_lshlrev_b32_e32 v8, 16, v6
	s_mov_b32 s0, 0x3f0000
	v_lshrrev_b32_e32 v7, 7, v6
	v_and_b32_e32 v6, 64, v6
	v_and_or_b32 v5, v8, s0, v5
	v_cmp_ne_u32_e32 vcc, 0, v6
	v_cmp_ne_u32_e64 s[0:1], 0, v5
	s_and_b64 s[0:1], vcc, s[0:1]
	v_cndmask_b32_e64 v5, 0, 1, s[0:1]
	v_add_u32_e32 v7, v7, v5
; %bb.38:
	s_or_b64 exec, exec, s[12:13]
	s_mov_b64 s[12:13], -1
	s_mov_b64 s[0:1], 0
	global_store_byte v[0:1], v7, off
.LBB30_39:
	s_mov_b64 s[18:19], 0
.LBB30_40:
	s_and_b64 vcc, exec, s[18:19]
	s_cbranch_vccz .LBB30_43
; %bb.41:
	v_mov_b32_e32 v5, 29
	v_cmp_eq_u16_sdwa s[18:19], s33, v5 src0_sel:BYTE_0 src1_sel:DWORD
	s_mov_b64 s[0:1], -1
	s_and_b64 vcc, exec, s[18:19]
	s_cbranch_vccz .LBB30_43
; %bb.42:
	v_lshlrev_b32_e32 v5, 16, v4
	v_trunc_f32_e32 v5, v5
	v_mul_f32_e32 v6, 0x2f800000, v5
	v_floor_f32_e32 v6, v6
	v_fmac_f32_e32 v5, 0xcf800000, v6
	v_cvt_u32_f32_e32 v7, v6
	v_cvt_u32_f32_e32 v6, v5
	s_mov_b64 s[12:13], -1
	s_mov_b64 s[0:1], 0
	s_mov_b64 s[18:19], 0
	global_store_dwordx2 v[0:1], v[6:7], off
	s_branch .LBB30_44
.LBB30_43:
	s_mov_b64 s[18:19], 0
.LBB30_44:
	s_and_b64 vcc, exec, s[18:19]
	s_cbranch_vccz .LBB30_60
; %bb.45:
	v_mov_b32_e32 v5, 27
	v_cmp_lt_i16_sdwa s[18:19], s33, v5 src0_sel:BYTE_0 src1_sel:DWORD
	s_mov_b64 s[12:13], -1
	s_and_b64 vcc, exec, s[18:19]
	s_cbranch_vccnz .LBB30_51
; %bb.46:
	v_cmp_gt_i16_sdwa s[18:19], s33, v5 src0_sel:BYTE_0 src1_sel:DWORD
	s_and_b64 vcc, exec, s[18:19]
	s_cbranch_vccz .LBB30_48
; %bb.47:
	v_lshlrev_b32_e32 v5, 16, v4
	v_cvt_u32_f32_e32 v5, v5
	s_mov_b64 s[12:13], 0
	global_store_dword v[0:1], v5, off
.LBB30_48:
	s_andn2_b64 vcc, exec, s[12:13]
	s_cbranch_vccnz .LBB30_50
; %bb.49:
	v_lshlrev_b32_e32 v5, 16, v4
	v_cvt_u32_f32_e32 v5, v5
	global_store_short v[0:1], v5, off
.LBB30_50:
	s_mov_b64 s[12:13], 0
.LBB30_51:
	s_andn2_b64 vcc, exec, s[12:13]
	s_cbranch_vccnz .LBB30_59
; %bb.52:
	v_lshlrev_b32_e32 v7, 16, v4
	v_and_b32_e32 v6, 0x7fffffff, v7
	s_mov_b32 s12, 0x43800000
	v_cmp_gt_u32_e32 vcc, s12, v6
	v_mov_b32_e32 v8, 0x80
	s_and_saveexec_b64 s[12:13], vcc
	s_cbranch_execz .LBB30_58
; %bb.53:
	s_mov_b32 s18, 0x3bffffff
	v_and_b32_e32 v5, 0xffff, v4
	v_cmp_lt_u32_e32 vcc, s18, v6
	s_mov_b64 s[18:19], 0
                                        ; implicit-def: $vgpr6
	s_and_saveexec_b64 s[22:23], vcc
	s_xor_b64 s[22:23], exec, s[22:23]
	s_cbranch_execz .LBB30_279
; %bb.54:
	v_bfe_u32 v6, v5, 4, 1
	s_mov_b32 s24, 0x487ffff
	v_add3_u32 v6, v7, v6, s24
	s_mov_b64 s[18:19], exec
	v_lshrrev_b32_e32 v6, 20, v6
                                        ; implicit-def: $vgpr7
	s_or_saveexec_b64 s[22:23], s[22:23]
                                        ; implicit-def: $sgpr24
	s_xor_b64 exec, exec, s[22:23]
	s_cbranch_execnz .LBB30_280
.LBB30_55:
	s_or_b64 exec, exec, s[22:23]
	v_mov_b32_e32 v8, s24
	s_and_saveexec_b64 s[22:23], s[18:19]
.LBB30_56:
	v_lshrrev_b32_e32 v5, 8, v5
	s_movk_i32 s18, 0x80
	v_and_or_b32 v8, v5, s18, v6
.LBB30_57:
	s_or_b64 exec, exec, s[22:23]
.LBB30_58:
	s_or_b64 exec, exec, s[12:13]
	global_store_byte v[0:1], v8, off
.LBB30_59:
	s_mov_b64 s[12:13], -1
.LBB30_60:
	s_mov_b64 s[18:19], 0
.LBB30_61:
	s_and_b64 vcc, exec, s[18:19]
	s_cbranch_vccz .LBB30_102
; %bb.62:
	v_mov_b32_e32 v5, 22
	v_cmp_gt_i16_sdwa s[22:23], s33, v5 src0_sel:BYTE_0 src1_sel:DWORD
	s_mov_b64 s[18:19], -1
	s_and_b64 vcc, exec, s[22:23]
	s_cbranch_vccz .LBB30_94
; %bb.63:
	v_mov_b32_e32 v5, 24
	v_cmp_lt_i16_sdwa s[18:19], s33, v5 src0_sel:BYTE_0 src1_sel:DWORD
	s_mov_b64 s[12:13], -1
	s_and_b64 vcc, exec, s[18:19]
	s_cbranch_vccnz .LBB30_83
; %bb.64:
	v_cmp_gt_i16_sdwa s[18:19], s33, v5 src0_sel:BYTE_0 src1_sel:DWORD
	s_and_b64 vcc, exec, s[18:19]
	s_cbranch_vccz .LBB30_72
; %bb.65:
	v_lshlrev_b32_e32 v7, 16, v4
	v_and_b32_e32 v6, 0x7fffffff, v7
	s_mov_b32 s12, 0x47800000
	v_cmp_gt_u32_e32 vcc, s12, v6
	v_mov_b32_e32 v8, 0x80
	s_and_saveexec_b64 s[12:13], vcc
	s_cbranch_execz .LBB30_71
; %bb.66:
	s_mov_b32 s18, 0x37ffffff
	v_and_b32_e32 v5, 0xffff, v4
	v_cmp_lt_u32_e32 vcc, s18, v6
	s_mov_b64 s[18:19], 0
                                        ; implicit-def: $vgpr6
	s_and_saveexec_b64 s[22:23], vcc
	s_xor_b64 s[22:23], exec, s[22:23]
	s_cbranch_execz .LBB30_283
; %bb.67:
	v_bfe_u32 v6, v5, 5, 1
	s_mov_b32 s24, 0x88fffff
	v_add3_u32 v6, v7, v6, s24
	s_mov_b64 s[18:19], exec
	v_lshrrev_b32_e32 v6, 21, v6
                                        ; implicit-def: $vgpr7
	s_or_saveexec_b64 s[22:23], s[22:23]
                                        ; implicit-def: $sgpr24
	s_xor_b64 exec, exec, s[22:23]
	s_cbranch_execnz .LBB30_284
.LBB30_68:
	s_or_b64 exec, exec, s[22:23]
	v_mov_b32_e32 v8, s24
	s_and_saveexec_b64 s[22:23], s[18:19]
.LBB30_69:
	v_lshrrev_b32_e32 v5, 8, v5
	s_movk_i32 s18, 0x80
	v_and_or_b32 v8, v5, s18, v6
.LBB30_70:
	s_or_b64 exec, exec, s[22:23]
.LBB30_71:
	s_or_b64 exec, exec, s[12:13]
	s_mov_b64 s[12:13], 0
	global_store_byte v[0:1], v8, off
.LBB30_72:
	s_and_b64 vcc, exec, s[12:13]
	s_cbranch_vccz .LBB30_82
; %bb.73:
	v_lshlrev_b32_e32 v7, 16, v4
	v_and_b32_e32 v8, 0x7fffffff, v7
	s_mov_b32 s12, 0x43f00000
	v_and_b32_e32 v5, 0xffff, v4
	v_cmp_gt_u32_e32 vcc, s12, v8
                                        ; implicit-def: $vgpr6
	s_and_saveexec_b64 s[12:13], vcc
	s_xor_b64 s[12:13], exec, s[12:13]
	s_cbranch_execz .LBB30_79
; %bb.74:
	s_mov_b32 s18, 0x3c7fffff
	v_cmp_lt_u32_e32 vcc, s18, v8
                                        ; implicit-def: $vgpr6
	s_and_saveexec_b64 s[18:19], vcc
	s_xor_b64 s[18:19], exec, s[18:19]
; %bb.75:
	v_bfe_u32 v6, v5, 4, 1
	s_mov_b32 s22, 0x407ffff
	v_add3_u32 v6, v7, v6, s22
	v_lshrrev_b32_e32 v7, 20, v6
	v_and_b32_e32 v6, 0xff00000, v6
	s_mov_b32 s22, 0x7f00000
	v_mov_b32_e32 v8, 0x7e
	v_cmp_ne_u32_e32 vcc, s22, v6
	v_cndmask_b32_e32 v6, v8, v7, vcc
                                        ; implicit-def: $vgpr7
; %bb.76:
	s_andn2_saveexec_b64 s[18:19], s[18:19]
; %bb.77:
	s_mov_b32 s22, 0x46800000
	v_add_f32_e64 v6, |v7|, s22
; %bb.78:
	s_or_b64 exec, exec, s[18:19]
                                        ; implicit-def: $vgpr8
.LBB30_79:
	s_andn2_saveexec_b64 s[12:13], s[12:13]
; %bb.80:
	s_mov_b32 s18, 0x7f800000
	v_mov_b32_e32 v6, 0x7e
	v_mov_b32_e32 v7, 0x7f
	v_cmp_lt_u32_e32 vcc, s18, v8
	v_cndmask_b32_e32 v6, v6, v7, vcc
; %bb.81:
	s_or_b64 exec, exec, s[12:13]
	v_lshrrev_b32_e32 v5, 8, v5
	s_movk_i32 s12, 0x80
	v_and_or_b32 v5, v5, s12, v6
	global_store_byte v[0:1], v5, off
.LBB30_82:
	s_mov_b64 s[12:13], 0
.LBB30_83:
	s_andn2_b64 vcc, exec, s[12:13]
	s_cbranch_vccnz .LBB30_93
; %bb.84:
	v_lshlrev_b32_e32 v7, 16, v4
	v_and_b32_e32 v8, 0x7fffffff, v7
	s_mov_b32 s12, 0x47800000
	v_and_b32_e32 v5, 0xffff, v4
	v_cmp_gt_u32_e32 vcc, s12, v8
                                        ; implicit-def: $vgpr6
	s_and_saveexec_b64 s[12:13], vcc
	s_xor_b64 s[12:13], exec, s[12:13]
	s_cbranch_execz .LBB30_90
; %bb.85:
	s_mov_b32 s18, 0x387fffff
	v_cmp_lt_u32_e32 vcc, s18, v8
                                        ; implicit-def: $vgpr6
	s_and_saveexec_b64 s[18:19], vcc
	s_xor_b64 s[18:19], exec, s[18:19]
; %bb.86:
	v_bfe_u32 v6, v5, 5, 1
	s_mov_b32 s22, 0x80fffff
	v_add3_u32 v6, v7, v6, s22
	v_lshrrev_b32_e32 v6, 21, v6
                                        ; implicit-def: $vgpr7
; %bb.87:
	s_andn2_saveexec_b64 s[18:19], s[18:19]
; %bb.88:
	s_mov_b32 s22, 0x43000000
	v_add_f32_e64 v6, |v7|, s22
; %bb.89:
	s_or_b64 exec, exec, s[18:19]
                                        ; implicit-def: $vgpr8
.LBB30_90:
	s_andn2_saveexec_b64 s[12:13], s[12:13]
; %bb.91:
	s_mov_b32 s18, 0x7f800000
	v_mov_b32_e32 v6, 0x7c
	v_mov_b32_e32 v7, 0x7f
	v_cmp_lt_u32_e32 vcc, s18, v8
	v_cndmask_b32_e32 v6, v6, v7, vcc
; %bb.92:
	s_or_b64 exec, exec, s[12:13]
	v_lshrrev_b32_e32 v5, 8, v5
	s_movk_i32 s12, 0x80
	v_and_or_b32 v5, v5, s12, v6
	global_store_byte v[0:1], v5, off
.LBB30_93:
	s_mov_b64 s[18:19], 0
	s_mov_b64 s[12:13], -1
.LBB30_94:
	s_andn2_b64 vcc, exec, s[18:19]
	s_cbranch_vccnz .LBB30_102
; %bb.95:
	v_mov_b32_e32 v5, 14
	v_cmp_gt_i16_sdwa s[22:23], s33, v5 src0_sel:BYTE_0 src1_sel:DWORD
	s_mov_b64 s[18:19], -1
	s_and_b64 vcc, exec, s[22:23]
	s_cbranch_vccz .LBB30_99
; %bb.96:
	v_mov_b32_e32 v5, 15
	v_cmp_eq_u16_sdwa s[18:19], s33, v5 src0_sel:BYTE_0 src1_sel:DWORD
	s_mov_b64 s[0:1], -1
	s_and_b64 vcc, exec, s[18:19]
	s_cbranch_vccz .LBB30_98
; %bb.97:
	global_store_short v[0:1], v4, off
	s_mov_b64 s[12:13], -1
	s_mov_b64 s[0:1], 0
.LBB30_98:
	s_mov_b64 s[18:19], 0
.LBB30_99:
	s_and_b64 vcc, exec, s[18:19]
	s_cbranch_vccz .LBB30_102
; %bb.100:
	v_mov_b32_e32 v5, 11
	v_cmp_eq_u16_sdwa s[18:19], s33, v5 src0_sel:BYTE_0 src1_sel:DWORD
	s_mov_b64 s[0:1], -1
	s_and_b64 vcc, exec, s[18:19]
	s_cbranch_vccz .LBB30_102
; %bb.101:
	v_and_b32_e32 v5, 0x7fff, v4
	v_cmp_ne_u16_e32 vcc, 0, v5
	v_cndmask_b32_e64 v5, 0, 1, vcc
	s_mov_b64 s[12:13], -1
	s_mov_b64 s[0:1], 0
	global_store_byte v[0:1], v5, off
.LBB30_102:
	s_branch .LBB30_20
.LBB30_103:
	v_mov_b32_e32 v5, 5
	v_cmp_lt_i16_sdwa s[18:19], s33, v5 src0_sel:BYTE_0 src1_sel:DWORD
	s_mov_b64 s[12:13], -1
	s_and_b64 vcc, exec, s[18:19]
	s_cbranch_vccnz .LBB30_124
; %bb.104:
	v_mov_b32_e32 v5, 8
	v_cmp_lt_i16_sdwa s[18:19], s33, v5 src0_sel:BYTE_0 src1_sel:DWORD
	s_and_b64 vcc, exec, s[18:19]
	s_cbranch_vccnz .LBB30_114
; %bb.105:
	v_mov_b32_e32 v5, 9
	v_cmp_lt_i16_sdwa s[18:19], s33, v5 src0_sel:BYTE_0 src1_sel:DWORD
	s_and_b64 vcc, exec, s[18:19]
	s_cbranch_vccnz .LBB30_111
; %bb.106:
	v_cmp_gt_i16_sdwa s[18:19], s33, v5 src0_sel:BYTE_0 src1_sel:DWORD
	s_and_b64 vcc, exec, s[18:19]
	s_cbranch_vccz .LBB30_108
; %bb.107:
	v_lshlrev_b32_e32 v5, 16, v4
	v_mov_b32_e32 v8, 0
	v_cvt_f64_f32_e32 v[6:7], v5
	v_mov_b32_e32 v9, v8
	global_store_dwordx4 v[0:1], v[6:9], off
	s_mov_b64 s[12:13], 0
.LBB30_108:
	s_andn2_b64 vcc, exec, s[12:13]
	s_cbranch_vccnz .LBB30_110
; %bb.109:
	v_lshlrev_b32_e32 v6, 16, v4
	v_mov_b32_e32 v7, 0
	global_store_dwordx2 v[0:1], v[6:7], off
.LBB30_110:
	s_mov_b64 s[12:13], 0
.LBB30_111:
	s_andn2_b64 vcc, exec, s[12:13]
	s_cbranch_vccnz .LBB30_113
; %bb.112:
	v_lshlrev_b32_e32 v5, 16, v4
	v_cvt_f16_f32_e32 v5, v5
	global_store_dword v[0:1], v5, off
.LBB30_113:
	s_mov_b64 s[12:13], 0
.LBB30_114:
	s_andn2_b64 vcc, exec, s[12:13]
	s_cbranch_vccnz .LBB30_123
; %bb.115:
	v_mov_b32_e32 v5, 6
	v_cmp_lt_i16_sdwa s[18:19], s33, v5 src0_sel:BYTE_0 src1_sel:DWORD
	s_mov_b64 s[12:13], -1
	s_and_b64 vcc, exec, s[18:19]
	s_cbranch_vccnz .LBB30_121
; %bb.116:
	v_cmp_gt_i16_sdwa s[18:19], s33, v5 src0_sel:BYTE_0 src1_sel:DWORD
	s_and_b64 vcc, exec, s[18:19]
	s_cbranch_vccz .LBB30_118
; %bb.117:
	v_lshlrev_b32_e32 v5, 16, v4
	v_cvt_f64_f32_e32 v[6:7], v5
	global_store_dwordx2 v[0:1], v[6:7], off
	s_mov_b64 s[12:13], 0
.LBB30_118:
	s_andn2_b64 vcc, exec, s[12:13]
	s_cbranch_vccnz .LBB30_120
; %bb.119:
	v_lshlrev_b32_e32 v5, 16, v4
	global_store_dword v[0:1], v5, off
.LBB30_120:
	s_mov_b64 s[12:13], 0
.LBB30_121:
	s_andn2_b64 vcc, exec, s[12:13]
	s_cbranch_vccnz .LBB30_123
; %bb.122:
	v_lshlrev_b32_e32 v5, 16, v4
	v_cvt_f16_f32_e32 v5, v5
	global_store_short v[0:1], v5, off
.LBB30_123:
	s_mov_b64 s[12:13], 0
.LBB30_124:
	s_andn2_b64 vcc, exec, s[12:13]
	s_cbranch_vccnz .LBB30_140
; %bb.125:
	v_mov_b32_e32 v5, 2
	v_cmp_lt_i16_sdwa s[18:19], s33, v5 src0_sel:BYTE_0 src1_sel:DWORD
	s_mov_b64 s[12:13], -1
	s_and_b64 vcc, exec, s[18:19]
	s_cbranch_vccnz .LBB30_135
; %bb.126:
	v_mov_b32_e32 v5, 3
	v_cmp_lt_i16_sdwa s[18:19], s33, v5 src0_sel:BYTE_0 src1_sel:DWORD
	s_and_b64 vcc, exec, s[18:19]
	s_cbranch_vccnz .LBB30_132
; %bb.127:
	v_cmp_gt_i16_sdwa s[18:19], s33, v5 src0_sel:BYTE_0 src1_sel:DWORD
	s_and_b64 vcc, exec, s[18:19]
	s_cbranch_vccz .LBB30_129
; %bb.128:
	v_lshlrev_b32_e32 v5, 16, v4
	v_trunc_f32_e32 v5, v5
	s_mov_b32 s12, 0x2f800000
	v_mul_f32_e64 v6, |v5|, s12
	v_floor_f32_e32 v6, v6
	s_mov_b32 s12, 0xcf800000
	v_cvt_u32_f32_e32 v7, v6
	v_fma_f32 v6, v6, s12, |v5|
	v_cvt_u32_f32_e32 v6, v6
	v_ashrrev_i32_e32 v5, 31, v5
	v_xor_b32_e32 v7, v7, v5
	s_mov_b64 s[12:13], 0
	v_xor_b32_e32 v6, v6, v5
	v_sub_co_u32_e32 v6, vcc, v6, v5
	v_subb_co_u32_e32 v7, vcc, v7, v5, vcc
	global_store_dwordx2 v[0:1], v[6:7], off
.LBB30_129:
	s_andn2_b64 vcc, exec, s[12:13]
	s_cbranch_vccnz .LBB30_131
; %bb.130:
	v_lshlrev_b32_e32 v5, 16, v4
	v_cvt_i32_f32_e32 v5, v5
	global_store_dword v[0:1], v5, off
.LBB30_131:
	s_mov_b64 s[12:13], 0
.LBB30_132:
	s_andn2_b64 vcc, exec, s[12:13]
	s_cbranch_vccnz .LBB30_134
; %bb.133:
	v_lshlrev_b32_e32 v5, 16, v4
	v_cvt_i32_f32_e32 v5, v5
	global_store_short v[0:1], v5, off
.LBB30_134:
	s_mov_b64 s[12:13], 0
.LBB30_135:
	s_andn2_b64 vcc, exec, s[12:13]
	s_cbranch_vccnz .LBB30_140
; %bb.136:
	v_mov_b32_e32 v5, 0
	v_cmp_gt_i16_sdwa s[18:19], s33, v5 src0_sel:BYTE_0 src1_sel:DWORD
	s_mov_b64 s[12:13], -1
	s_and_b64 vcc, exec, s[18:19]
	v_lshlrev_b32_e32 v4, 16, v4
	s_cbranch_vccz .LBB30_138
; %bb.137:
	v_cvt_i32_f32_e32 v5, v4
	s_mov_b64 s[12:13], 0
	global_store_byte v[0:1], v5, off
.LBB30_138:
	s_andn2_b64 vcc, exec, s[12:13]
	s_cbranch_vccnz .LBB30_140
; %bb.139:
	v_trunc_f32_e32 v4, v4
	s_mov_b32 s12, 0x2f800000
	v_mul_f32_e64 v5, |v4|, s12
	v_floor_f32_e32 v5, v5
	s_mov_b32 s12, 0xcf800000
	v_fma_f32 v5, v5, s12, |v4|
	v_cvt_u32_f32_e32 v5, v5
	v_ashrrev_i32_e32 v4, 31, v4
	v_xor_b32_e32 v5, v5, v4
	v_sub_u32_e32 v4, v5, v4
	global_store_byte v[0:1], v4, off
.LBB30_140:
	s_branch .LBB30_21
.LBB30_141:
	s_mov_b64 s[18:19], 0
                                        ; implicit-def: $vgpr2
	s_branch .LBB30_251
.LBB30_142:
	s_mov_b64 s[14:15], -1
                                        ; implicit-def: $vgpr4
.LBB30_143:
	s_mov_b64 s[12:13], 0
.LBB30_144:
	s_and_b64 vcc, exec, s[12:13]
	s_cbranch_vccz .LBB30_148
; %bb.145:
	v_cmp_eq_u16_e64 s[12:13], s43, 29
	s_and_b64 vcc, exec, s[12:13]
	s_cbranch_vccz .LBB30_147
; %bb.146:
	global_load_dwordx2 v[4:5], v[0:1], off
	s_movk_i32 s12, 0x7fff
	s_mov_b64 s[0:1], -1
	s_mov_b64 s[14:15], 0
	s_waitcnt vmcnt(0)
	v_ffbh_u32_e32 v6, v5
	v_min_u32_e32 v6, 32, v6
	v_lshlrev_b64 v[4:5], v6, v[4:5]
	v_min_u32_e32 v4, 1, v4
	v_or_b32_e32 v4, v5, v4
	v_cvt_f32_u32_e32 v4, v4
	v_sub_u32_e32 v5, 32, v6
	v_ldexp_f32 v4, v4, v5
	v_bfe_u32 v5, v4, 16, 1
	v_add3_u32 v4, v4, v5, s12
	v_lshrrev_b32_e32 v4, 16, v4
	s_branch .LBB30_148
.LBB30_147:
	s_mov_b64 s[14:15], -1
                                        ; implicit-def: $vgpr4
.LBB30_148:
	s_mov_b64 s[12:13], 0
.LBB30_149:
	s_and_b64 vcc, exec, s[12:13]
	s_cbranch_vccz .LBB30_167
; %bb.150:
	v_cmp_lt_i16_e64 s[0:1], s43, 27
	s_and_b64 vcc, exec, s[0:1]
	s_cbranch_vccnz .LBB30_153
; %bb.151:
	v_cmp_gt_i16_e64 s[0:1], s43, 27
	s_and_b64 vcc, exec, s[0:1]
	s_cbranch_vccz .LBB30_154
; %bb.152:
	global_load_dword v4, v[0:1], off
	s_movk_i32 s0, 0x7fff
	s_waitcnt vmcnt(0)
	v_cvt_f32_u32_e32 v4, v4
	v_bfe_u32 v5, v4, 16, 1
	v_add3_u32 v4, v4, v5, s0
	v_lshrrev_b32_e32 v4, 16, v4
	s_mov_b64 s[0:1], 0
	s_branch .LBB30_155
.LBB30_153:
	s_mov_b64 s[0:1], -1
                                        ; implicit-def: $vgpr4
	s_branch .LBB30_158
.LBB30_154:
	s_mov_b64 s[0:1], -1
                                        ; implicit-def: $vgpr4
.LBB30_155:
	s_andn2_b64 vcc, exec, s[0:1]
	s_cbranch_vccnz .LBB30_157
; %bb.156:
	global_load_ushort v4, v[0:1], off
	s_movk_i32 s0, 0x7fff
	s_waitcnt vmcnt(0)
	v_cvt_f32_u32_e32 v4, v4
	v_bfe_u32 v5, v4, 16, 1
	v_add3_u32 v4, v4, v5, s0
	v_lshrrev_b32_e32 v4, 16, v4
.LBB30_157:
	s_mov_b64 s[0:1], 0
.LBB30_158:
	s_andn2_b64 vcc, exec, s[0:1]
	s_cbranch_vccnz .LBB30_166
; %bb.159:
	global_load_ubyte v4, v[0:1], off
	s_movk_i32 s0, 0x7f
                                        ; implicit-def: $sgpr22
	s_waitcnt vmcnt(0)
	v_cmp_lt_i16_e32 vcc, s0, v4
	s_mov_b64 s[0:1], 0
	s_and_saveexec_b64 s[12:13], vcc
	s_xor_b64 s[12:13], exec, s[12:13]
	s_cbranch_execz .LBB30_179
; %bb.160:
	s_movk_i32 s0, 0x80
	v_cmp_eq_u16_e32 vcc, s0, v4
	s_mov_b64 s[0:1], -1
                                        ; implicit-def: $sgpr22
	s_and_saveexec_b64 s[18:19], vcc
; %bb.161:
	s_mov_b32 s22, 0x7f800001
	s_xor_b64 s[0:1], exec, -1
; %bb.162:
	s_or_b64 exec, exec, s[18:19]
	s_and_b64 s[0:1], s[0:1], exec
	s_or_saveexec_b64 s[12:13], s[12:13]
	v_mov_b32_e32 v5, s22
	s_xor_b64 exec, exec, s[12:13]
	s_cbranch_execnz .LBB30_180
.LBB30_163:
	s_or_b64 exec, exec, s[12:13]
	s_and_saveexec_b64 s[12:13], s[0:1]
	s_cbranch_execz .LBB30_165
.LBB30_164:
	v_lshlrev_b32_e32 v5, 24, v4
	v_and_b32_e32 v4, 0xffff, v4
	v_and_b32_e32 v6, 7, v4
	v_ffbh_u32_e32 v8, v6
	v_min_u32_e32 v8, 32, v8
	v_subrev_u32_e32 v9, 28, v8
	v_bfe_u32 v7, v4, 3, 4
	v_lshlrev_b32_e32 v4, v9, v4
	v_sub_u32_e32 v8, 29, v8
	v_and_b32_e32 v4, 7, v4
	v_cmp_eq_u32_e32 vcc, 0, v7
	v_cndmask_b32_e32 v7, v7, v8, vcc
	v_cndmask_b32_e32 v4, v6, v4, vcc
	v_mov_b32_e32 v6, 0x3b800000
	v_lshlrev_b32_e32 v4, 20, v4
	v_and_b32_e32 v5, 0x80000000, v5
	v_lshl_add_u32 v6, v7, 23, v6
	v_or3_b32 v5, v5, v6, v4
.LBB30_165:
	s_or_b64 exec, exec, s[12:13]
	v_bfe_u32 v4, v5, 16, 1
	s_movk_i32 s0, 0x7fff
	v_add3_u32 v4, v5, v4, s0
	v_lshrrev_b32_e32 v4, 16, v4
	v_mov_b32_e32 v6, 0x7fc0
	v_cmp_o_f32_e32 vcc, v5, v5
	v_cndmask_b32_e32 v4, v6, v4, vcc
.LBB30_166:
	s_mov_b64 s[0:1], -1
.LBB30_167:
	s_branch .LBB30_202
.LBB30_168:
	v_cmp_gt_i16_e64 s[12:13], s43, 22
	s_and_b64 vcc, exec, s[12:13]
	s_cbranch_vccz .LBB30_178
; %bb.169:
	v_cmp_lt_i16_e64 s[0:1], s43, 24
	s_and_b64 vcc, exec, s[0:1]
	s_cbranch_vccnz .LBB30_181
; %bb.170:
	v_cmp_gt_i16_e64 s[0:1], s43, 24
	s_and_b64 vcc, exec, s[0:1]
	s_cbranch_vccz .LBB30_182
; %bb.171:
	global_load_ubyte v4, v[0:1], off
	s_movk_i32 s0, 0x7f
                                        ; implicit-def: $sgpr22
	s_waitcnt vmcnt(0)
	v_cmp_lt_i16_e32 vcc, s0, v4
	s_mov_b64 s[0:1], 0
	s_and_saveexec_b64 s[12:13], vcc
	s_xor_b64 s[12:13], exec, s[12:13]
	s_cbranch_execz .LBB30_194
; %bb.172:
	s_movk_i32 s0, 0x80
	v_cmp_eq_u16_e32 vcc, s0, v4
	s_mov_b64 s[0:1], -1
                                        ; implicit-def: $sgpr22
	s_and_saveexec_b64 s[18:19], vcc
; %bb.173:
	s_mov_b32 s22, 0x7f800001
	s_xor_b64 s[0:1], exec, -1
; %bb.174:
	s_or_b64 exec, exec, s[18:19]
	s_and_b64 s[0:1], s[0:1], exec
	s_or_saveexec_b64 s[12:13], s[12:13]
	v_mov_b32_e32 v5, s22
	s_xor_b64 exec, exec, s[12:13]
	s_cbranch_execnz .LBB30_195
.LBB30_175:
	s_or_b64 exec, exec, s[12:13]
	s_and_saveexec_b64 s[12:13], s[0:1]
	s_cbranch_execz .LBB30_177
.LBB30_176:
	v_lshlrev_b32_e32 v5, 24, v4
	v_and_b32_e32 v4, 0xffff, v4
	v_and_b32_e32 v6, 3, v4
	v_ffbh_u32_e32 v8, v6
	v_min_u32_e32 v8, 32, v8
	v_subrev_u32_e32 v9, 29, v8
	v_bfe_u32 v7, v4, 2, 5
	v_lshlrev_b32_e32 v4, v9, v4
	v_sub_u32_e32 v8, 30, v8
	v_and_b32_e32 v4, 3, v4
	v_cmp_eq_u32_e32 vcc, 0, v7
	v_cndmask_b32_e32 v7, v7, v8, vcc
	v_cndmask_b32_e32 v4, v6, v4, vcc
	v_mov_b32_e32 v6, 0x37800000
	v_lshlrev_b32_e32 v4, 21, v4
	v_and_b32_e32 v5, 0x80000000, v5
	v_lshl_add_u32 v6, v7, 23, v6
	v_or3_b32 v5, v5, v6, v4
.LBB30_177:
	s_or_b64 exec, exec, s[12:13]
	v_bfe_u32 v4, v5, 16, 1
	s_movk_i32 s0, 0x7fff
	v_add3_u32 v4, v5, v4, s0
	v_lshrrev_b32_e32 v4, 16, v4
	v_mov_b32_e32 v6, 0x7fc0
	v_cmp_o_f32_e32 vcc, v5, v5
	v_cndmask_b32_e32 v4, v6, v4, vcc
	s_mov_b64 s[0:1], 0
	s_branch .LBB30_183
.LBB30_178:
	s_mov_b64 s[12:13], -1
                                        ; implicit-def: $vgpr4
	s_branch .LBB30_189
.LBB30_179:
	s_or_saveexec_b64 s[12:13], s[12:13]
	v_mov_b32_e32 v5, s22
	s_xor_b64 exec, exec, s[12:13]
	s_cbranch_execz .LBB30_163
.LBB30_180:
	v_cmp_ne_u16_e32 vcc, 0, v4
	s_andn2_b64 s[0:1], s[0:1], exec
	s_and_b64 s[18:19], vcc, exec
	v_mov_b32_e32 v5, 0
	s_or_b64 s[0:1], s[0:1], s[18:19]
	s_or_b64 exec, exec, s[12:13]
	s_and_saveexec_b64 s[12:13], s[0:1]
	s_cbranch_execnz .LBB30_164
	s_branch .LBB30_165
.LBB30_181:
	s_mov_b64 s[0:1], -1
                                        ; implicit-def: $vgpr4
	s_branch .LBB30_186
.LBB30_182:
	s_mov_b64 s[0:1], -1
                                        ; implicit-def: $vgpr4
.LBB30_183:
	s_and_b64 vcc, exec, s[0:1]
	s_cbranch_vccz .LBB30_185
; %bb.184:
	global_load_ubyte v4, v[0:1], off
	s_mov_b32 s0, 0x7f800000
	s_brev_b32 s1, 1
	s_movk_i32 s12, 0x7fff
	v_mov_b32_e32 v5, 0x7fc0
	s_waitcnt vmcnt(0)
	v_lshlrev_b32_e32 v4, 24, v4
	v_and_b32_e32 v6, 0x7f000000, v4
	v_ffbh_u32_e32 v7, v6
	v_min_u32_e32 v7, 32, v7
	v_sub_u32_e64 v7, v7, 4 clamp
	v_lshlrev_b32_e32 v9, v7, v6
	v_lshlrev_b32_e32 v7, 23, v7
	v_lshrrev_b32_e32 v9, 4, v9
	v_add_u32_e32 v8, 0x1000000, v6
	v_sub_u32_e32 v7, v9, v7
	v_ashrrev_i32_e32 v8, 8, v8
	v_add_u32_e32 v7, 0x3c000000, v7
	v_and_or_b32 v7, v8, s0, v7
	v_cmp_ne_u32_e32 vcc, 0, v6
	v_cndmask_b32_e32 v6, 0, v7, vcc
	v_and_or_b32 v4, v4, s1, v6
	v_bfe_u32 v6, v6, 16, 1
	v_add3_u32 v6, v4, v6, s12
	v_lshrrev_b32_e32 v6, 16, v6
	v_cmp_o_f32_e32 vcc, v4, v4
	v_cndmask_b32_e32 v4, v5, v6, vcc
.LBB30_185:
	s_mov_b64 s[0:1], 0
.LBB30_186:
	s_andn2_b64 vcc, exec, s[0:1]
	s_cbranch_vccnz .LBB30_188
; %bb.187:
	global_load_ubyte v4, v[0:1], off
	s_movk_i32 s0, 0x7f00
	s_brev_b32 s1, 16
	s_brev_b32 s12, 1
	s_movk_i32 s13, 0x7fff
	v_mov_b32_e32 v5, 0x7fc0
	s_waitcnt vmcnt(0)
	v_lshlrev_b16_e32 v6, 8, v4
	v_lshlrev_b32_e32 v4, 25, v4
	v_lshrrev_b32_e32 v7, 4, v4
	v_and_or_b32 v8, v6, s0, 0.5
	v_or_b32_e32 v7, 0x70000000, v7
	v_add_f32_e32 v8, -0.5, v8
	v_mul_f32_e32 v7, 0x7800000, v7
	v_cmp_gt_u32_e32 vcc, s1, v4
	v_bfe_i32 v6, v6, 0, 16
	v_cndmask_b32_e32 v4, v7, v8, vcc
	v_and_or_b32 v6, v6, s12, v4
	v_bfe_u32 v4, v4, 16, 1
	v_add3_u32 v4, v6, v4, s13
	v_lshrrev_b32_e32 v4, 16, v4
	v_cmp_o_f32_e32 vcc, v6, v6
	v_cndmask_b32_e32 v4, v5, v4, vcc
.LBB30_188:
	s_mov_b64 s[12:13], 0
	s_mov_b64 s[0:1], -1
.LBB30_189:
	s_andn2_b64 vcc, exec, s[12:13]
	s_cbranch_vccnz .LBB30_202
; %bb.190:
	v_cmp_gt_i16_e64 s[12:13], s43, 14
	s_and_b64 vcc, exec, s[12:13]
	s_cbranch_vccz .LBB30_193
; %bb.191:
	v_cmp_eq_u16_e64 s[12:13], s43, 15
	s_and_b64 vcc, exec, s[12:13]
	s_cbranch_vccz .LBB30_196
; %bb.192:
	global_load_ushort v4, v[0:1], off
	s_mov_b64 s[0:1], -1
	s_mov_b64 s[14:15], 0
	s_branch .LBB30_197
.LBB30_193:
	s_mov_b64 s[12:13], -1
                                        ; implicit-def: $vgpr4
	s_branch .LBB30_198
.LBB30_194:
	s_or_saveexec_b64 s[12:13], s[12:13]
	v_mov_b32_e32 v5, s22
	s_xor_b64 exec, exec, s[12:13]
	s_cbranch_execz .LBB30_175
.LBB30_195:
	v_cmp_ne_u16_e32 vcc, 0, v4
	s_andn2_b64 s[0:1], s[0:1], exec
	s_and_b64 s[18:19], vcc, exec
	v_mov_b32_e32 v5, 0
	s_or_b64 s[0:1], s[0:1], s[18:19]
	s_or_b64 exec, exec, s[12:13]
	s_and_saveexec_b64 s[12:13], s[0:1]
	s_cbranch_execnz .LBB30_176
	s_branch .LBB30_177
.LBB30_196:
	s_mov_b64 s[14:15], -1
                                        ; implicit-def: $vgpr4
.LBB30_197:
	s_mov_b64 s[12:13], 0
.LBB30_198:
	s_and_b64 vcc, exec, s[12:13]
	s_cbranch_vccz .LBB30_202
; %bb.199:
	v_cmp_eq_u16_e64 s[12:13], s43, 11
	s_and_b64 vcc, exec, s[12:13]
	s_cbranch_vccz .LBB30_201
; %bb.200:
	global_load_ubyte v4, v[0:1], off
	s_mov_b64 s[0:1], -1
	s_mov_b64 s[14:15], 0
	s_waitcnt vmcnt(0)
	v_cmp_ne_u16_e32 vcc, 0, v4
	v_cndmask_b32_e64 v4, 0, 1.0, vcc
	v_lshrrev_b32_e32 v4, 16, v4
	s_branch .LBB30_202
.LBB30_201:
	s_mov_b64 s[14:15], -1
                                        ; implicit-def: $vgpr4
.LBB30_202:
	s_branch .LBB30_10
.LBB30_203:
	v_cmp_lt_i16_e64 s[0:1], s43, 5
	s_and_b64 vcc, exec, s[0:1]
	s_cbranch_vccnz .LBB30_208
; %bb.204:
	v_cmp_lt_i16_e64 s[0:1], s43, 8
	s_and_b64 vcc, exec, s[0:1]
	s_cbranch_vccnz .LBB30_209
; %bb.205:
	;; [unrolled: 4-line block ×3, first 2 shown]
	v_cmp_gt_i16_e64 s[0:1], s43, 9
	s_and_b64 vcc, exec, s[0:1]
	s_cbranch_vccz .LBB30_211
; %bb.207:
	global_load_dwordx2 v[4:5], v[0:1], off
	s_movk_i32 s0, 0x7fff
	v_mov_b32_e32 v6, 0x7fc0
	s_waitcnt vmcnt(0)
	v_cvt_f32_f64_e32 v4, v[4:5]
	v_bfe_u32 v5, v4, 16, 1
	v_add3_u32 v5, v4, v5, s0
	v_lshrrev_b32_e32 v5, 16, v5
	v_cmp_o_f32_e32 vcc, v4, v4
	v_cndmask_b32_e32 v4, v6, v5, vcc
	s_mov_b64 s[0:1], 0
	s_branch .LBB30_212
.LBB30_208:
                                        ; implicit-def: $vgpr4
	s_branch .LBB30_230
.LBB30_209:
	s_mov_b64 s[0:1], -1
                                        ; implicit-def: $vgpr4
	s_branch .LBB30_218
.LBB30_210:
	s_mov_b64 s[0:1], -1
                                        ; implicit-def: $vgpr4
	s_branch .LBB30_215
.LBB30_211:
	s_mov_b64 s[0:1], -1
                                        ; implicit-def: $vgpr4
.LBB30_212:
	s_andn2_b64 vcc, exec, s[0:1]
	s_cbranch_vccnz .LBB30_214
; %bb.213:
	global_load_dword v4, v[0:1], off
	s_movk_i32 s0, 0x7fff
	v_mov_b32_e32 v5, 0x7fc0
	s_waitcnt vmcnt(0)
	v_bfe_u32 v6, v4, 16, 1
	v_add3_u32 v6, v4, v6, s0
	v_lshrrev_b32_e32 v6, 16, v6
	v_cmp_o_f32_e32 vcc, v4, v4
	v_cndmask_b32_e32 v4, v5, v6, vcc
.LBB30_214:
	s_mov_b64 s[0:1], 0
.LBB30_215:
	s_andn2_b64 vcc, exec, s[0:1]
	s_cbranch_vccnz .LBB30_217
; %bb.216:
	global_load_dword v4, v[0:1], off
	s_movk_i32 s0, 0x7fff
	v_mov_b32_e32 v6, 0x7fc0
	s_waitcnt vmcnt(0)
	v_cvt_f32_f16_e32 v5, v4
	v_cmp_o_f16_e32 vcc, v4, v4
	v_bfe_u32 v7, v5, 16, 1
	v_add3_u32 v5, v5, v7, s0
	v_lshrrev_b32_e32 v5, 16, v5
	v_cndmask_b32_e32 v4, v6, v5, vcc
.LBB30_217:
	s_mov_b64 s[0:1], 0
.LBB30_218:
	s_andn2_b64 vcc, exec, s[0:1]
	s_cbranch_vccnz .LBB30_229
; %bb.219:
	v_cmp_lt_i16_e64 s[0:1], s43, 6
	s_and_b64 vcc, exec, s[0:1]
	s_cbranch_vccnz .LBB30_222
; %bb.220:
	v_cmp_gt_i16_e64 s[0:1], s43, 6
	s_and_b64 vcc, exec, s[0:1]
	s_cbranch_vccz .LBB30_223
; %bb.221:
	global_load_dwordx2 v[4:5], v[0:1], off
	s_movk_i32 s0, 0x7fff
	v_mov_b32_e32 v6, 0x7fc0
	s_waitcnt vmcnt(0)
	v_cvt_f32_f64_e32 v4, v[4:5]
	v_bfe_u32 v5, v4, 16, 1
	v_add3_u32 v5, v4, v5, s0
	v_lshrrev_b32_e32 v5, 16, v5
	v_cmp_o_f32_e32 vcc, v4, v4
	v_cndmask_b32_e32 v4, v6, v5, vcc
	s_mov_b64 s[0:1], 0
	s_branch .LBB30_224
.LBB30_222:
	s_mov_b64 s[0:1], -1
                                        ; implicit-def: $vgpr4
	s_branch .LBB30_227
.LBB30_223:
	s_mov_b64 s[0:1], -1
                                        ; implicit-def: $vgpr4
.LBB30_224:
	s_andn2_b64 vcc, exec, s[0:1]
	s_cbranch_vccnz .LBB30_226
; %bb.225:
	global_load_dword v4, v[0:1], off
	s_movk_i32 s0, 0x7fff
	v_mov_b32_e32 v5, 0x7fc0
	s_waitcnt vmcnt(0)
	v_bfe_u32 v6, v4, 16, 1
	v_add3_u32 v6, v4, v6, s0
	v_lshrrev_b32_e32 v6, 16, v6
	v_cmp_o_f32_e32 vcc, v4, v4
	v_cndmask_b32_e32 v4, v5, v6, vcc
.LBB30_226:
	s_mov_b64 s[0:1], 0
.LBB30_227:
	s_andn2_b64 vcc, exec, s[0:1]
	s_cbranch_vccnz .LBB30_229
; %bb.228:
	global_load_ushort v4, v[0:1], off
	s_movk_i32 s0, 0x7fff
	v_mov_b32_e32 v6, 0x7fc0
	s_waitcnt vmcnt(0)
	v_cvt_f32_f16_e32 v5, v4
	v_cmp_o_f16_e32 vcc, v4, v4
	v_bfe_u32 v7, v5, 16, 1
	v_add3_u32 v5, v5, v7, s0
	v_lshrrev_b32_e32 v5, 16, v5
	v_cndmask_b32_e32 v4, v6, v5, vcc
.LBB30_229:
	s_cbranch_execnz .LBB30_249
.LBB30_230:
	v_cmp_lt_i16_e64 s[0:1], s43, 2
	s_and_b64 vcc, exec, s[0:1]
	s_cbranch_vccnz .LBB30_234
; %bb.231:
	v_cmp_lt_i16_e64 s[0:1], s43, 3
	s_and_b64 vcc, exec, s[0:1]
	s_cbranch_vccnz .LBB30_235
; %bb.232:
	v_cmp_gt_i16_e64 s[0:1], s43, 3
	s_and_b64 vcc, exec, s[0:1]
	s_cbranch_vccz .LBB30_236
; %bb.233:
	global_load_dwordx2 v[4:5], v[0:1], off
	s_movk_i32 s0, 0x7fff
	s_waitcnt vmcnt(0)
	v_xor_b32_e32 v7, v4, v5
	v_ffbh_i32_e32 v6, v5
	v_ashrrev_i32_e32 v7, 31, v7
	v_add_u32_e32 v6, -1, v6
	v_add_u32_e32 v7, 32, v7
	v_min_u32_e32 v6, v6, v7
	v_lshlrev_b64 v[4:5], v6, v[4:5]
	v_min_u32_e32 v4, 1, v4
	v_or_b32_e32 v4, v5, v4
	v_cvt_f32_i32_e32 v4, v4
	v_sub_u32_e32 v5, 32, v6
	v_ldexp_f32 v4, v4, v5
	v_bfe_u32 v5, v4, 16, 1
	v_add3_u32 v4, v4, v5, s0
	v_lshrrev_b32_e32 v4, 16, v4
	s_mov_b64 s[0:1], 0
	s_branch .LBB30_237
.LBB30_234:
	s_mov_b64 s[0:1], -1
                                        ; implicit-def: $vgpr4
	s_branch .LBB30_243
.LBB30_235:
	s_mov_b64 s[0:1], -1
                                        ; implicit-def: $vgpr4
	s_branch .LBB30_240
.LBB30_236:
	s_mov_b64 s[0:1], -1
                                        ; implicit-def: $vgpr4
.LBB30_237:
	s_andn2_b64 vcc, exec, s[0:1]
	s_cbranch_vccnz .LBB30_239
; %bb.238:
	global_load_dword v4, v[0:1], off
	s_movk_i32 s0, 0x7fff
	s_waitcnt vmcnt(0)
	v_cvt_f32_i32_e32 v4, v4
	v_bfe_u32 v5, v4, 16, 1
	v_add3_u32 v4, v4, v5, s0
	v_lshrrev_b32_e32 v4, 16, v4
.LBB30_239:
	s_mov_b64 s[0:1], 0
.LBB30_240:
	s_andn2_b64 vcc, exec, s[0:1]
	s_cbranch_vccnz .LBB30_242
; %bb.241:
	global_load_sshort v4, v[0:1], off
	s_movk_i32 s0, 0x7fff
	s_waitcnt vmcnt(0)
	v_cvt_f32_i32_e32 v4, v4
	v_bfe_u32 v5, v4, 16, 1
	v_add3_u32 v4, v4, v5, s0
	v_lshrrev_b32_e32 v4, 16, v4
.LBB30_242:
	s_mov_b64 s[0:1], 0
.LBB30_243:
	s_andn2_b64 vcc, exec, s[0:1]
	s_cbranch_vccnz .LBB30_249
; %bb.244:
	v_cmp_gt_i16_e64 s[0:1], s43, 0
	s_and_b64 vcc, exec, s[0:1]
	s_cbranch_vccz .LBB30_246
; %bb.245:
	global_load_sbyte v4, v[0:1], off
	s_movk_i32 s0, 0x7fff
	s_waitcnt vmcnt(0)
	v_cvt_f32_i32_e32 v4, v4
	v_bfe_u32 v5, v4, 16, 1
	v_add3_u32 v4, v4, v5, s0
	v_lshrrev_b32_e32 v4, 16, v4
	s_mov_b64 s[0:1], 0
	s_branch .LBB30_247
.LBB30_246:
	s_mov_b64 s[0:1], -1
                                        ; implicit-def: $vgpr4
.LBB30_247:
	s_andn2_b64 vcc, exec, s[0:1]
	s_cbranch_vccnz .LBB30_249
; %bb.248:
	global_load_ubyte v0, v[0:1], off
	s_movk_i32 s0, 0x7fff
	s_waitcnt vmcnt(0)
	v_cvt_f32_ubyte0_e32 v0, v0
	v_bfe_u32 v1, v0, 16, 1
	v_add3_u32 v0, v0, v1, s0
	v_lshrrev_b32_e32 v4, 16, v0
.LBB30_249:
	s_branch .LBB30_11
.LBB30_250:
	s_mov_b64 s[0:1], 0
                                        ; implicit-def: $vgpr2
	s_mov_b64 s[18:19], 0
.LBB30_251:
	s_and_b64 s[12:13], s[0:1], exec
	s_and_b64 s[14:15], s[14:15], exec
	s_orn2_b64 s[18:19], s[18:19], exec
.LBB30_252:
	s_or_b64 exec, exec, s[16:17]
	s_mov_b64 s[22:23], 0
	s_mov_b64 s[0:1], 0
                                        ; implicit-def: $vgpr0_vgpr1
                                        ; implicit-def: $vgpr6
	s_and_saveexec_b64 s[16:17], s[18:19]
	s_cbranch_execz .LBB30_261
; %bb.253:
	v_cmp_gt_i32_e32 vcc, s38, v2
	s_mov_b64 s[0:1], -1
	s_mov_b64 s[18:19], s[14:15]
	s_mov_b64 s[20:21], s[12:13]
	s_and_saveexec_b64 s[22:23], vcc
	s_cbranch_execz .LBB30_514
; %bb.254:
	v_mul_lo_u32 v0, v2, s3
	v_ashrrev_i32_e32 v1, 31, v0
	s_waitcnt vmcnt(0)
	v_mov_b32_e32 v4, s11
	v_add_co_u32_e32 v0, vcc, s10, v0
	v_addc_co_u32_e32 v1, vcc, v4, v1, vcc
	v_cmp_lt_i16_e64 s[0:1], s43, 11
	s_and_b64 vcc, exec, s[0:1]
	s_cbranch_vccnz .LBB30_264
; %bb.255:
	v_cmp_gt_i16_e64 s[0:1], s43, 25
	s_and_b64 vcc, exec, s[0:1]
	s_cbranch_vccz .LBB30_273
; %bb.256:
	v_cmp_gt_i16_e64 s[0:1], s43, 28
	s_and_b64 vcc, exec, s[0:1]
	s_cbranch_vccz .LBB30_275
	;; [unrolled: 4-line block ×4, first 2 shown]
; %bb.259:
	v_cmp_eq_u16_e64 s[0:1], s43, 46
	s_mov_b64 s[20:21], 0
	s_and_b64 vcc, exec, s[0:1]
	s_cbranch_vccz .LBB30_285
; %bb.260:
	global_load_dword v4, v[0:1], off
	s_mov_b64 s[0:1], -1
	s_mov_b64 s[18:19], 0
	s_branch .LBB30_286
.LBB30_261:
	s_or_b64 exec, exec, s[16:17]
	s_mov_b64 s[16:17], 0
	s_and_saveexec_b64 s[18:19], s[14:15]
	s_cbranch_execnz .LBB30_861
.LBB30_262:
	s_or_b64 exec, exec, s[18:19]
	s_and_saveexec_b64 s[14:15], s[20:21]
	s_xor_b64 s[14:15], exec, s[14:15]
	s_cbranch_execz .LBB30_862
.LBB30_263:
	global_load_ubyte v4, v[0:1], off
	s_or_b64 s[0:1], s[0:1], exec
	s_waitcnt vmcnt(0)
	v_cmp_ne_u16_e32 vcc, 0, v4
	v_cndmask_b32_e64 v4, 0, 1.0, vcc
	v_lshrrev_b32_e32 v6, 16, v4
	s_or_b64 exec, exec, s[14:15]
	s_and_saveexec_b64 s[14:15], s[22:23]
	s_cbranch_execz .LBB30_908
	s_branch .LBB30_863
.LBB30_264:
	s_mov_b64 s[0:1], 0
                                        ; implicit-def: $vgpr4
	s_mov_b64 s[18:19], s[14:15]
	s_cbranch_execnz .LBB30_463
.LBB30_265:
	s_andn2_b64 vcc, exec, s[0:1]
	s_cbranch_vccnz .LBB30_511
.LBB30_266:
	s_waitcnt vmcnt(0)
	v_lshlrev_b32_e32 v0, 16, v4
	v_cmp_nle_f32_e32 vcc, v3, v0
	v_cmp_nge_f32_e64 s[0:1], s44, v0
	s_or_b64 vcc, s[0:1], vcc
	v_mul_lo_u32 v0, v2, s2
	v_cndmask_b32_e32 v4, 0, v4, vcc
	v_ashrrev_i32_e32 v1, 31, v0
	v_mov_b32_e32 v5, s9
	v_add_co_u32_e32 v0, vcc, s8, v0
	v_addc_co_u32_e32 v1, vcc, v5, v1, vcc
	v_mov_b32_e32 v5, 11
	v_cmp_lt_i16_sdwa s[0:1], s33, v5 src0_sel:BYTE_0 src1_sel:DWORD
	s_and_b64 vcc, exec, s[0:1]
	s_cbranch_vccnz .LBB30_274
; %bb.267:
	v_mov_b32_e32 v5, 25
	v_cmp_gt_i16_sdwa s[0:1], s33, v5 src0_sel:BYTE_0 src1_sel:DWORD
	s_and_b64 vcc, exec, s[0:1]
	s_cbranch_vccz .LBB30_276
; %bb.268:
	v_mov_b32_e32 v5, 28
	v_cmp_gt_i16_sdwa s[0:1], s33, v5 src0_sel:BYTE_0 src1_sel:DWORD
	s_and_b64 vcc, exec, s[0:1]
	s_cbranch_vccz .LBB30_278
	;; [unrolled: 5-line block ×4, first 2 shown]
; %bb.271:
	v_mov_b32_e32 v5, 46
	v_cmp_eq_u16_sdwa s[20:21], s33, v5 src0_sel:BYTE_0 src1_sel:DWORD
	s_mov_b64 s[24:25], 0
	s_mov_b64 s[0:1], -1
	s_and_b64 vcc, exec, s[20:21]
	s_mov_b64 s[20:21], 0
	s_cbranch_vccz .LBB30_290
; %bb.272:
	v_and_b32_e32 v5, 0xffff, v4
	global_store_dword v[0:1], v5, off
	s_mov_b64 s[20:21], -1
	s_mov_b64 s[0:1], 0
	s_branch .LBB30_290
.LBB30_273:
	s_mov_b64 s[20:21], -1
	s_mov_b64 s[0:1], 0
	s_mov_b64 s[18:19], s[14:15]
                                        ; implicit-def: $vgpr4
	s_branch .LBB30_427
.LBB30_274:
	s_mov_b64 s[24:25], -1
	s_mov_b64 s[20:21], 0
	s_mov_b64 s[0:1], s[12:13]
	s_branch .LBB30_359
.LBB30_275:
	s_mov_b64 s[20:21], -1
	s_mov_b64 s[0:1], 0
	s_mov_b64 s[18:19], s[14:15]
                                        ; implicit-def: $vgpr4
	s_branch .LBB30_408
.LBB30_276:
	s_mov_b64 s[24:25], -1
	s_mov_b64 s[20:21], 0
	s_mov_b64 s[0:1], s[12:13]
	s_branch .LBB30_317
.LBB30_277:
	s_mov_b64 s[20:21], -1
	s_mov_b64 s[0:1], 0
	s_mov_b64 s[18:19], s[14:15]
                                        ; implicit-def: $vgpr4
	s_branch .LBB30_403
.LBB30_278:
	s_mov_b64 s[24:25], -1
	s_mov_b64 s[20:21], 0
	s_mov_b64 s[0:1], s[12:13]
	s_branch .LBB30_300
.LBB30_279:
	s_or_saveexec_b64 s[22:23], s[22:23]
                                        ; implicit-def: $sgpr24
	s_xor_b64 exec, exec, s[22:23]
	s_cbranch_execz .LBB30_55
.LBB30_280:
	s_mov_b32 s24, 0x46000000
	v_add_f32_e64 v6, |v7|, s24
	v_and_b32_e32 v6, 0xff, v6
	v_cmp_ne_u32_e32 vcc, 0, v6
	s_andn2_b64 s[18:19], s[18:19], exec
	s_and_b64 s[26:27], vcc, exec
	s_mov_b32 s24, 0
	s_or_b64 s[18:19], s[18:19], s[26:27]
	s_or_b64 exec, exec, s[22:23]
	v_mov_b32_e32 v8, s24
	s_and_saveexec_b64 s[22:23], s[18:19]
	s_cbranch_execnz .LBB30_56
	s_branch .LBB30_57
.LBB30_281:
	s_mov_b64 s[20:21], -1
	s_mov_b64 s[0:1], 0
	s_mov_b64 s[18:19], s[14:15]
                                        ; implicit-def: $vgpr4
	s_branch .LBB30_286
.LBB30_282:
	s_mov_b64 s[24:25], -1
	s_mov_b64 s[20:21], 0
	s_mov_b64 s[0:1], s[12:13]
	s_branch .LBB30_296
.LBB30_283:
	s_or_saveexec_b64 s[22:23], s[22:23]
                                        ; implicit-def: $sgpr24
	s_xor_b64 exec, exec, s[22:23]
	s_cbranch_execz .LBB30_68
.LBB30_284:
	s_mov_b32 s24, 0x42800000
	v_add_f32_e64 v6, |v7|, s24
	v_and_b32_e32 v6, 0xff, v6
	v_cmp_ne_u32_e32 vcc, 0, v6
	s_andn2_b64 s[18:19], s[18:19], exec
	s_and_b64 s[26:27], vcc, exec
	s_mov_b32 s24, 0
	s_or_b64 s[18:19], s[18:19], s[26:27]
	s_or_b64 exec, exec, s[22:23]
	v_mov_b32_e32 v8, s24
	s_and_saveexec_b64 s[22:23], s[18:19]
	s_cbranch_execnz .LBB30_69
	s_branch .LBB30_70
.LBB30_285:
	s_mov_b64 s[18:19], -1
                                        ; implicit-def: $vgpr4
	s_mov_b64 s[0:1], 0
.LBB30_286:
	s_and_b64 vcc, exec, s[20:21]
	s_cbranch_vccz .LBB30_402
; %bb.287:
	v_cmp_eq_u16_e64 s[18:19], s43, 44
	s_and_b64 vcc, exec, s[18:19]
	s_cbranch_vccz .LBB30_401
; %bb.288:
	global_load_ubyte v4, v[0:1], off
	s_movk_i32 s18, 0xff
	v_mov_b32_e32 v5, 0x7f800001
	v_mov_b32_e32 v6, 0x400000
	v_mov_b32_e32 v7, 0x7fc0
	s_mov_b64 s[0:1], -1
	s_waitcnt vmcnt(0)
	v_lshlrev_b32_e32 v8, 23, v4
	v_cmp_ne_u32_e32 vcc, s18, v4
	v_cndmask_b32_e32 v5, v5, v8, vcc
	v_cmp_ne_u32_e32 vcc, 0, v4
	v_cndmask_b32_e32 v4, v6, v5, vcc
	v_add_u32_e32 v5, 0x7fff, v4
	v_lshrrev_b32_e32 v5, 16, v5
	v_cmp_o_f32_e32 vcc, v4, v4
	v_cndmask_b32_e32 v4, v7, v5, vcc
	s_mov_b64 s[18:19], 0
	s_branch .LBB30_402
.LBB30_289:
	s_mov_b64 s[24:25], -1
	s_mov_b64 s[20:21], 0
	s_mov_b64 s[0:1], s[12:13]
.LBB30_290:
	s_and_b64 vcc, exec, s[24:25]
	s_cbranch_vccz .LBB30_295
; %bb.291:
	v_mov_b32_e32 v5, 44
	v_cmp_eq_u16_sdwa s[24:25], s33, v5 src0_sel:BYTE_0 src1_sel:DWORD
	s_mov_b64 s[0:1], -1
	s_and_b64 vcc, exec, s[24:25]
	s_cbranch_vccz .LBB30_295
; %bb.292:
	v_and_b32_e32 v6, 0xffff, v4
	v_bfe_u32 v5, v6, 7, 8
	s_movk_i32 s0, 0xff
	v_cmp_ne_u32_e32 vcc, s0, v5
	v_mov_b32_e32 v7, 0xff
	s_and_saveexec_b64 s[20:21], vcc
; %bb.293:
	v_lshlrev_b32_e32 v8, 16, v6
	s_mov_b32 s0, 0x3f0000
	v_lshrrev_b32_e32 v7, 7, v6
	v_and_b32_e32 v6, 64, v6
	v_and_or_b32 v5, v8, s0, v5
	v_cmp_ne_u32_e32 vcc, 0, v6
	v_cmp_ne_u32_e64 s[0:1], 0, v5
	s_and_b64 s[0:1], vcc, s[0:1]
	v_cndmask_b32_e64 v5, 0, 1, s[0:1]
	v_add_u32_e32 v7, v7, v5
; %bb.294:
	s_or_b64 exec, exec, s[20:21]
	s_mov_b64 s[20:21], -1
	s_mov_b64 s[0:1], 0
	global_store_byte v[0:1], v7, off
.LBB30_295:
	s_mov_b64 s[24:25], 0
.LBB30_296:
	s_and_b64 vcc, exec, s[24:25]
	s_cbranch_vccz .LBB30_299
; %bb.297:
	v_mov_b32_e32 v5, 29
	v_cmp_eq_u16_sdwa s[24:25], s33, v5 src0_sel:BYTE_0 src1_sel:DWORD
	s_mov_b64 s[0:1], -1
	s_and_b64 vcc, exec, s[24:25]
	s_cbranch_vccz .LBB30_299
; %bb.298:
	v_lshlrev_b32_e32 v5, 16, v4
	v_trunc_f32_e32 v5, v5
	v_mul_f32_e32 v6, 0x2f800000, v5
	v_floor_f32_e32 v6, v6
	v_fmac_f32_e32 v5, 0xcf800000, v6
	v_cvt_u32_f32_e32 v7, v6
	v_cvt_u32_f32_e32 v6, v5
	s_mov_b64 s[20:21], -1
	s_mov_b64 s[0:1], 0
	s_mov_b64 s[24:25], 0
	global_store_dwordx2 v[0:1], v[6:7], off
	s_branch .LBB30_300
.LBB30_299:
	s_mov_b64 s[24:25], 0
.LBB30_300:
	s_and_b64 vcc, exec, s[24:25]
	s_cbranch_vccz .LBB30_316
; %bb.301:
	v_mov_b32_e32 v5, 27
	v_cmp_lt_i16_sdwa s[24:25], s33, v5 src0_sel:BYTE_0 src1_sel:DWORD
	s_mov_b64 s[20:21], -1
	s_and_b64 vcc, exec, s[24:25]
	s_cbranch_vccnz .LBB30_307
; %bb.302:
	v_cmp_gt_i16_sdwa s[24:25], s33, v5 src0_sel:BYTE_0 src1_sel:DWORD
	s_and_b64 vcc, exec, s[24:25]
	s_cbranch_vccz .LBB30_304
; %bb.303:
	v_lshlrev_b32_e32 v5, 16, v4
	v_cvt_u32_f32_e32 v5, v5
	s_mov_b64 s[20:21], 0
	global_store_dword v[0:1], v5, off
.LBB30_304:
	s_andn2_b64 vcc, exec, s[20:21]
	s_cbranch_vccnz .LBB30_306
; %bb.305:
	v_lshlrev_b32_e32 v5, 16, v4
	v_cvt_u32_f32_e32 v5, v5
	global_store_short v[0:1], v5, off
.LBB30_306:
	s_mov_b64 s[20:21], 0
.LBB30_307:
	s_andn2_b64 vcc, exec, s[20:21]
	s_cbranch_vccnz .LBB30_315
; %bb.308:
	v_lshlrev_b32_e32 v7, 16, v4
	v_and_b32_e32 v6, 0x7fffffff, v7
	s_mov_b32 s20, 0x43800000
	v_cmp_gt_u32_e32 vcc, s20, v6
	v_mov_b32_e32 v8, 0x80
	s_and_saveexec_b64 s[20:21], vcc
	s_cbranch_execz .LBB30_314
; %bb.309:
	s_mov_b32 s24, 0x3bffffff
	v_and_b32_e32 v5, 0xffff, v4
	v_cmp_lt_u32_e32 vcc, s24, v6
	s_mov_b64 s[24:25], 0
                                        ; implicit-def: $vgpr6
	s_and_saveexec_b64 s[26:27], vcc
	s_xor_b64 s[26:27], exec, s[26:27]
	s_cbranch_execz .LBB30_527
; %bb.310:
	v_bfe_u32 v6, v5, 4, 1
	s_mov_b32 s28, 0x487ffff
	v_add3_u32 v6, v7, v6, s28
	s_mov_b64 s[24:25], exec
	v_lshrrev_b32_e32 v6, 20, v6
                                        ; implicit-def: $vgpr7
	s_or_saveexec_b64 s[26:27], s[26:27]
                                        ; implicit-def: $sgpr28
	s_xor_b64 exec, exec, s[26:27]
	s_cbranch_execnz .LBB30_528
.LBB30_311:
	s_or_b64 exec, exec, s[26:27]
	v_mov_b32_e32 v8, s28
	s_and_saveexec_b64 s[26:27], s[24:25]
.LBB30_312:
	v_lshrrev_b32_e32 v5, 8, v5
	s_movk_i32 s24, 0x80
	v_and_or_b32 v8, v5, s24, v6
.LBB30_313:
	s_or_b64 exec, exec, s[26:27]
.LBB30_314:
	s_or_b64 exec, exec, s[20:21]
	global_store_byte v[0:1], v8, off
.LBB30_315:
	s_mov_b64 s[20:21], -1
.LBB30_316:
	s_mov_b64 s[24:25], 0
.LBB30_317:
	s_and_b64 vcc, exec, s[24:25]
	s_cbranch_vccz .LBB30_358
; %bb.318:
	v_mov_b32_e32 v5, 22
	v_cmp_gt_i16_sdwa s[26:27], s33, v5 src0_sel:BYTE_0 src1_sel:DWORD
	s_mov_b64 s[24:25], -1
	s_and_b64 vcc, exec, s[26:27]
	s_cbranch_vccz .LBB30_350
; %bb.319:
	v_mov_b32_e32 v5, 24
	v_cmp_lt_i16_sdwa s[24:25], s33, v5 src0_sel:BYTE_0 src1_sel:DWORD
	s_mov_b64 s[20:21], -1
	s_and_b64 vcc, exec, s[24:25]
	s_cbranch_vccnz .LBB30_339
; %bb.320:
	v_cmp_gt_i16_sdwa s[24:25], s33, v5 src0_sel:BYTE_0 src1_sel:DWORD
	s_and_b64 vcc, exec, s[24:25]
	s_cbranch_vccz .LBB30_328
; %bb.321:
	v_lshlrev_b32_e32 v7, 16, v4
	v_and_b32_e32 v6, 0x7fffffff, v7
	s_mov_b32 s20, 0x47800000
	v_cmp_gt_u32_e32 vcc, s20, v6
	v_mov_b32_e32 v8, 0x80
	s_and_saveexec_b64 s[20:21], vcc
	s_cbranch_execz .LBB30_327
; %bb.322:
	s_mov_b32 s24, 0x37ffffff
	v_and_b32_e32 v5, 0xffff, v4
	v_cmp_lt_u32_e32 vcc, s24, v6
	s_mov_b64 s[24:25], 0
                                        ; implicit-def: $vgpr6
	s_and_saveexec_b64 s[26:27], vcc
	s_xor_b64 s[26:27], exec, s[26:27]
	s_cbranch_execz .LBB30_530
; %bb.323:
	v_bfe_u32 v6, v5, 5, 1
	s_mov_b32 s28, 0x88fffff
	v_add3_u32 v6, v7, v6, s28
	s_mov_b64 s[24:25], exec
	v_lshrrev_b32_e32 v6, 21, v6
                                        ; implicit-def: $vgpr7
	s_or_saveexec_b64 s[26:27], s[26:27]
                                        ; implicit-def: $sgpr28
	s_xor_b64 exec, exec, s[26:27]
	s_cbranch_execnz .LBB30_531
.LBB30_324:
	s_or_b64 exec, exec, s[26:27]
	v_mov_b32_e32 v8, s28
	s_and_saveexec_b64 s[26:27], s[24:25]
.LBB30_325:
	v_lshrrev_b32_e32 v5, 8, v5
	s_movk_i32 s24, 0x80
	v_and_or_b32 v8, v5, s24, v6
.LBB30_326:
	s_or_b64 exec, exec, s[26:27]
.LBB30_327:
	s_or_b64 exec, exec, s[20:21]
	s_mov_b64 s[20:21], 0
	global_store_byte v[0:1], v8, off
.LBB30_328:
	s_and_b64 vcc, exec, s[20:21]
	s_cbranch_vccz .LBB30_338
; %bb.329:
	v_lshlrev_b32_e32 v7, 16, v4
	v_and_b32_e32 v8, 0x7fffffff, v7
	s_mov_b32 s20, 0x43f00000
	v_and_b32_e32 v5, 0xffff, v4
	v_cmp_gt_u32_e32 vcc, s20, v8
                                        ; implicit-def: $vgpr6
	s_and_saveexec_b64 s[20:21], vcc
	s_xor_b64 s[20:21], exec, s[20:21]
	s_cbranch_execz .LBB30_335
; %bb.330:
	s_mov_b32 s24, 0x3c7fffff
	v_cmp_lt_u32_e32 vcc, s24, v8
                                        ; implicit-def: $vgpr6
	s_and_saveexec_b64 s[24:25], vcc
	s_xor_b64 s[24:25], exec, s[24:25]
; %bb.331:
	v_bfe_u32 v6, v5, 4, 1
	s_mov_b32 s26, 0x407ffff
	v_add3_u32 v6, v7, v6, s26
	v_lshrrev_b32_e32 v7, 20, v6
	v_and_b32_e32 v6, 0xff00000, v6
	s_mov_b32 s26, 0x7f00000
	v_mov_b32_e32 v8, 0x7e
	v_cmp_ne_u32_e32 vcc, s26, v6
	v_cndmask_b32_e32 v6, v8, v7, vcc
                                        ; implicit-def: $vgpr7
; %bb.332:
	s_andn2_saveexec_b64 s[24:25], s[24:25]
; %bb.333:
	s_mov_b32 s26, 0x46800000
	v_add_f32_e64 v6, |v7|, s26
; %bb.334:
	s_or_b64 exec, exec, s[24:25]
                                        ; implicit-def: $vgpr8
.LBB30_335:
	s_andn2_saveexec_b64 s[20:21], s[20:21]
; %bb.336:
	s_mov_b32 s24, 0x7f800000
	v_mov_b32_e32 v6, 0x7e
	v_mov_b32_e32 v7, 0x7f
	v_cmp_lt_u32_e32 vcc, s24, v8
	v_cndmask_b32_e32 v6, v6, v7, vcc
; %bb.337:
	s_or_b64 exec, exec, s[20:21]
	v_lshrrev_b32_e32 v5, 8, v5
	s_movk_i32 s20, 0x80
	v_and_or_b32 v5, v5, s20, v6
	global_store_byte v[0:1], v5, off
.LBB30_338:
	s_mov_b64 s[20:21], 0
.LBB30_339:
	s_andn2_b64 vcc, exec, s[20:21]
	s_cbranch_vccnz .LBB30_349
; %bb.340:
	v_lshlrev_b32_e32 v7, 16, v4
	v_and_b32_e32 v8, 0x7fffffff, v7
	s_mov_b32 s20, 0x47800000
	v_and_b32_e32 v5, 0xffff, v4
	v_cmp_gt_u32_e32 vcc, s20, v8
                                        ; implicit-def: $vgpr6
	s_and_saveexec_b64 s[20:21], vcc
	s_xor_b64 s[20:21], exec, s[20:21]
	s_cbranch_execz .LBB30_346
; %bb.341:
	s_mov_b32 s24, 0x387fffff
	v_cmp_lt_u32_e32 vcc, s24, v8
                                        ; implicit-def: $vgpr6
	s_and_saveexec_b64 s[24:25], vcc
	s_xor_b64 s[24:25], exec, s[24:25]
; %bb.342:
	v_bfe_u32 v6, v5, 5, 1
	s_mov_b32 s26, 0x80fffff
	v_add3_u32 v6, v7, v6, s26
	v_lshrrev_b32_e32 v6, 21, v6
                                        ; implicit-def: $vgpr7
; %bb.343:
	s_andn2_saveexec_b64 s[24:25], s[24:25]
; %bb.344:
	s_mov_b32 s26, 0x43000000
	v_add_f32_e64 v6, |v7|, s26
; %bb.345:
	s_or_b64 exec, exec, s[24:25]
                                        ; implicit-def: $vgpr8
.LBB30_346:
	s_andn2_saveexec_b64 s[20:21], s[20:21]
; %bb.347:
	s_mov_b32 s24, 0x7f800000
	v_mov_b32_e32 v6, 0x7c
	v_mov_b32_e32 v7, 0x7f
	v_cmp_lt_u32_e32 vcc, s24, v8
	v_cndmask_b32_e32 v6, v6, v7, vcc
; %bb.348:
	s_or_b64 exec, exec, s[20:21]
	v_lshrrev_b32_e32 v5, 8, v5
	s_movk_i32 s20, 0x80
	v_and_or_b32 v5, v5, s20, v6
	global_store_byte v[0:1], v5, off
.LBB30_349:
	s_mov_b64 s[24:25], 0
	s_mov_b64 s[20:21], -1
.LBB30_350:
	s_andn2_b64 vcc, exec, s[24:25]
	s_cbranch_vccnz .LBB30_358
; %bb.351:
	v_mov_b32_e32 v5, 14
	v_cmp_gt_i16_sdwa s[26:27], s33, v5 src0_sel:BYTE_0 src1_sel:DWORD
	s_mov_b64 s[24:25], -1
	s_and_b64 vcc, exec, s[26:27]
	s_cbranch_vccz .LBB30_355
; %bb.352:
	v_mov_b32_e32 v5, 15
	v_cmp_eq_u16_sdwa s[24:25], s33, v5 src0_sel:BYTE_0 src1_sel:DWORD
	s_mov_b64 s[0:1], -1
	s_and_b64 vcc, exec, s[24:25]
	s_cbranch_vccz .LBB30_354
; %bb.353:
	global_store_short v[0:1], v4, off
	s_mov_b64 s[20:21], -1
	s_mov_b64 s[0:1], 0
.LBB30_354:
	s_mov_b64 s[24:25], 0
.LBB30_355:
	s_and_b64 vcc, exec, s[24:25]
	s_cbranch_vccz .LBB30_358
; %bb.356:
	v_mov_b32_e32 v5, 11
	v_cmp_eq_u16_sdwa s[24:25], s33, v5 src0_sel:BYTE_0 src1_sel:DWORD
	s_mov_b64 s[0:1], -1
	s_and_b64 vcc, exec, s[24:25]
	s_cbranch_vccz .LBB30_358
; %bb.357:
	v_and_b32_e32 v5, 0x7fff, v4
	v_cmp_ne_u16_e32 vcc, 0, v5
	v_cndmask_b32_e64 v5, 0, 1, vcc
	s_mov_b64 s[20:21], -1
	s_mov_b64 s[0:1], 0
	global_store_byte v[0:1], v5, off
.LBB30_358:
	s_mov_b64 s[24:25], 0
.LBB30_359:
	s_and_b64 vcc, exec, s[24:25]
	s_cbranch_vccz .LBB30_398
; %bb.360:
	v_mov_b32_e32 v5, 5
	v_cmp_lt_i16_sdwa s[24:25], s33, v5 src0_sel:BYTE_0 src1_sel:DWORD
	s_mov_b64 s[20:21], -1
	s_and_b64 vcc, exec, s[24:25]
	s_cbranch_vccnz .LBB30_381
; %bb.361:
	v_mov_b32_e32 v5, 8
	v_cmp_lt_i16_sdwa s[24:25], s33, v5 src0_sel:BYTE_0 src1_sel:DWORD
	s_and_b64 vcc, exec, s[24:25]
	s_cbranch_vccnz .LBB30_371
; %bb.362:
	v_mov_b32_e32 v5, 9
	v_cmp_lt_i16_sdwa s[24:25], s33, v5 src0_sel:BYTE_0 src1_sel:DWORD
	s_and_b64 vcc, exec, s[24:25]
	s_cbranch_vccnz .LBB30_368
; %bb.363:
	v_cmp_gt_i16_sdwa s[24:25], s33, v5 src0_sel:BYTE_0 src1_sel:DWORD
	s_and_b64 vcc, exec, s[24:25]
	s_cbranch_vccz .LBB30_365
; %bb.364:
	v_lshlrev_b32_e32 v5, 16, v4
	v_mov_b32_e32 v8, 0
	v_cvt_f64_f32_e32 v[6:7], v5
	v_mov_b32_e32 v9, v8
	s_mov_b64 s[20:21], 0
	global_store_dwordx4 v[0:1], v[6:9], off
.LBB30_365:
	s_andn2_b64 vcc, exec, s[20:21]
	s_cbranch_vccnz .LBB30_367
; %bb.366:
	v_lshlrev_b32_e32 v6, 16, v4
	v_mov_b32_e32 v7, 0
	global_store_dwordx2 v[0:1], v[6:7], off
.LBB30_367:
	s_mov_b64 s[20:21], 0
.LBB30_368:
	s_andn2_b64 vcc, exec, s[20:21]
	s_cbranch_vccnz .LBB30_370
; %bb.369:
	v_lshlrev_b32_e32 v5, 16, v4
	v_cvt_f16_f32_e32 v5, v5
	global_store_dword v[0:1], v5, off
.LBB30_370:
	s_mov_b64 s[20:21], 0
.LBB30_371:
	s_andn2_b64 vcc, exec, s[20:21]
	s_cbranch_vccnz .LBB30_380
; %bb.372:
	v_mov_b32_e32 v5, 6
	v_cmp_lt_i16_sdwa s[24:25], s33, v5 src0_sel:BYTE_0 src1_sel:DWORD
	s_mov_b64 s[20:21], -1
	s_and_b64 vcc, exec, s[24:25]
	s_cbranch_vccnz .LBB30_378
; %bb.373:
	v_cmp_gt_i16_sdwa s[24:25], s33, v5 src0_sel:BYTE_0 src1_sel:DWORD
	s_and_b64 vcc, exec, s[24:25]
	s_cbranch_vccz .LBB30_375
; %bb.374:
	v_lshlrev_b32_e32 v5, 16, v4
	v_cvt_f64_f32_e32 v[6:7], v5
	s_mov_b64 s[20:21], 0
	global_store_dwordx2 v[0:1], v[6:7], off
.LBB30_375:
	s_andn2_b64 vcc, exec, s[20:21]
	s_cbranch_vccnz .LBB30_377
; %bb.376:
	v_lshlrev_b32_e32 v5, 16, v4
	global_store_dword v[0:1], v5, off
.LBB30_377:
	s_mov_b64 s[20:21], 0
.LBB30_378:
	s_andn2_b64 vcc, exec, s[20:21]
	s_cbranch_vccnz .LBB30_380
; %bb.379:
	v_lshlrev_b32_e32 v5, 16, v4
	v_cvt_f16_f32_e32 v5, v5
	global_store_short v[0:1], v5, off
.LBB30_380:
	s_mov_b64 s[20:21], 0
.LBB30_381:
	s_andn2_b64 vcc, exec, s[20:21]
	s_cbranch_vccnz .LBB30_397
; %bb.382:
	v_mov_b32_e32 v5, 2
	v_cmp_lt_i16_sdwa s[24:25], s33, v5 src0_sel:BYTE_0 src1_sel:DWORD
	s_mov_b64 s[20:21], -1
	s_and_b64 vcc, exec, s[24:25]
	s_cbranch_vccnz .LBB30_392
; %bb.383:
	v_mov_b32_e32 v5, 3
	v_cmp_lt_i16_sdwa s[24:25], s33, v5 src0_sel:BYTE_0 src1_sel:DWORD
	s_and_b64 vcc, exec, s[24:25]
	s_cbranch_vccnz .LBB30_389
; %bb.384:
	v_cmp_gt_i16_sdwa s[24:25], s33, v5 src0_sel:BYTE_0 src1_sel:DWORD
	s_and_b64 vcc, exec, s[24:25]
	s_cbranch_vccz .LBB30_386
; %bb.385:
	v_lshlrev_b32_e32 v5, 16, v4
	v_trunc_f32_e32 v5, v5
	s_mov_b32 s20, 0x2f800000
	v_mul_f32_e64 v6, |v5|, s20
	v_floor_f32_e32 v6, v6
	s_mov_b32 s20, 0xcf800000
	v_cvt_u32_f32_e32 v7, v6
	v_fma_f32 v6, v6, s20, |v5|
	v_cvt_u32_f32_e32 v6, v6
	v_ashrrev_i32_e32 v5, 31, v5
	v_xor_b32_e32 v7, v7, v5
	s_mov_b64 s[20:21], 0
	v_xor_b32_e32 v6, v6, v5
	v_sub_co_u32_e32 v6, vcc, v6, v5
	v_subb_co_u32_e32 v7, vcc, v7, v5, vcc
	global_store_dwordx2 v[0:1], v[6:7], off
.LBB30_386:
	s_andn2_b64 vcc, exec, s[20:21]
	s_cbranch_vccnz .LBB30_388
; %bb.387:
	v_lshlrev_b32_e32 v5, 16, v4
	v_cvt_i32_f32_e32 v5, v5
	global_store_dword v[0:1], v5, off
.LBB30_388:
	s_mov_b64 s[20:21], 0
.LBB30_389:
	s_andn2_b64 vcc, exec, s[20:21]
	s_cbranch_vccnz .LBB30_391
; %bb.390:
	v_lshlrev_b32_e32 v5, 16, v4
	v_cvt_i32_f32_e32 v5, v5
	global_store_short v[0:1], v5, off
.LBB30_391:
	s_mov_b64 s[20:21], 0
.LBB30_392:
	s_andn2_b64 vcc, exec, s[20:21]
	s_cbranch_vccnz .LBB30_397
; %bb.393:
	v_mov_b32_e32 v5, 0
	v_cmp_gt_i16_sdwa s[24:25], s33, v5 src0_sel:BYTE_0 src1_sel:DWORD
	s_mov_b64 s[20:21], -1
	s_and_b64 vcc, exec, s[24:25]
	v_lshlrev_b32_e32 v4, 16, v4
	s_cbranch_vccz .LBB30_395
; %bb.394:
	v_cvt_i32_f32_e32 v5, v4
	s_mov_b64 s[20:21], 0
	global_store_byte v[0:1], v5, off
.LBB30_395:
	s_andn2_b64 vcc, exec, s[20:21]
	s_cbranch_vccnz .LBB30_397
; %bb.396:
	v_trunc_f32_e32 v4, v4
	s_mov_b32 s20, 0x2f800000
	v_mul_f32_e64 v5, |v4|, s20
	v_floor_f32_e32 v5, v5
	s_mov_b32 s20, 0xcf800000
	v_fma_f32 v5, v5, s20, |v4|
	v_cvt_u32_f32_e32 v5, v5
	v_ashrrev_i32_e32 v4, 31, v4
	v_xor_b32_e32 v5, v5, v4
	v_sub_u32_e32 v4, v5, v4
	global_store_byte v[0:1], v4, off
.LBB30_397:
	s_mov_b64 s[20:21], -1
.LBB30_398:
	s_andn2_b64 vcc, exec, s[20:21]
	s_cbranch_vccnz .LBB30_400
; %bb.399:
	v_add_u32_e32 v2, 0x80, v2
	s_mov_b64 s[24:25], -1
	s_branch .LBB30_513
.LBB30_400:
	s_mov_b64 s[24:25], 0
	s_branch .LBB30_512
.LBB30_401:
	s_mov_b64 s[18:19], -1
                                        ; implicit-def: $vgpr4
.LBB30_402:
	s_mov_b64 s[20:21], 0
.LBB30_403:
	s_and_b64 vcc, exec, s[20:21]
	s_cbranch_vccz .LBB30_407
; %bb.404:
	v_cmp_eq_u16_e64 s[18:19], s43, 29
	s_and_b64 vcc, exec, s[18:19]
	s_cbranch_vccz .LBB30_406
; %bb.405:
	global_load_dwordx2 v[4:5], v[0:1], off
	s_movk_i32 s18, 0x7fff
	s_mov_b64 s[0:1], -1
	s_mov_b64 s[20:21], 0
	s_waitcnt vmcnt(0)
	v_ffbh_u32_e32 v6, v5
	v_min_u32_e32 v6, 32, v6
	v_lshlrev_b64 v[4:5], v6, v[4:5]
	v_min_u32_e32 v4, 1, v4
	v_or_b32_e32 v4, v5, v4
	v_cvt_f32_u32_e32 v4, v4
	v_sub_u32_e32 v5, 32, v6
	v_ldexp_f32 v4, v4, v5
	v_bfe_u32 v5, v4, 16, 1
	v_add3_u32 v4, v4, v5, s18
	v_lshrrev_b32_e32 v4, 16, v4
	s_mov_b64 s[18:19], 0
	s_branch .LBB30_408
.LBB30_406:
	s_mov_b64 s[18:19], -1
                                        ; implicit-def: $vgpr4
.LBB30_407:
	s_mov_b64 s[20:21], 0
.LBB30_408:
	s_and_b64 vcc, exec, s[20:21]
	s_cbranch_vccz .LBB30_426
; %bb.409:
	v_cmp_lt_i16_e64 s[0:1], s43, 27
	s_and_b64 vcc, exec, s[0:1]
	s_cbranch_vccnz .LBB30_412
; %bb.410:
	v_cmp_gt_i16_e64 s[0:1], s43, 27
	s_and_b64 vcc, exec, s[0:1]
	s_cbranch_vccz .LBB30_413
; %bb.411:
	global_load_dword v4, v[0:1], off
	s_movk_i32 s0, 0x7fff
	s_waitcnt vmcnt(0)
	v_cvt_f32_u32_e32 v4, v4
	v_bfe_u32 v5, v4, 16, 1
	v_add3_u32 v4, v4, v5, s0
	v_lshrrev_b32_e32 v4, 16, v4
	s_mov_b64 s[0:1], 0
	s_branch .LBB30_414
.LBB30_412:
	s_mov_b64 s[0:1], -1
                                        ; implicit-def: $vgpr4
	s_branch .LBB30_417
.LBB30_413:
	s_mov_b64 s[0:1], -1
                                        ; implicit-def: $vgpr4
.LBB30_414:
	s_andn2_b64 vcc, exec, s[0:1]
	s_cbranch_vccnz .LBB30_416
; %bb.415:
	global_load_ushort v4, v[0:1], off
	s_movk_i32 s0, 0x7fff
	s_waitcnt vmcnt(0)
	v_cvt_f32_u32_e32 v4, v4
	v_bfe_u32 v5, v4, 16, 1
	v_add3_u32 v4, v4, v5, s0
	v_lshrrev_b32_e32 v4, 16, v4
.LBB30_416:
	s_mov_b64 s[0:1], 0
.LBB30_417:
	s_andn2_b64 vcc, exec, s[0:1]
	s_cbranch_vccnz .LBB30_425
; %bb.418:
	global_load_ubyte v4, v[0:1], off
	s_movk_i32 s0, 0x7f
                                        ; implicit-def: $sgpr26
	s_waitcnt vmcnt(0)
	v_cmp_lt_i16_e32 vcc, s0, v4
	s_mov_b64 s[0:1], 0
	s_and_saveexec_b64 s[20:21], vcc
	s_xor_b64 s[20:21], exec, s[20:21]
	s_cbranch_execz .LBB30_439
; %bb.419:
	s_movk_i32 s0, 0x80
	v_cmp_eq_u16_e32 vcc, s0, v4
	s_mov_b64 s[0:1], -1
                                        ; implicit-def: $sgpr26
	s_and_saveexec_b64 s[24:25], vcc
; %bb.420:
	s_mov_b32 s26, 0x7f800001
	s_xor_b64 s[0:1], exec, -1
; %bb.421:
	s_or_b64 exec, exec, s[24:25]
	s_and_b64 s[0:1], s[0:1], exec
	s_or_saveexec_b64 s[20:21], s[20:21]
	v_mov_b32_e32 v5, s26
	s_xor_b64 exec, exec, s[20:21]
	s_cbranch_execnz .LBB30_440
.LBB30_422:
	s_or_b64 exec, exec, s[20:21]
	s_and_saveexec_b64 s[20:21], s[0:1]
	s_cbranch_execz .LBB30_424
.LBB30_423:
	v_lshlrev_b32_e32 v5, 24, v4
	v_and_b32_e32 v4, 0xffff, v4
	v_and_b32_e32 v6, 7, v4
	v_ffbh_u32_e32 v8, v6
	v_min_u32_e32 v8, 32, v8
	v_subrev_u32_e32 v9, 28, v8
	v_bfe_u32 v7, v4, 3, 4
	v_lshlrev_b32_e32 v4, v9, v4
	v_sub_u32_e32 v8, 29, v8
	v_and_b32_e32 v4, 7, v4
	v_cmp_eq_u32_e32 vcc, 0, v7
	v_cndmask_b32_e32 v7, v7, v8, vcc
	v_cndmask_b32_e32 v4, v6, v4, vcc
	v_mov_b32_e32 v6, 0x3b800000
	v_lshlrev_b32_e32 v4, 20, v4
	v_and_b32_e32 v5, 0x80000000, v5
	v_lshl_add_u32 v6, v7, 23, v6
	v_or3_b32 v5, v5, v6, v4
.LBB30_424:
	s_or_b64 exec, exec, s[20:21]
	v_bfe_u32 v4, v5, 16, 1
	s_movk_i32 s0, 0x7fff
	v_add3_u32 v4, v5, v4, s0
	v_lshrrev_b32_e32 v4, 16, v4
	v_mov_b32_e32 v6, 0x7fc0
	v_cmp_o_f32_e32 vcc, v5, v5
	v_cndmask_b32_e32 v4, v6, v4, vcc
.LBB30_425:
	s_mov_b64 s[0:1], -1
.LBB30_426:
	s_mov_b64 s[20:21], 0
.LBB30_427:
	s_and_b64 vcc, exec, s[20:21]
	s_cbranch_vccz .LBB30_462
; %bb.428:
	v_cmp_gt_i16_e64 s[20:21], s43, 22
	s_and_b64 vcc, exec, s[20:21]
	s_cbranch_vccz .LBB30_438
; %bb.429:
	v_cmp_lt_i16_e64 s[0:1], s43, 24
	s_and_b64 vcc, exec, s[0:1]
	s_cbranch_vccnz .LBB30_441
; %bb.430:
	v_cmp_gt_i16_e64 s[0:1], s43, 24
	s_and_b64 vcc, exec, s[0:1]
	s_cbranch_vccz .LBB30_442
; %bb.431:
	global_load_ubyte v4, v[0:1], off
	s_movk_i32 s0, 0x7f
                                        ; implicit-def: $sgpr26
	s_waitcnt vmcnt(0)
	v_cmp_lt_i16_e32 vcc, s0, v4
	s_mov_b64 s[0:1], 0
	s_and_saveexec_b64 s[20:21], vcc
	s_xor_b64 s[20:21], exec, s[20:21]
	s_cbranch_execz .LBB30_454
; %bb.432:
	s_movk_i32 s0, 0x80
	v_cmp_eq_u16_e32 vcc, s0, v4
	s_mov_b64 s[0:1], -1
                                        ; implicit-def: $sgpr26
	s_and_saveexec_b64 s[24:25], vcc
; %bb.433:
	s_mov_b32 s26, 0x7f800001
	s_xor_b64 s[0:1], exec, -1
; %bb.434:
	s_or_b64 exec, exec, s[24:25]
	s_and_b64 s[0:1], s[0:1], exec
	s_or_saveexec_b64 s[20:21], s[20:21]
	v_mov_b32_e32 v5, s26
	s_xor_b64 exec, exec, s[20:21]
	s_cbranch_execnz .LBB30_455
.LBB30_435:
	s_or_b64 exec, exec, s[20:21]
	s_and_saveexec_b64 s[20:21], s[0:1]
	s_cbranch_execz .LBB30_437
.LBB30_436:
	v_lshlrev_b32_e32 v5, 24, v4
	v_and_b32_e32 v4, 0xffff, v4
	v_and_b32_e32 v6, 3, v4
	v_ffbh_u32_e32 v8, v6
	v_min_u32_e32 v8, 32, v8
	v_subrev_u32_e32 v9, 29, v8
	v_bfe_u32 v7, v4, 2, 5
	v_lshlrev_b32_e32 v4, v9, v4
	v_sub_u32_e32 v8, 30, v8
	v_and_b32_e32 v4, 3, v4
	v_cmp_eq_u32_e32 vcc, 0, v7
	v_cndmask_b32_e32 v7, v7, v8, vcc
	v_cndmask_b32_e32 v4, v6, v4, vcc
	v_mov_b32_e32 v6, 0x37800000
	v_lshlrev_b32_e32 v4, 21, v4
	v_and_b32_e32 v5, 0x80000000, v5
	v_lshl_add_u32 v6, v7, 23, v6
	v_or3_b32 v5, v5, v6, v4
.LBB30_437:
	s_or_b64 exec, exec, s[20:21]
	v_bfe_u32 v4, v5, 16, 1
	s_movk_i32 s0, 0x7fff
	v_add3_u32 v4, v5, v4, s0
	v_lshrrev_b32_e32 v4, 16, v4
	v_mov_b32_e32 v6, 0x7fc0
	v_cmp_o_f32_e32 vcc, v5, v5
	v_cndmask_b32_e32 v4, v6, v4, vcc
	s_mov_b64 s[0:1], 0
	s_branch .LBB30_443
.LBB30_438:
	s_mov_b64 s[20:21], -1
                                        ; implicit-def: $vgpr4
	s_branch .LBB30_449
.LBB30_439:
	s_or_saveexec_b64 s[20:21], s[20:21]
	v_mov_b32_e32 v5, s26
	s_xor_b64 exec, exec, s[20:21]
	s_cbranch_execz .LBB30_422
.LBB30_440:
	v_cmp_ne_u16_e32 vcc, 0, v4
	s_andn2_b64 s[0:1], s[0:1], exec
	s_and_b64 s[24:25], vcc, exec
	v_mov_b32_e32 v5, 0
	s_or_b64 s[0:1], s[0:1], s[24:25]
	s_or_b64 exec, exec, s[20:21]
	s_and_saveexec_b64 s[20:21], s[0:1]
	s_cbranch_execnz .LBB30_423
	s_branch .LBB30_424
.LBB30_441:
	s_mov_b64 s[0:1], -1
                                        ; implicit-def: $vgpr4
	s_branch .LBB30_446
.LBB30_442:
	s_mov_b64 s[0:1], -1
                                        ; implicit-def: $vgpr4
.LBB30_443:
	s_and_b64 vcc, exec, s[0:1]
	s_cbranch_vccz .LBB30_445
; %bb.444:
	global_load_ubyte v4, v[0:1], off
	s_mov_b32 s0, 0x7f800000
	s_brev_b32 s1, 1
	s_movk_i32 s20, 0x7fff
	v_mov_b32_e32 v5, 0x7fc0
	s_waitcnt vmcnt(0)
	v_lshlrev_b32_e32 v4, 24, v4
	v_and_b32_e32 v6, 0x7f000000, v4
	v_ffbh_u32_e32 v7, v6
	v_min_u32_e32 v7, 32, v7
	v_sub_u32_e64 v7, v7, 4 clamp
	v_lshlrev_b32_e32 v9, v7, v6
	v_lshlrev_b32_e32 v7, 23, v7
	v_lshrrev_b32_e32 v9, 4, v9
	v_add_u32_e32 v8, 0x1000000, v6
	v_sub_u32_e32 v7, v9, v7
	v_ashrrev_i32_e32 v8, 8, v8
	v_add_u32_e32 v7, 0x3c000000, v7
	v_and_or_b32 v7, v8, s0, v7
	v_cmp_ne_u32_e32 vcc, 0, v6
	v_cndmask_b32_e32 v6, 0, v7, vcc
	v_and_or_b32 v4, v4, s1, v6
	v_bfe_u32 v6, v6, 16, 1
	v_add3_u32 v6, v4, v6, s20
	v_lshrrev_b32_e32 v6, 16, v6
	v_cmp_o_f32_e32 vcc, v4, v4
	v_cndmask_b32_e32 v4, v5, v6, vcc
.LBB30_445:
	s_mov_b64 s[0:1], 0
.LBB30_446:
	s_andn2_b64 vcc, exec, s[0:1]
	s_cbranch_vccnz .LBB30_448
; %bb.447:
	global_load_ubyte v4, v[0:1], off
	s_movk_i32 s0, 0x7f00
	s_brev_b32 s1, 16
	s_brev_b32 s20, 1
	s_movk_i32 s21, 0x7fff
	v_mov_b32_e32 v5, 0x7fc0
	s_waitcnt vmcnt(0)
	v_lshlrev_b16_e32 v6, 8, v4
	v_lshlrev_b32_e32 v4, 25, v4
	v_lshrrev_b32_e32 v7, 4, v4
	v_and_or_b32 v8, v6, s0, 0.5
	v_or_b32_e32 v7, 0x70000000, v7
	v_add_f32_e32 v8, -0.5, v8
	v_mul_f32_e32 v7, 0x7800000, v7
	v_cmp_gt_u32_e32 vcc, s1, v4
	v_bfe_i32 v6, v6, 0, 16
	v_cndmask_b32_e32 v4, v7, v8, vcc
	v_and_or_b32 v6, v6, s20, v4
	v_bfe_u32 v4, v4, 16, 1
	v_add3_u32 v4, v6, v4, s21
	v_lshrrev_b32_e32 v4, 16, v4
	v_cmp_o_f32_e32 vcc, v6, v6
	v_cndmask_b32_e32 v4, v5, v4, vcc
.LBB30_448:
	s_mov_b64 s[20:21], 0
	s_mov_b64 s[0:1], -1
.LBB30_449:
	s_andn2_b64 vcc, exec, s[20:21]
	s_cbranch_vccnz .LBB30_462
; %bb.450:
	v_cmp_gt_i16_e64 s[20:21], s43, 14
	s_and_b64 vcc, exec, s[20:21]
	s_cbranch_vccz .LBB30_453
; %bb.451:
	v_cmp_eq_u16_e64 s[18:19], s43, 15
	s_and_b64 vcc, exec, s[18:19]
	s_cbranch_vccz .LBB30_456
; %bb.452:
	global_load_ushort v4, v[0:1], off
	s_mov_b64 s[0:1], -1
	s_mov_b64 s[18:19], 0
	s_branch .LBB30_457
.LBB30_453:
	s_mov_b64 s[20:21], -1
                                        ; implicit-def: $vgpr4
	s_branch .LBB30_458
.LBB30_454:
	s_or_saveexec_b64 s[20:21], s[20:21]
	v_mov_b32_e32 v5, s26
	s_xor_b64 exec, exec, s[20:21]
	s_cbranch_execz .LBB30_435
.LBB30_455:
	v_cmp_ne_u16_e32 vcc, 0, v4
	s_andn2_b64 s[0:1], s[0:1], exec
	s_and_b64 s[24:25], vcc, exec
	v_mov_b32_e32 v5, 0
	s_or_b64 s[0:1], s[0:1], s[24:25]
	s_or_b64 exec, exec, s[20:21]
	s_and_saveexec_b64 s[20:21], s[0:1]
	s_cbranch_execnz .LBB30_436
	s_branch .LBB30_437
.LBB30_456:
	s_mov_b64 s[18:19], -1
                                        ; implicit-def: $vgpr4
.LBB30_457:
	s_mov_b64 s[20:21], 0
.LBB30_458:
	s_and_b64 vcc, exec, s[20:21]
	s_cbranch_vccz .LBB30_462
; %bb.459:
	v_cmp_eq_u16_e64 s[18:19], s43, 11
	s_and_b64 vcc, exec, s[18:19]
	s_cbranch_vccz .LBB30_461
; %bb.460:
	global_load_ubyte v4, v[0:1], off
	s_mov_b64 s[0:1], -1
	s_mov_b64 s[18:19], 0
	s_waitcnt vmcnt(0)
	v_cmp_ne_u16_e32 vcc, 0, v4
	v_cndmask_b32_e64 v4, 0, 1.0, vcc
	v_lshrrev_b32_e32 v4, 16, v4
	s_branch .LBB30_462
.LBB30_461:
	s_mov_b64 s[18:19], -1
                                        ; implicit-def: $vgpr4
.LBB30_462:
	s_branch .LBB30_265
.LBB30_463:
	v_cmp_lt_i16_e64 s[0:1], s43, 5
	s_and_b64 vcc, exec, s[0:1]
	s_cbranch_vccnz .LBB30_468
; %bb.464:
	v_cmp_lt_i16_e64 s[0:1], s43, 8
	s_and_b64 vcc, exec, s[0:1]
	s_cbranch_vccnz .LBB30_469
; %bb.465:
	;; [unrolled: 4-line block ×3, first 2 shown]
	v_cmp_gt_i16_e64 s[0:1], s43, 9
	s_and_b64 vcc, exec, s[0:1]
	s_cbranch_vccz .LBB30_471
; %bb.467:
	global_load_dwordx2 v[4:5], v[0:1], off
	s_movk_i32 s0, 0x7fff
	v_mov_b32_e32 v6, 0x7fc0
	s_waitcnt vmcnt(0)
	v_cvt_f32_f64_e32 v4, v[4:5]
	v_bfe_u32 v5, v4, 16, 1
	v_add3_u32 v5, v4, v5, s0
	v_lshrrev_b32_e32 v5, 16, v5
	v_cmp_o_f32_e32 vcc, v4, v4
	v_cndmask_b32_e32 v4, v6, v5, vcc
	s_mov_b64 s[0:1], 0
	s_branch .LBB30_472
.LBB30_468:
	s_mov_b64 s[0:1], -1
                                        ; implicit-def: $vgpr4
	s_branch .LBB30_490
.LBB30_469:
	s_mov_b64 s[0:1], -1
                                        ; implicit-def: $vgpr4
	s_branch .LBB30_478
.LBB30_470:
	s_mov_b64 s[0:1], -1
                                        ; implicit-def: $vgpr4
	s_branch .LBB30_475
.LBB30_471:
	s_mov_b64 s[0:1], -1
                                        ; implicit-def: $vgpr4
.LBB30_472:
	s_andn2_b64 vcc, exec, s[0:1]
	s_cbranch_vccnz .LBB30_474
; %bb.473:
	global_load_dword v4, v[0:1], off
	s_movk_i32 s0, 0x7fff
	v_mov_b32_e32 v5, 0x7fc0
	s_waitcnt vmcnt(0)
	v_bfe_u32 v6, v4, 16, 1
	v_add3_u32 v6, v4, v6, s0
	v_lshrrev_b32_e32 v6, 16, v6
	v_cmp_o_f32_e32 vcc, v4, v4
	v_cndmask_b32_e32 v4, v5, v6, vcc
.LBB30_474:
	s_mov_b64 s[0:1], 0
.LBB30_475:
	s_andn2_b64 vcc, exec, s[0:1]
	s_cbranch_vccnz .LBB30_477
; %bb.476:
	global_load_dword v4, v[0:1], off
	s_movk_i32 s0, 0x7fff
	v_mov_b32_e32 v6, 0x7fc0
	s_waitcnt vmcnt(0)
	v_cvt_f32_f16_e32 v5, v4
	v_cmp_o_f16_e32 vcc, v4, v4
	v_bfe_u32 v7, v5, 16, 1
	v_add3_u32 v5, v5, v7, s0
	v_lshrrev_b32_e32 v5, 16, v5
	v_cndmask_b32_e32 v4, v6, v5, vcc
.LBB30_477:
	s_mov_b64 s[0:1], 0
.LBB30_478:
	s_andn2_b64 vcc, exec, s[0:1]
	s_cbranch_vccnz .LBB30_489
; %bb.479:
	v_cmp_lt_i16_e64 s[0:1], s43, 6
	s_and_b64 vcc, exec, s[0:1]
	s_cbranch_vccnz .LBB30_482
; %bb.480:
	v_cmp_gt_i16_e64 s[0:1], s43, 6
	s_and_b64 vcc, exec, s[0:1]
	s_cbranch_vccz .LBB30_483
; %bb.481:
	global_load_dwordx2 v[4:5], v[0:1], off
	s_movk_i32 s0, 0x7fff
	v_mov_b32_e32 v6, 0x7fc0
	s_waitcnt vmcnt(0)
	v_cvt_f32_f64_e32 v4, v[4:5]
	v_bfe_u32 v5, v4, 16, 1
	v_add3_u32 v5, v4, v5, s0
	v_lshrrev_b32_e32 v5, 16, v5
	v_cmp_o_f32_e32 vcc, v4, v4
	v_cndmask_b32_e32 v4, v6, v5, vcc
	s_mov_b64 s[0:1], 0
	s_branch .LBB30_484
.LBB30_482:
	s_mov_b64 s[0:1], -1
                                        ; implicit-def: $vgpr4
	s_branch .LBB30_487
.LBB30_483:
	s_mov_b64 s[0:1], -1
                                        ; implicit-def: $vgpr4
.LBB30_484:
	s_andn2_b64 vcc, exec, s[0:1]
	s_cbranch_vccnz .LBB30_486
; %bb.485:
	global_load_dword v4, v[0:1], off
	s_movk_i32 s0, 0x7fff
	v_mov_b32_e32 v5, 0x7fc0
	s_waitcnt vmcnt(0)
	v_bfe_u32 v6, v4, 16, 1
	v_add3_u32 v6, v4, v6, s0
	v_lshrrev_b32_e32 v6, 16, v6
	v_cmp_o_f32_e32 vcc, v4, v4
	v_cndmask_b32_e32 v4, v5, v6, vcc
.LBB30_486:
	s_mov_b64 s[0:1], 0
.LBB30_487:
	s_andn2_b64 vcc, exec, s[0:1]
	s_cbranch_vccnz .LBB30_489
; %bb.488:
	global_load_ushort v4, v[0:1], off
	s_movk_i32 s0, 0x7fff
	v_mov_b32_e32 v6, 0x7fc0
	s_waitcnt vmcnt(0)
	v_cvt_f32_f16_e32 v5, v4
	v_cmp_o_f16_e32 vcc, v4, v4
	v_bfe_u32 v7, v5, 16, 1
	v_add3_u32 v5, v5, v7, s0
	v_lshrrev_b32_e32 v5, 16, v5
	v_cndmask_b32_e32 v4, v6, v5, vcc
.LBB30_489:
	s_mov_b64 s[0:1], 0
.LBB30_490:
	s_andn2_b64 vcc, exec, s[0:1]
	s_cbranch_vccnz .LBB30_510
; %bb.491:
	v_cmp_lt_i16_e64 s[0:1], s43, 2
	s_and_b64 vcc, exec, s[0:1]
	s_cbranch_vccnz .LBB30_495
; %bb.492:
	v_cmp_lt_i16_e64 s[0:1], s43, 3
	s_and_b64 vcc, exec, s[0:1]
	s_cbranch_vccnz .LBB30_496
; %bb.493:
	v_cmp_gt_i16_e64 s[0:1], s43, 3
	s_and_b64 vcc, exec, s[0:1]
	s_cbranch_vccz .LBB30_497
; %bb.494:
	global_load_dwordx2 v[4:5], v[0:1], off
	s_movk_i32 s0, 0x7fff
	s_waitcnt vmcnt(0)
	v_xor_b32_e32 v7, v4, v5
	v_ffbh_i32_e32 v6, v5
	v_ashrrev_i32_e32 v7, 31, v7
	v_add_u32_e32 v6, -1, v6
	v_add_u32_e32 v7, 32, v7
	v_min_u32_e32 v6, v6, v7
	v_lshlrev_b64 v[4:5], v6, v[4:5]
	v_min_u32_e32 v4, 1, v4
	v_or_b32_e32 v4, v5, v4
	v_cvt_f32_i32_e32 v4, v4
	v_sub_u32_e32 v5, 32, v6
	v_ldexp_f32 v4, v4, v5
	v_bfe_u32 v5, v4, 16, 1
	v_add3_u32 v4, v4, v5, s0
	v_lshrrev_b32_e32 v4, 16, v4
	s_mov_b64 s[0:1], 0
	s_branch .LBB30_498
.LBB30_495:
	s_mov_b64 s[0:1], -1
                                        ; implicit-def: $vgpr4
	s_branch .LBB30_504
.LBB30_496:
	s_mov_b64 s[0:1], -1
                                        ; implicit-def: $vgpr4
	s_branch .LBB30_501
.LBB30_497:
	s_mov_b64 s[0:1], -1
                                        ; implicit-def: $vgpr4
.LBB30_498:
	s_andn2_b64 vcc, exec, s[0:1]
	s_cbranch_vccnz .LBB30_500
; %bb.499:
	global_load_dword v4, v[0:1], off
	s_movk_i32 s0, 0x7fff
	s_waitcnt vmcnt(0)
	v_cvt_f32_i32_e32 v4, v4
	v_bfe_u32 v5, v4, 16, 1
	v_add3_u32 v4, v4, v5, s0
	v_lshrrev_b32_e32 v4, 16, v4
.LBB30_500:
	s_mov_b64 s[0:1], 0
.LBB30_501:
	s_andn2_b64 vcc, exec, s[0:1]
	s_cbranch_vccnz .LBB30_503
; %bb.502:
	global_load_sshort v4, v[0:1], off
	s_movk_i32 s0, 0x7fff
	s_waitcnt vmcnt(0)
	v_cvt_f32_i32_e32 v4, v4
	v_bfe_u32 v5, v4, 16, 1
	v_add3_u32 v4, v4, v5, s0
	v_lshrrev_b32_e32 v4, 16, v4
.LBB30_503:
	s_mov_b64 s[0:1], 0
.LBB30_504:
	s_andn2_b64 vcc, exec, s[0:1]
	s_cbranch_vccnz .LBB30_510
; %bb.505:
	v_cmp_gt_i16_e64 s[0:1], s43, 0
	s_and_b64 vcc, exec, s[0:1]
	s_cbranch_vccz .LBB30_507
; %bb.506:
	global_load_sbyte v4, v[0:1], off
	s_movk_i32 s0, 0x7fff
	s_waitcnt vmcnt(0)
	v_cvt_f32_i32_e32 v4, v4
	v_bfe_u32 v5, v4, 16, 1
	v_add3_u32 v4, v4, v5, s0
	v_lshrrev_b32_e32 v4, 16, v4
	s_mov_b64 s[0:1], 0
	s_branch .LBB30_508
.LBB30_507:
	s_mov_b64 s[0:1], -1
                                        ; implicit-def: $vgpr4
.LBB30_508:
	s_andn2_b64 vcc, exec, s[0:1]
	s_cbranch_vccnz .LBB30_510
; %bb.509:
	global_load_ubyte v0, v[0:1], off
	s_movk_i32 s0, 0x7fff
	s_waitcnt vmcnt(0)
	v_cvt_f32_ubyte0_e32 v0, v0
	v_bfe_u32 v1, v0, 16, 1
	v_add3_u32 v0, v0, v1, s0
	v_lshrrev_b32_e32 v4, 16, v0
.LBB30_510:
	s_branch .LBB30_266
.LBB30_511:
	s_mov_b64 s[24:25], 0
	s_mov_b64 s[0:1], s[12:13]
.LBB30_512:
                                        ; implicit-def: $vgpr2
.LBB30_513:
	s_andn2_b64 s[20:21], s[12:13], exec
	s_and_b64 s[0:1], s[0:1], exec
	s_or_b64 s[20:21], s[20:21], s[0:1]
	s_andn2_b64 s[0:1], s[14:15], exec
	s_and_b64 s[18:19], s[18:19], exec
	s_or_b64 s[18:19], s[0:1], s[18:19]
	s_orn2_b64 s[0:1], s[24:25], exec
.LBB30_514:
	s_or_b64 exec, exec, s[22:23]
	s_mov_b64 s[24:25], 0
	s_mov_b64 s[26:27], 0
	;; [unrolled: 1-line block ×3, first 2 shown]
                                        ; implicit-def: $vgpr0_vgpr1
                                        ; implicit-def: $vgpr6
	s_and_saveexec_b64 s[22:23], s[0:1]
	s_cbranch_execz .LBB30_860
; %bb.515:
	v_cmp_gt_i32_e32 vcc, s38, v2
	s_mov_b64 s[34:35], -1
	s_mov_b64 s[0:1], s[18:19]
	s_mov_b64 s[28:29], s[20:21]
	s_and_saveexec_b64 s[24:25], vcc
	s_cbranch_execz .LBB30_774
; %bb.516:
	v_mul_lo_u32 v0, v2, s3
	v_ashrrev_i32_e32 v1, 31, v0
	s_waitcnt vmcnt(0)
	v_mov_b32_e32 v4, s11
	v_add_co_u32_e32 v0, vcc, s10, v0
	v_addc_co_u32_e32 v1, vcc, v4, v1, vcc
	v_cmp_lt_i16_e64 s[0:1], s43, 11
	s_and_b64 vcc, exec, s[0:1]
	s_cbranch_vccnz .LBB30_523
; %bb.517:
	v_cmp_gt_i16_e64 s[0:1], s43, 25
	s_and_b64 vcc, exec, s[0:1]
	s_cbranch_vccz .LBB30_524
; %bb.518:
	v_cmp_gt_i16_e64 s[0:1], s43, 28
	s_and_b64 vcc, exec, s[0:1]
	s_cbranch_vccz .LBB30_525
	;; [unrolled: 4-line block ×4, first 2 shown]
; %bb.521:
	v_cmp_eq_u16_e64 s[0:1], s43, 46
	s_mov_b64 s[28:29], 0
	s_and_b64 vcc, exec, s[0:1]
	s_cbranch_vccz .LBB30_532
; %bb.522:
	global_load_dword v4, v[0:1], off
	s_mov_b64 s[0:1], -1
	s_branch .LBB30_533
.LBB30_523:
	s_mov_b64 s[28:29], -1
	s_mov_b64 s[0:1], 0
                                        ; implicit-def: $vgpr4
	s_mov_b64 s[26:27], s[18:19]
	s_branch .LBB30_598
.LBB30_524:
	s_mov_b64 s[28:29], -1
	s_mov_b64 s[0:1], 0
	s_mov_b64 s[26:27], s[18:19]
                                        ; implicit-def: $vgpr4
	s_branch .LBB30_562
.LBB30_525:
	s_mov_b64 s[28:29], -1
	s_mov_b64 s[0:1], 0
	s_mov_b64 s[26:27], s[18:19]
                                        ; implicit-def: $vgpr4
	s_branch .LBB30_543
.LBB30_526:
	s_mov_b64 s[28:29], -1
	s_mov_b64 s[0:1], 0
	s_mov_b64 s[26:27], s[18:19]
                                        ; implicit-def: $vgpr4
	s_branch .LBB30_538
.LBB30_527:
	s_or_saveexec_b64 s[26:27], s[26:27]
                                        ; implicit-def: $sgpr28
	s_xor_b64 exec, exec, s[26:27]
	s_cbranch_execz .LBB30_311
.LBB30_528:
	s_mov_b32 s28, 0x46000000
	v_add_f32_e64 v6, |v7|, s28
	v_and_b32_e32 v6, 0xff, v6
	v_cmp_ne_u32_e32 vcc, 0, v6
	s_andn2_b64 s[24:25], s[24:25], exec
	s_and_b64 s[30:31], vcc, exec
	s_mov_b32 s28, 0
	s_or_b64 s[24:25], s[24:25], s[30:31]
	s_or_b64 exec, exec, s[26:27]
	v_mov_b32_e32 v8, s28
	s_and_saveexec_b64 s[26:27], s[24:25]
	s_cbranch_execnz .LBB30_312
	s_branch .LBB30_313
.LBB30_529:
	s_mov_b64 s[28:29], -1
	s_mov_b64 s[0:1], 0
	s_mov_b64 s[26:27], s[18:19]
                                        ; implicit-def: $vgpr4
	s_branch .LBB30_533
.LBB30_530:
	s_or_saveexec_b64 s[26:27], s[26:27]
                                        ; implicit-def: $sgpr28
	s_xor_b64 exec, exec, s[26:27]
	s_cbranch_execz .LBB30_324
.LBB30_531:
	s_mov_b32 s28, 0x42800000
	v_add_f32_e64 v6, |v7|, s28
	v_and_b32_e32 v6, 0xff, v6
	v_cmp_ne_u32_e32 vcc, 0, v6
	s_andn2_b64 s[24:25], s[24:25], exec
	s_and_b64 s[30:31], vcc, exec
	s_mov_b32 s28, 0
	s_or_b64 s[24:25], s[24:25], s[30:31]
	s_or_b64 exec, exec, s[26:27]
	v_mov_b32_e32 v8, s28
	s_and_saveexec_b64 s[26:27], s[24:25]
	s_cbranch_execnz .LBB30_325
	s_branch .LBB30_326
.LBB30_532:
	s_mov_b64 s[26:27], -1
                                        ; implicit-def: $vgpr4
	s_mov_b64 s[0:1], 0
.LBB30_533:
	s_and_b64 vcc, exec, s[28:29]
	s_cbranch_vccz .LBB30_537
; %bb.534:
	v_cmp_eq_u16_e64 s[26:27], s43, 44
	s_and_b64 vcc, exec, s[26:27]
	s_cbranch_vccz .LBB30_536
; %bb.535:
	global_load_ubyte v4, v[0:1], off
	s_movk_i32 s26, 0xff
	v_mov_b32_e32 v5, 0x7f800001
	v_mov_b32_e32 v6, 0x400000
	;; [unrolled: 1-line block ×3, first 2 shown]
	s_mov_b64 s[0:1], -1
	s_waitcnt vmcnt(0)
	v_lshlrev_b32_e32 v8, 23, v4
	v_cmp_ne_u32_e32 vcc, s26, v4
	v_cndmask_b32_e32 v5, v5, v8, vcc
	v_cmp_ne_u32_e32 vcc, 0, v4
	v_cndmask_b32_e32 v4, v6, v5, vcc
	v_add_u32_e32 v5, 0x7fff, v4
	v_lshrrev_b32_e32 v5, 16, v5
	v_cmp_o_f32_e32 vcc, v4, v4
	v_cndmask_b32_e32 v4, v7, v5, vcc
	s_mov_b64 s[26:27], 0
	s_branch .LBB30_537
.LBB30_536:
	s_mov_b64 s[26:27], -1
                                        ; implicit-def: $vgpr4
.LBB30_537:
	s_mov_b64 s[28:29], 0
.LBB30_538:
	s_and_b64 vcc, exec, s[28:29]
	s_cbranch_vccz .LBB30_542
; %bb.539:
	v_cmp_eq_u16_e64 s[26:27], s43, 29
	s_and_b64 vcc, exec, s[26:27]
	s_cbranch_vccz .LBB30_541
; %bb.540:
	global_load_dwordx2 v[4:5], v[0:1], off
	s_movk_i32 s26, 0x7fff
	s_mov_b64 s[0:1], -1
	s_mov_b64 s[28:29], 0
	s_waitcnt vmcnt(0)
	v_ffbh_u32_e32 v6, v5
	v_min_u32_e32 v6, 32, v6
	v_lshlrev_b64 v[4:5], v6, v[4:5]
	v_min_u32_e32 v4, 1, v4
	v_or_b32_e32 v4, v5, v4
	v_cvt_f32_u32_e32 v4, v4
	v_sub_u32_e32 v5, 32, v6
	v_ldexp_f32 v4, v4, v5
	v_bfe_u32 v5, v4, 16, 1
	v_add3_u32 v4, v4, v5, s26
	v_lshrrev_b32_e32 v4, 16, v4
	s_mov_b64 s[26:27], 0
	s_branch .LBB30_543
.LBB30_541:
	s_mov_b64 s[26:27], -1
                                        ; implicit-def: $vgpr4
.LBB30_542:
	s_mov_b64 s[28:29], 0
.LBB30_543:
	s_and_b64 vcc, exec, s[28:29]
	s_cbranch_vccz .LBB30_561
; %bb.544:
	v_cmp_lt_i16_e64 s[0:1], s43, 27
	s_and_b64 vcc, exec, s[0:1]
	s_cbranch_vccnz .LBB30_547
; %bb.545:
	v_cmp_gt_i16_e64 s[0:1], s43, 27
	s_and_b64 vcc, exec, s[0:1]
	s_cbranch_vccz .LBB30_548
; %bb.546:
	global_load_dword v4, v[0:1], off
	s_movk_i32 s0, 0x7fff
	s_waitcnt vmcnt(0)
	v_cvt_f32_u32_e32 v4, v4
	v_bfe_u32 v5, v4, 16, 1
	v_add3_u32 v4, v4, v5, s0
	v_lshrrev_b32_e32 v4, 16, v4
	s_mov_b64 s[0:1], 0
	s_branch .LBB30_549
.LBB30_547:
	s_mov_b64 s[0:1], -1
                                        ; implicit-def: $vgpr4
	s_branch .LBB30_552
.LBB30_548:
	s_mov_b64 s[0:1], -1
                                        ; implicit-def: $vgpr4
.LBB30_549:
	s_andn2_b64 vcc, exec, s[0:1]
	s_cbranch_vccnz .LBB30_551
; %bb.550:
	global_load_ushort v4, v[0:1], off
	s_movk_i32 s0, 0x7fff
	s_waitcnt vmcnt(0)
	v_cvt_f32_u32_e32 v4, v4
	v_bfe_u32 v5, v4, 16, 1
	v_add3_u32 v4, v4, v5, s0
	v_lshrrev_b32_e32 v4, 16, v4
.LBB30_551:
	s_mov_b64 s[0:1], 0
.LBB30_552:
	s_andn2_b64 vcc, exec, s[0:1]
	s_cbranch_vccnz .LBB30_560
; %bb.553:
	global_load_ubyte v4, v[0:1], off
	s_movk_i32 s0, 0x7f
                                        ; implicit-def: $sgpr34
	s_waitcnt vmcnt(0)
	v_cmp_lt_i16_e32 vcc, s0, v4
	s_mov_b64 s[0:1], 0
	s_and_saveexec_b64 s[28:29], vcc
	s_xor_b64 s[28:29], exec, s[28:29]
	s_cbranch_execz .LBB30_574
; %bb.554:
	s_movk_i32 s0, 0x80
	v_cmp_eq_u16_e32 vcc, s0, v4
	s_mov_b64 s[0:1], -1
                                        ; implicit-def: $sgpr34
	s_and_saveexec_b64 s[30:31], vcc
; %bb.555:
	s_mov_b32 s34, 0x7f800001
	s_xor_b64 s[0:1], exec, -1
; %bb.556:
	s_or_b64 exec, exec, s[30:31]
	s_and_b64 s[0:1], s[0:1], exec
	s_or_saveexec_b64 s[28:29], s[28:29]
	v_mov_b32_e32 v5, s34
	s_xor_b64 exec, exec, s[28:29]
	s_cbranch_execnz .LBB30_575
.LBB30_557:
	s_or_b64 exec, exec, s[28:29]
	s_and_saveexec_b64 s[28:29], s[0:1]
	s_cbranch_execz .LBB30_559
.LBB30_558:
	v_lshlrev_b32_e32 v5, 24, v4
	v_and_b32_e32 v4, 0xffff, v4
	v_and_b32_e32 v6, 7, v4
	v_ffbh_u32_e32 v8, v6
	v_min_u32_e32 v8, 32, v8
	v_subrev_u32_e32 v9, 28, v8
	v_bfe_u32 v7, v4, 3, 4
	v_lshlrev_b32_e32 v4, v9, v4
	v_sub_u32_e32 v8, 29, v8
	v_and_b32_e32 v4, 7, v4
	v_cmp_eq_u32_e32 vcc, 0, v7
	v_cndmask_b32_e32 v7, v7, v8, vcc
	v_cndmask_b32_e32 v4, v6, v4, vcc
	v_mov_b32_e32 v6, 0x3b800000
	v_lshlrev_b32_e32 v4, 20, v4
	v_and_b32_e32 v5, 0x80000000, v5
	v_lshl_add_u32 v6, v7, 23, v6
	v_or3_b32 v5, v5, v6, v4
.LBB30_559:
	s_or_b64 exec, exec, s[28:29]
	v_bfe_u32 v4, v5, 16, 1
	s_movk_i32 s0, 0x7fff
	v_add3_u32 v4, v5, v4, s0
	v_lshrrev_b32_e32 v4, 16, v4
	v_mov_b32_e32 v6, 0x7fc0
	v_cmp_o_f32_e32 vcc, v5, v5
	v_cndmask_b32_e32 v4, v6, v4, vcc
.LBB30_560:
	s_mov_b64 s[0:1], -1
.LBB30_561:
	s_mov_b64 s[28:29], 0
.LBB30_562:
	s_and_b64 vcc, exec, s[28:29]
	s_cbranch_vccz .LBB30_597
; %bb.563:
	v_cmp_gt_i16_e64 s[28:29], s43, 22
	s_and_b64 vcc, exec, s[28:29]
	s_cbranch_vccz .LBB30_573
; %bb.564:
	v_cmp_lt_i16_e64 s[0:1], s43, 24
	s_and_b64 vcc, exec, s[0:1]
	s_cbranch_vccnz .LBB30_576
; %bb.565:
	v_cmp_gt_i16_e64 s[0:1], s43, 24
	s_and_b64 vcc, exec, s[0:1]
	s_cbranch_vccz .LBB30_577
; %bb.566:
	global_load_ubyte v4, v[0:1], off
	s_movk_i32 s0, 0x7f
                                        ; implicit-def: $sgpr34
	s_waitcnt vmcnt(0)
	v_cmp_lt_i16_e32 vcc, s0, v4
	s_mov_b64 s[0:1], 0
	s_and_saveexec_b64 s[28:29], vcc
	s_xor_b64 s[28:29], exec, s[28:29]
	s_cbranch_execz .LBB30_589
; %bb.567:
	s_movk_i32 s0, 0x80
	v_cmp_eq_u16_e32 vcc, s0, v4
	s_mov_b64 s[0:1], -1
                                        ; implicit-def: $sgpr34
	s_and_saveexec_b64 s[30:31], vcc
; %bb.568:
	s_mov_b32 s34, 0x7f800001
	s_xor_b64 s[0:1], exec, -1
; %bb.569:
	s_or_b64 exec, exec, s[30:31]
	s_and_b64 s[0:1], s[0:1], exec
	s_or_saveexec_b64 s[28:29], s[28:29]
	v_mov_b32_e32 v5, s34
	s_xor_b64 exec, exec, s[28:29]
	s_cbranch_execnz .LBB30_590
.LBB30_570:
	s_or_b64 exec, exec, s[28:29]
	s_and_saveexec_b64 s[28:29], s[0:1]
	s_cbranch_execz .LBB30_572
.LBB30_571:
	v_lshlrev_b32_e32 v5, 24, v4
	v_and_b32_e32 v4, 0xffff, v4
	v_and_b32_e32 v6, 3, v4
	v_ffbh_u32_e32 v8, v6
	v_min_u32_e32 v8, 32, v8
	v_subrev_u32_e32 v9, 29, v8
	v_bfe_u32 v7, v4, 2, 5
	v_lshlrev_b32_e32 v4, v9, v4
	v_sub_u32_e32 v8, 30, v8
	v_and_b32_e32 v4, 3, v4
	v_cmp_eq_u32_e32 vcc, 0, v7
	v_cndmask_b32_e32 v7, v7, v8, vcc
	v_cndmask_b32_e32 v4, v6, v4, vcc
	v_mov_b32_e32 v6, 0x37800000
	v_lshlrev_b32_e32 v4, 21, v4
	v_and_b32_e32 v5, 0x80000000, v5
	v_lshl_add_u32 v6, v7, 23, v6
	v_or3_b32 v5, v5, v6, v4
.LBB30_572:
	s_or_b64 exec, exec, s[28:29]
	v_bfe_u32 v4, v5, 16, 1
	s_movk_i32 s0, 0x7fff
	v_add3_u32 v4, v5, v4, s0
	v_lshrrev_b32_e32 v4, 16, v4
	v_mov_b32_e32 v6, 0x7fc0
	v_cmp_o_f32_e32 vcc, v5, v5
	v_cndmask_b32_e32 v4, v6, v4, vcc
	s_mov_b64 s[0:1], 0
	s_branch .LBB30_578
.LBB30_573:
	s_mov_b64 s[28:29], -1
                                        ; implicit-def: $vgpr4
	s_branch .LBB30_584
.LBB30_574:
	s_or_saveexec_b64 s[28:29], s[28:29]
	v_mov_b32_e32 v5, s34
	s_xor_b64 exec, exec, s[28:29]
	s_cbranch_execz .LBB30_557
.LBB30_575:
	v_cmp_ne_u16_e32 vcc, 0, v4
	s_andn2_b64 s[0:1], s[0:1], exec
	s_and_b64 s[30:31], vcc, exec
	v_mov_b32_e32 v5, 0
	s_or_b64 s[0:1], s[0:1], s[30:31]
	s_or_b64 exec, exec, s[28:29]
	s_and_saveexec_b64 s[28:29], s[0:1]
	s_cbranch_execnz .LBB30_558
	s_branch .LBB30_559
.LBB30_576:
	s_mov_b64 s[0:1], -1
                                        ; implicit-def: $vgpr4
	s_branch .LBB30_581
.LBB30_577:
	s_mov_b64 s[0:1], -1
                                        ; implicit-def: $vgpr4
.LBB30_578:
	s_and_b64 vcc, exec, s[0:1]
	s_cbranch_vccz .LBB30_580
; %bb.579:
	global_load_ubyte v4, v[0:1], off
	s_mov_b32 s0, 0x7f800000
	s_brev_b32 s1, 1
	s_movk_i32 s28, 0x7fff
	v_mov_b32_e32 v5, 0x7fc0
	s_waitcnt vmcnt(0)
	v_lshlrev_b32_e32 v4, 24, v4
	v_and_b32_e32 v6, 0x7f000000, v4
	v_ffbh_u32_e32 v7, v6
	v_min_u32_e32 v7, 32, v7
	v_sub_u32_e64 v7, v7, 4 clamp
	v_lshlrev_b32_e32 v9, v7, v6
	v_lshlrev_b32_e32 v7, 23, v7
	v_lshrrev_b32_e32 v9, 4, v9
	v_add_u32_e32 v8, 0x1000000, v6
	v_sub_u32_e32 v7, v9, v7
	v_ashrrev_i32_e32 v8, 8, v8
	v_add_u32_e32 v7, 0x3c000000, v7
	v_and_or_b32 v7, v8, s0, v7
	v_cmp_ne_u32_e32 vcc, 0, v6
	v_cndmask_b32_e32 v6, 0, v7, vcc
	v_and_or_b32 v4, v4, s1, v6
	v_bfe_u32 v6, v6, 16, 1
	v_add3_u32 v6, v4, v6, s28
	v_lshrrev_b32_e32 v6, 16, v6
	v_cmp_o_f32_e32 vcc, v4, v4
	v_cndmask_b32_e32 v4, v5, v6, vcc
.LBB30_580:
	s_mov_b64 s[0:1], 0
.LBB30_581:
	s_andn2_b64 vcc, exec, s[0:1]
	s_cbranch_vccnz .LBB30_583
; %bb.582:
	global_load_ubyte v4, v[0:1], off
	s_movk_i32 s0, 0x7f00
	s_brev_b32 s1, 16
	s_brev_b32 s28, 1
	s_movk_i32 s29, 0x7fff
	v_mov_b32_e32 v5, 0x7fc0
	s_waitcnt vmcnt(0)
	v_lshlrev_b16_e32 v6, 8, v4
	v_lshlrev_b32_e32 v4, 25, v4
	v_lshrrev_b32_e32 v7, 4, v4
	v_and_or_b32 v8, v6, s0, 0.5
	v_or_b32_e32 v7, 0x70000000, v7
	v_add_f32_e32 v8, -0.5, v8
	v_mul_f32_e32 v7, 0x7800000, v7
	v_cmp_gt_u32_e32 vcc, s1, v4
	v_bfe_i32 v6, v6, 0, 16
	v_cndmask_b32_e32 v4, v7, v8, vcc
	v_and_or_b32 v6, v6, s28, v4
	v_bfe_u32 v4, v4, 16, 1
	v_add3_u32 v4, v6, v4, s29
	v_lshrrev_b32_e32 v4, 16, v4
	v_cmp_o_f32_e32 vcc, v6, v6
	v_cndmask_b32_e32 v4, v5, v4, vcc
.LBB30_583:
	s_mov_b64 s[28:29], 0
	s_mov_b64 s[0:1], -1
.LBB30_584:
	s_andn2_b64 vcc, exec, s[28:29]
	s_cbranch_vccnz .LBB30_597
; %bb.585:
	v_cmp_gt_i16_e64 s[28:29], s43, 14
	s_and_b64 vcc, exec, s[28:29]
	s_cbranch_vccz .LBB30_588
; %bb.586:
	v_cmp_eq_u16_e64 s[26:27], s43, 15
	s_and_b64 vcc, exec, s[26:27]
	s_cbranch_vccz .LBB30_591
; %bb.587:
	global_load_ushort v4, v[0:1], off
	s_mov_b64 s[0:1], -1
	s_mov_b64 s[26:27], 0
	s_branch .LBB30_592
.LBB30_588:
	s_mov_b64 s[28:29], -1
                                        ; implicit-def: $vgpr4
	s_branch .LBB30_593
.LBB30_589:
	s_or_saveexec_b64 s[28:29], s[28:29]
	v_mov_b32_e32 v5, s34
	s_xor_b64 exec, exec, s[28:29]
	s_cbranch_execz .LBB30_570
.LBB30_590:
	v_cmp_ne_u16_e32 vcc, 0, v4
	s_andn2_b64 s[0:1], s[0:1], exec
	s_and_b64 s[30:31], vcc, exec
	v_mov_b32_e32 v5, 0
	s_or_b64 s[0:1], s[0:1], s[30:31]
	s_or_b64 exec, exec, s[28:29]
	s_and_saveexec_b64 s[28:29], s[0:1]
	s_cbranch_execnz .LBB30_571
	s_branch .LBB30_572
.LBB30_591:
	s_mov_b64 s[26:27], -1
                                        ; implicit-def: $vgpr4
.LBB30_592:
	s_mov_b64 s[28:29], 0
.LBB30_593:
	s_and_b64 vcc, exec, s[28:29]
	s_cbranch_vccz .LBB30_597
; %bb.594:
	v_cmp_eq_u16_e64 s[26:27], s43, 11
	s_and_b64 vcc, exec, s[26:27]
	s_cbranch_vccz .LBB30_596
; %bb.595:
	global_load_ubyte v4, v[0:1], off
	s_mov_b64 s[0:1], -1
	s_mov_b64 s[26:27], 0
	s_waitcnt vmcnt(0)
	v_cmp_ne_u16_e32 vcc, 0, v4
	v_cndmask_b32_e64 v4, 0, 1.0, vcc
	v_lshrrev_b32_e32 v4, 16, v4
	s_branch .LBB30_597
.LBB30_596:
	s_mov_b64 s[26:27], -1
                                        ; implicit-def: $vgpr4
.LBB30_597:
	s_mov_b64 s[28:29], 0
.LBB30_598:
	s_and_b64 vcc, exec, s[28:29]
	s_cbranch_vccz .LBB30_647
; %bb.599:
	v_cmp_lt_i16_e64 s[0:1], s43, 5
	s_and_b64 vcc, exec, s[0:1]
	s_cbranch_vccnz .LBB30_604
; %bb.600:
	v_cmp_lt_i16_e64 s[0:1], s43, 8
	s_and_b64 vcc, exec, s[0:1]
	s_cbranch_vccnz .LBB30_605
	;; [unrolled: 4-line block ×3, first 2 shown]
; %bb.602:
	v_cmp_gt_i16_e64 s[0:1], s43, 9
	s_and_b64 vcc, exec, s[0:1]
	s_cbranch_vccz .LBB30_607
; %bb.603:
	global_load_dwordx2 v[4:5], v[0:1], off
	s_movk_i32 s0, 0x7fff
	v_mov_b32_e32 v6, 0x7fc0
	s_waitcnt vmcnt(0)
	v_cvt_f32_f64_e32 v4, v[4:5]
	v_bfe_u32 v5, v4, 16, 1
	v_add3_u32 v5, v4, v5, s0
	v_lshrrev_b32_e32 v5, 16, v5
	v_cmp_o_f32_e32 vcc, v4, v4
	v_cndmask_b32_e32 v4, v6, v5, vcc
	s_mov_b64 s[0:1], 0
	s_branch .LBB30_608
.LBB30_604:
	s_mov_b64 s[0:1], -1
                                        ; implicit-def: $vgpr4
	s_branch .LBB30_626
.LBB30_605:
	s_mov_b64 s[0:1], -1
                                        ; implicit-def: $vgpr4
	s_branch .LBB30_614
.LBB30_606:
	s_mov_b64 s[0:1], -1
                                        ; implicit-def: $vgpr4
	s_branch .LBB30_611
.LBB30_607:
	s_mov_b64 s[0:1], -1
                                        ; implicit-def: $vgpr4
.LBB30_608:
	s_andn2_b64 vcc, exec, s[0:1]
	s_cbranch_vccnz .LBB30_610
; %bb.609:
	global_load_dword v4, v[0:1], off
	s_movk_i32 s0, 0x7fff
	v_mov_b32_e32 v5, 0x7fc0
	s_waitcnt vmcnt(0)
	v_bfe_u32 v6, v4, 16, 1
	v_add3_u32 v6, v4, v6, s0
	v_lshrrev_b32_e32 v6, 16, v6
	v_cmp_o_f32_e32 vcc, v4, v4
	v_cndmask_b32_e32 v4, v5, v6, vcc
.LBB30_610:
	s_mov_b64 s[0:1], 0
.LBB30_611:
	s_andn2_b64 vcc, exec, s[0:1]
	s_cbranch_vccnz .LBB30_613
; %bb.612:
	global_load_dword v4, v[0:1], off
	s_movk_i32 s0, 0x7fff
	v_mov_b32_e32 v6, 0x7fc0
	s_waitcnt vmcnt(0)
	v_cvt_f32_f16_e32 v5, v4
	v_cmp_o_f16_e32 vcc, v4, v4
	v_bfe_u32 v7, v5, 16, 1
	v_add3_u32 v5, v5, v7, s0
	v_lshrrev_b32_e32 v5, 16, v5
	v_cndmask_b32_e32 v4, v6, v5, vcc
.LBB30_613:
	s_mov_b64 s[0:1], 0
.LBB30_614:
	s_andn2_b64 vcc, exec, s[0:1]
	s_cbranch_vccnz .LBB30_625
; %bb.615:
	v_cmp_lt_i16_e64 s[0:1], s43, 6
	s_and_b64 vcc, exec, s[0:1]
	s_cbranch_vccnz .LBB30_618
; %bb.616:
	v_cmp_gt_i16_e64 s[0:1], s43, 6
	s_and_b64 vcc, exec, s[0:1]
	s_cbranch_vccz .LBB30_619
; %bb.617:
	global_load_dwordx2 v[4:5], v[0:1], off
	s_movk_i32 s0, 0x7fff
	v_mov_b32_e32 v6, 0x7fc0
	s_waitcnt vmcnt(0)
	v_cvt_f32_f64_e32 v4, v[4:5]
	v_bfe_u32 v5, v4, 16, 1
	v_add3_u32 v5, v4, v5, s0
	v_lshrrev_b32_e32 v5, 16, v5
	v_cmp_o_f32_e32 vcc, v4, v4
	v_cndmask_b32_e32 v4, v6, v5, vcc
	s_mov_b64 s[0:1], 0
	s_branch .LBB30_620
.LBB30_618:
	s_mov_b64 s[0:1], -1
                                        ; implicit-def: $vgpr4
	s_branch .LBB30_623
.LBB30_619:
	s_mov_b64 s[0:1], -1
                                        ; implicit-def: $vgpr4
.LBB30_620:
	s_andn2_b64 vcc, exec, s[0:1]
	s_cbranch_vccnz .LBB30_622
; %bb.621:
	global_load_dword v4, v[0:1], off
	s_movk_i32 s0, 0x7fff
	v_mov_b32_e32 v5, 0x7fc0
	s_waitcnt vmcnt(0)
	v_bfe_u32 v6, v4, 16, 1
	v_add3_u32 v6, v4, v6, s0
	v_lshrrev_b32_e32 v6, 16, v6
	v_cmp_o_f32_e32 vcc, v4, v4
	v_cndmask_b32_e32 v4, v5, v6, vcc
.LBB30_622:
	s_mov_b64 s[0:1], 0
.LBB30_623:
	s_andn2_b64 vcc, exec, s[0:1]
	s_cbranch_vccnz .LBB30_625
; %bb.624:
	global_load_ushort v4, v[0:1], off
	s_movk_i32 s0, 0x7fff
	v_mov_b32_e32 v6, 0x7fc0
	s_waitcnt vmcnt(0)
	v_cvt_f32_f16_e32 v5, v4
	v_cmp_o_f16_e32 vcc, v4, v4
	v_bfe_u32 v7, v5, 16, 1
	v_add3_u32 v5, v5, v7, s0
	v_lshrrev_b32_e32 v5, 16, v5
	v_cndmask_b32_e32 v4, v6, v5, vcc
.LBB30_625:
	s_mov_b64 s[0:1], 0
.LBB30_626:
	s_andn2_b64 vcc, exec, s[0:1]
	s_cbranch_vccnz .LBB30_646
; %bb.627:
	v_cmp_lt_i16_e64 s[0:1], s43, 2
	s_and_b64 vcc, exec, s[0:1]
	s_cbranch_vccnz .LBB30_631
; %bb.628:
	v_cmp_lt_i16_e64 s[0:1], s43, 3
	s_and_b64 vcc, exec, s[0:1]
	s_cbranch_vccnz .LBB30_632
; %bb.629:
	v_cmp_gt_i16_e64 s[0:1], s43, 3
	s_and_b64 vcc, exec, s[0:1]
	s_cbranch_vccz .LBB30_633
; %bb.630:
	global_load_dwordx2 v[4:5], v[0:1], off
	s_movk_i32 s0, 0x7fff
	s_waitcnt vmcnt(0)
	v_xor_b32_e32 v7, v4, v5
	v_ffbh_i32_e32 v6, v5
	v_ashrrev_i32_e32 v7, 31, v7
	v_add_u32_e32 v6, -1, v6
	v_add_u32_e32 v7, 32, v7
	v_min_u32_e32 v6, v6, v7
	v_lshlrev_b64 v[4:5], v6, v[4:5]
	v_min_u32_e32 v4, 1, v4
	v_or_b32_e32 v4, v5, v4
	v_cvt_f32_i32_e32 v4, v4
	v_sub_u32_e32 v5, 32, v6
	v_ldexp_f32 v4, v4, v5
	v_bfe_u32 v5, v4, 16, 1
	v_add3_u32 v4, v4, v5, s0
	v_lshrrev_b32_e32 v4, 16, v4
	s_mov_b64 s[0:1], 0
	s_branch .LBB30_634
.LBB30_631:
	s_mov_b64 s[0:1], -1
                                        ; implicit-def: $vgpr4
	s_branch .LBB30_640
.LBB30_632:
	s_mov_b64 s[0:1], -1
                                        ; implicit-def: $vgpr4
	s_branch .LBB30_637
.LBB30_633:
	s_mov_b64 s[0:1], -1
                                        ; implicit-def: $vgpr4
.LBB30_634:
	s_andn2_b64 vcc, exec, s[0:1]
	s_cbranch_vccnz .LBB30_636
; %bb.635:
	global_load_dword v4, v[0:1], off
	s_movk_i32 s0, 0x7fff
	s_waitcnt vmcnt(0)
	v_cvt_f32_i32_e32 v4, v4
	v_bfe_u32 v5, v4, 16, 1
	v_add3_u32 v4, v4, v5, s0
	v_lshrrev_b32_e32 v4, 16, v4
.LBB30_636:
	s_mov_b64 s[0:1], 0
.LBB30_637:
	s_andn2_b64 vcc, exec, s[0:1]
	s_cbranch_vccnz .LBB30_639
; %bb.638:
	global_load_sshort v4, v[0:1], off
	s_movk_i32 s0, 0x7fff
	s_waitcnt vmcnt(0)
	v_cvt_f32_i32_e32 v4, v4
	v_bfe_u32 v5, v4, 16, 1
	v_add3_u32 v4, v4, v5, s0
	v_lshrrev_b32_e32 v4, 16, v4
.LBB30_639:
	s_mov_b64 s[0:1], 0
.LBB30_640:
	s_andn2_b64 vcc, exec, s[0:1]
	s_cbranch_vccnz .LBB30_646
; %bb.641:
	v_cmp_gt_i16_e64 s[0:1], s43, 0
	s_and_b64 vcc, exec, s[0:1]
	s_cbranch_vccz .LBB30_643
; %bb.642:
	global_load_sbyte v4, v[0:1], off
	s_movk_i32 s0, 0x7fff
	s_waitcnt vmcnt(0)
	v_cvt_f32_i32_e32 v4, v4
	v_bfe_u32 v5, v4, 16, 1
	v_add3_u32 v4, v4, v5, s0
	v_lshrrev_b32_e32 v4, 16, v4
	s_mov_b64 s[0:1], 0
	s_branch .LBB30_644
.LBB30_643:
	s_mov_b64 s[0:1], -1
                                        ; implicit-def: $vgpr4
.LBB30_644:
	s_andn2_b64 vcc, exec, s[0:1]
	s_cbranch_vccnz .LBB30_646
; %bb.645:
	global_load_ubyte v0, v[0:1], off
	s_movk_i32 s0, 0x7fff
	s_waitcnt vmcnt(0)
	v_cvt_f32_ubyte0_e32 v0, v0
	v_bfe_u32 v1, v0, 16, 1
	v_add3_u32 v0, v0, v1, s0
	v_lshrrev_b32_e32 v4, 16, v0
.LBB30_646:
	s_mov_b64 s[0:1], -1
.LBB30_647:
	s_andn2_b64 vcc, exec, s[0:1]
	s_cbranch_vccnz .LBB30_655
; %bb.648:
	s_waitcnt vmcnt(0)
	v_lshlrev_b32_e32 v0, 16, v4
	v_cmp_nle_f32_e32 vcc, v3, v0
	v_cmp_nge_f32_e64 s[0:1], s44, v0
	s_or_b64 vcc, s[0:1], vcc
	v_mul_lo_u32 v0, v2, s2
	v_cndmask_b32_e32 v4, 0, v4, vcc
	v_ashrrev_i32_e32 v1, 31, v0
	v_mov_b32_e32 v5, s9
	v_add_co_u32_e32 v0, vcc, s8, v0
	v_addc_co_u32_e32 v1, vcc, v5, v1, vcc
	v_mov_b32_e32 v5, 11
	v_cmp_lt_i16_sdwa s[0:1], s33, v5 src0_sel:BYTE_0 src1_sel:DWORD
	s_and_b64 vcc, exec, s[0:1]
	s_cbranch_vccnz .LBB30_656
; %bb.649:
	v_mov_b32_e32 v5, 25
	v_cmp_gt_i16_sdwa s[0:1], s33, v5 src0_sel:BYTE_0 src1_sel:DWORD
	s_and_b64 vcc, exec, s[0:1]
	s_cbranch_vccz .LBB30_657
; %bb.650:
	v_mov_b32_e32 v5, 28
	v_cmp_gt_i16_sdwa s[0:1], s33, v5 src0_sel:BYTE_0 src1_sel:DWORD
	s_and_b64 vcc, exec, s[0:1]
	s_cbranch_vccz .LBB30_658
	;; [unrolled: 5-line block ×4, first 2 shown]
; %bb.653:
	v_mov_b32_e32 v5, 46
	v_cmp_eq_u16_sdwa s[28:29], s33, v5 src0_sel:BYTE_0 src1_sel:DWORD
	s_mov_b64 s[30:31], 0
	s_mov_b64 s[0:1], -1
	s_and_b64 vcc, exec, s[28:29]
	s_mov_b64 s[28:29], 0
	s_cbranch_vccz .LBB30_661
; %bb.654:
	v_and_b32_e32 v5, 0xffff, v4
	global_store_dword v[0:1], v5, off
	s_mov_b64 s[28:29], -1
	s_mov_b64 s[0:1], 0
	s_branch .LBB30_661
.LBB30_655:
	s_mov_b64 s[30:31], 0
	s_mov_b64 s[0:1], s[20:21]
	s_branch .LBB30_772
.LBB30_656:
	s_mov_b64 s[30:31], -1
	s_mov_b64 s[28:29], 0
	s_mov_b64 s[0:1], s[20:21]
	s_branch .LBB30_730
.LBB30_657:
	s_mov_b64 s[30:31], -1
	s_mov_b64 s[28:29], 0
	s_mov_b64 s[0:1], s[20:21]
	s_branch .LBB30_688
.LBB30_658:
	s_mov_b64 s[30:31], -1
	s_mov_b64 s[28:29], 0
	s_mov_b64 s[0:1], s[20:21]
	s_branch .LBB30_671
.LBB30_659:
	s_mov_b64 s[30:31], -1
	s_mov_b64 s[28:29], 0
	s_mov_b64 s[0:1], s[20:21]
	s_branch .LBB30_667
.LBB30_660:
	s_mov_b64 s[30:31], -1
	s_mov_b64 s[28:29], 0
	s_mov_b64 s[0:1], s[20:21]
.LBB30_661:
	s_and_b64 vcc, exec, s[30:31]
	s_cbranch_vccz .LBB30_666
; %bb.662:
	v_mov_b32_e32 v5, 44
	v_cmp_eq_u16_sdwa s[30:31], s33, v5 src0_sel:BYTE_0 src1_sel:DWORD
	s_mov_b64 s[0:1], -1
	s_and_b64 vcc, exec, s[30:31]
	s_cbranch_vccz .LBB30_666
; %bb.663:
	v_and_b32_e32 v6, 0xffff, v4
	v_bfe_u32 v5, v6, 7, 8
	s_movk_i32 s0, 0xff
	v_cmp_ne_u32_e32 vcc, s0, v5
	v_mov_b32_e32 v7, 0xff
	s_and_saveexec_b64 s[28:29], vcc
; %bb.664:
	v_lshlrev_b32_e32 v8, 16, v6
	s_mov_b32 s0, 0x3f0000
	v_lshrrev_b32_e32 v7, 7, v6
	v_and_b32_e32 v6, 64, v6
	v_and_or_b32 v5, v8, s0, v5
	v_cmp_ne_u32_e32 vcc, 0, v6
	v_cmp_ne_u32_e64 s[0:1], 0, v5
	s_and_b64 s[0:1], vcc, s[0:1]
	v_cndmask_b32_e64 v5, 0, 1, s[0:1]
	v_add_u32_e32 v7, v7, v5
; %bb.665:
	s_or_b64 exec, exec, s[28:29]
	s_mov_b64 s[28:29], -1
	s_mov_b64 s[0:1], 0
	global_store_byte v[0:1], v7, off
.LBB30_666:
	s_mov_b64 s[30:31], 0
.LBB30_667:
	s_and_b64 vcc, exec, s[30:31]
	s_cbranch_vccz .LBB30_670
; %bb.668:
	v_mov_b32_e32 v5, 29
	v_cmp_eq_u16_sdwa s[30:31], s33, v5 src0_sel:BYTE_0 src1_sel:DWORD
	s_mov_b64 s[0:1], -1
	s_and_b64 vcc, exec, s[30:31]
	s_cbranch_vccz .LBB30_670
; %bb.669:
	v_lshlrev_b32_e32 v5, 16, v4
	v_trunc_f32_e32 v5, v5
	v_mul_f32_e32 v6, 0x2f800000, v5
	v_floor_f32_e32 v6, v6
	v_fmac_f32_e32 v5, 0xcf800000, v6
	v_cvt_u32_f32_e32 v7, v6
	v_cvt_u32_f32_e32 v6, v5
	s_mov_b64 s[28:29], -1
	s_mov_b64 s[0:1], 0
	s_mov_b64 s[30:31], 0
	global_store_dwordx2 v[0:1], v[6:7], off
	s_branch .LBB30_671
.LBB30_670:
	s_mov_b64 s[30:31], 0
.LBB30_671:
	s_and_b64 vcc, exec, s[30:31]
	s_cbranch_vccz .LBB30_687
; %bb.672:
	v_mov_b32_e32 v5, 27
	v_cmp_lt_i16_sdwa s[30:31], s33, v5 src0_sel:BYTE_0 src1_sel:DWORD
	s_mov_b64 s[28:29], -1
	s_and_b64 vcc, exec, s[30:31]
	s_cbranch_vccnz .LBB30_678
; %bb.673:
	v_cmp_gt_i16_sdwa s[30:31], s33, v5 src0_sel:BYTE_0 src1_sel:DWORD
	s_and_b64 vcc, exec, s[30:31]
	s_cbranch_vccz .LBB30_675
; %bb.674:
	v_lshlrev_b32_e32 v5, 16, v4
	v_cvt_u32_f32_e32 v5, v5
	s_mov_b64 s[28:29], 0
	global_store_dword v[0:1], v5, off
.LBB30_675:
	s_andn2_b64 vcc, exec, s[28:29]
	s_cbranch_vccnz .LBB30_677
; %bb.676:
	v_lshlrev_b32_e32 v5, 16, v4
	v_cvt_u32_f32_e32 v5, v5
	global_store_short v[0:1], v5, off
.LBB30_677:
	s_mov_b64 s[28:29], 0
.LBB30_678:
	s_andn2_b64 vcc, exec, s[28:29]
	s_cbranch_vccnz .LBB30_686
; %bb.679:
	v_lshlrev_b32_e32 v7, 16, v4
	v_and_b32_e32 v6, 0x7fffffff, v7
	s_mov_b32 s28, 0x43800000
	v_cmp_gt_u32_e32 vcc, s28, v6
	v_mov_b32_e32 v8, 0x80
	s_and_saveexec_b64 s[28:29], vcc
	s_cbranch_execz .LBB30_685
; %bb.680:
	s_mov_b32 s30, 0x3bffffff
	v_and_b32_e32 v5, 0xffff, v4
	v_cmp_lt_u32_e32 vcc, s30, v6
	s_mov_b64 s[30:31], 0
                                        ; implicit-def: $vgpr6
	s_and_saveexec_b64 s[34:35], vcc
	s_xor_b64 s[34:35], exec, s[34:35]
	s_cbranch_execz .LBB30_787
; %bb.681:
	v_bfe_u32 v6, v5, 4, 1
	s_mov_b32 s36, 0x487ffff
	v_add3_u32 v6, v7, v6, s36
	s_mov_b64 s[30:31], exec
	v_lshrrev_b32_e32 v6, 20, v6
                                        ; implicit-def: $vgpr7
	s_or_saveexec_b64 s[34:35], s[34:35]
                                        ; implicit-def: $sgpr36
	s_xor_b64 exec, exec, s[34:35]
	s_cbranch_execnz .LBB30_788
.LBB30_682:
	s_or_b64 exec, exec, s[34:35]
	v_mov_b32_e32 v8, s36
	s_and_saveexec_b64 s[34:35], s[30:31]
.LBB30_683:
	v_lshrrev_b32_e32 v5, 8, v5
	s_movk_i32 s30, 0x80
	v_and_or_b32 v8, v5, s30, v6
.LBB30_684:
	s_or_b64 exec, exec, s[34:35]
.LBB30_685:
	s_or_b64 exec, exec, s[28:29]
	global_store_byte v[0:1], v8, off
.LBB30_686:
	s_mov_b64 s[28:29], -1
.LBB30_687:
	s_mov_b64 s[30:31], 0
.LBB30_688:
	s_and_b64 vcc, exec, s[30:31]
	s_cbranch_vccz .LBB30_729
; %bb.689:
	v_mov_b32_e32 v5, 22
	v_cmp_gt_i16_sdwa s[34:35], s33, v5 src0_sel:BYTE_0 src1_sel:DWORD
	s_mov_b64 s[30:31], -1
	s_and_b64 vcc, exec, s[34:35]
	s_cbranch_vccz .LBB30_721
; %bb.690:
	v_mov_b32_e32 v5, 24
	v_cmp_lt_i16_sdwa s[30:31], s33, v5 src0_sel:BYTE_0 src1_sel:DWORD
	s_mov_b64 s[28:29], -1
	s_and_b64 vcc, exec, s[30:31]
	s_cbranch_vccnz .LBB30_710
; %bb.691:
	v_cmp_gt_i16_sdwa s[30:31], s33, v5 src0_sel:BYTE_0 src1_sel:DWORD
	s_and_b64 vcc, exec, s[30:31]
	s_cbranch_vccz .LBB30_699
; %bb.692:
	v_lshlrev_b32_e32 v7, 16, v4
	v_and_b32_e32 v6, 0x7fffffff, v7
	s_mov_b32 s28, 0x47800000
	v_cmp_gt_u32_e32 vcc, s28, v6
	v_mov_b32_e32 v8, 0x80
	s_and_saveexec_b64 s[28:29], vcc
	s_cbranch_execz .LBB30_698
; %bb.693:
	s_mov_b32 s30, 0x37ffffff
	v_and_b32_e32 v5, 0xffff, v4
	v_cmp_lt_u32_e32 vcc, s30, v6
	s_mov_b64 s[30:31], 0
                                        ; implicit-def: $vgpr6
	s_and_saveexec_b64 s[34:35], vcc
	s_xor_b64 s[34:35], exec, s[34:35]
	s_cbranch_execz .LBB30_790
; %bb.694:
	v_bfe_u32 v6, v5, 5, 1
	s_mov_b32 s36, 0x88fffff
	v_add3_u32 v6, v7, v6, s36
	s_mov_b64 s[30:31], exec
	v_lshrrev_b32_e32 v6, 21, v6
                                        ; implicit-def: $vgpr7
	s_or_saveexec_b64 s[34:35], s[34:35]
                                        ; implicit-def: $sgpr36
	s_xor_b64 exec, exec, s[34:35]
	s_cbranch_execnz .LBB30_791
.LBB30_695:
	s_or_b64 exec, exec, s[34:35]
	v_mov_b32_e32 v8, s36
	s_and_saveexec_b64 s[34:35], s[30:31]
.LBB30_696:
	v_lshrrev_b32_e32 v5, 8, v5
	s_movk_i32 s30, 0x80
	v_and_or_b32 v8, v5, s30, v6
.LBB30_697:
	s_or_b64 exec, exec, s[34:35]
.LBB30_698:
	s_or_b64 exec, exec, s[28:29]
	s_mov_b64 s[28:29], 0
	global_store_byte v[0:1], v8, off
.LBB30_699:
	s_and_b64 vcc, exec, s[28:29]
	s_cbranch_vccz .LBB30_709
; %bb.700:
	v_lshlrev_b32_e32 v7, 16, v4
	v_and_b32_e32 v8, 0x7fffffff, v7
	s_mov_b32 s28, 0x43f00000
	v_and_b32_e32 v5, 0xffff, v4
	v_cmp_gt_u32_e32 vcc, s28, v8
                                        ; implicit-def: $vgpr6
	s_and_saveexec_b64 s[28:29], vcc
	s_xor_b64 s[28:29], exec, s[28:29]
	s_cbranch_execz .LBB30_706
; %bb.701:
	s_mov_b32 s30, 0x3c7fffff
	v_cmp_lt_u32_e32 vcc, s30, v8
                                        ; implicit-def: $vgpr6
	s_and_saveexec_b64 s[30:31], vcc
	s_xor_b64 s[30:31], exec, s[30:31]
; %bb.702:
	v_bfe_u32 v6, v5, 4, 1
	s_mov_b32 s34, 0x407ffff
	v_add3_u32 v6, v7, v6, s34
	v_lshrrev_b32_e32 v7, 20, v6
	v_and_b32_e32 v6, 0xff00000, v6
	s_mov_b32 s34, 0x7f00000
	v_mov_b32_e32 v8, 0x7e
	v_cmp_ne_u32_e32 vcc, s34, v6
	v_cndmask_b32_e32 v6, v8, v7, vcc
                                        ; implicit-def: $vgpr7
; %bb.703:
	s_andn2_saveexec_b64 s[30:31], s[30:31]
; %bb.704:
	s_mov_b32 s34, 0x46800000
	v_add_f32_e64 v6, |v7|, s34
; %bb.705:
	s_or_b64 exec, exec, s[30:31]
                                        ; implicit-def: $vgpr8
.LBB30_706:
	s_andn2_saveexec_b64 s[28:29], s[28:29]
; %bb.707:
	s_mov_b32 s30, 0x7f800000
	v_mov_b32_e32 v6, 0x7e
	v_mov_b32_e32 v7, 0x7f
	v_cmp_lt_u32_e32 vcc, s30, v8
	v_cndmask_b32_e32 v6, v6, v7, vcc
; %bb.708:
	s_or_b64 exec, exec, s[28:29]
	v_lshrrev_b32_e32 v5, 8, v5
	s_movk_i32 s28, 0x80
	v_and_or_b32 v5, v5, s28, v6
	global_store_byte v[0:1], v5, off
.LBB30_709:
	s_mov_b64 s[28:29], 0
.LBB30_710:
	s_andn2_b64 vcc, exec, s[28:29]
	s_cbranch_vccnz .LBB30_720
; %bb.711:
	v_lshlrev_b32_e32 v7, 16, v4
	v_and_b32_e32 v8, 0x7fffffff, v7
	s_mov_b32 s28, 0x47800000
	v_and_b32_e32 v5, 0xffff, v4
	v_cmp_gt_u32_e32 vcc, s28, v8
                                        ; implicit-def: $vgpr6
	s_and_saveexec_b64 s[28:29], vcc
	s_xor_b64 s[28:29], exec, s[28:29]
	s_cbranch_execz .LBB30_717
; %bb.712:
	s_mov_b32 s30, 0x387fffff
	v_cmp_lt_u32_e32 vcc, s30, v8
                                        ; implicit-def: $vgpr6
	s_and_saveexec_b64 s[30:31], vcc
	s_xor_b64 s[30:31], exec, s[30:31]
; %bb.713:
	v_bfe_u32 v6, v5, 5, 1
	s_mov_b32 s34, 0x80fffff
	v_add3_u32 v6, v7, v6, s34
	v_lshrrev_b32_e32 v6, 21, v6
                                        ; implicit-def: $vgpr7
; %bb.714:
	s_andn2_saveexec_b64 s[30:31], s[30:31]
; %bb.715:
	s_mov_b32 s34, 0x43000000
	v_add_f32_e64 v6, |v7|, s34
; %bb.716:
	s_or_b64 exec, exec, s[30:31]
                                        ; implicit-def: $vgpr8
.LBB30_717:
	s_andn2_saveexec_b64 s[28:29], s[28:29]
; %bb.718:
	s_mov_b32 s30, 0x7f800000
	v_mov_b32_e32 v6, 0x7c
	v_mov_b32_e32 v7, 0x7f
	v_cmp_lt_u32_e32 vcc, s30, v8
	v_cndmask_b32_e32 v6, v6, v7, vcc
; %bb.719:
	s_or_b64 exec, exec, s[28:29]
	v_lshrrev_b32_e32 v5, 8, v5
	s_movk_i32 s28, 0x80
	v_and_or_b32 v5, v5, s28, v6
	global_store_byte v[0:1], v5, off
.LBB30_720:
	s_mov_b64 s[30:31], 0
	s_mov_b64 s[28:29], -1
.LBB30_721:
	s_andn2_b64 vcc, exec, s[30:31]
	s_cbranch_vccnz .LBB30_729
; %bb.722:
	v_mov_b32_e32 v5, 14
	v_cmp_gt_i16_sdwa s[34:35], s33, v5 src0_sel:BYTE_0 src1_sel:DWORD
	s_mov_b64 s[30:31], -1
	s_and_b64 vcc, exec, s[34:35]
	s_cbranch_vccz .LBB30_726
; %bb.723:
	v_mov_b32_e32 v5, 15
	v_cmp_eq_u16_sdwa s[30:31], s33, v5 src0_sel:BYTE_0 src1_sel:DWORD
	s_mov_b64 s[0:1], -1
	s_and_b64 vcc, exec, s[30:31]
	s_cbranch_vccz .LBB30_725
; %bb.724:
	global_store_short v[0:1], v4, off
	s_mov_b64 s[28:29], -1
	s_mov_b64 s[0:1], 0
.LBB30_725:
	s_mov_b64 s[30:31], 0
.LBB30_726:
	s_and_b64 vcc, exec, s[30:31]
	s_cbranch_vccz .LBB30_729
; %bb.727:
	v_mov_b32_e32 v5, 11
	v_cmp_eq_u16_sdwa s[30:31], s33, v5 src0_sel:BYTE_0 src1_sel:DWORD
	s_mov_b64 s[0:1], -1
	s_and_b64 vcc, exec, s[30:31]
	s_cbranch_vccz .LBB30_729
; %bb.728:
	v_and_b32_e32 v5, 0x7fff, v4
	v_cmp_ne_u16_e32 vcc, 0, v5
	v_cndmask_b32_e64 v5, 0, 1, vcc
	s_mov_b64 s[28:29], -1
	s_mov_b64 s[0:1], 0
	global_store_byte v[0:1], v5, off
.LBB30_729:
	s_mov_b64 s[30:31], 0
.LBB30_730:
	s_and_b64 vcc, exec, s[30:31]
	s_cbranch_vccz .LBB30_769
; %bb.731:
	v_mov_b32_e32 v5, 5
	v_cmp_lt_i16_sdwa s[30:31], s33, v5 src0_sel:BYTE_0 src1_sel:DWORD
	s_mov_b64 s[28:29], -1
	s_and_b64 vcc, exec, s[30:31]
	s_cbranch_vccnz .LBB30_752
; %bb.732:
	v_mov_b32_e32 v5, 8
	v_cmp_lt_i16_sdwa s[30:31], s33, v5 src0_sel:BYTE_0 src1_sel:DWORD
	s_and_b64 vcc, exec, s[30:31]
	s_cbranch_vccnz .LBB30_742
; %bb.733:
	v_mov_b32_e32 v5, 9
	v_cmp_lt_i16_sdwa s[30:31], s33, v5 src0_sel:BYTE_0 src1_sel:DWORD
	s_and_b64 vcc, exec, s[30:31]
	s_cbranch_vccnz .LBB30_739
; %bb.734:
	v_cmp_gt_i16_sdwa s[30:31], s33, v5 src0_sel:BYTE_0 src1_sel:DWORD
	s_and_b64 vcc, exec, s[30:31]
	s_cbranch_vccz .LBB30_736
; %bb.735:
	v_lshlrev_b32_e32 v5, 16, v4
	v_mov_b32_e32 v8, 0
	v_cvt_f64_f32_e32 v[6:7], v5
	v_mov_b32_e32 v9, v8
	s_mov_b64 s[28:29], 0
	global_store_dwordx4 v[0:1], v[6:9], off
.LBB30_736:
	s_andn2_b64 vcc, exec, s[28:29]
	s_cbranch_vccnz .LBB30_738
; %bb.737:
	v_lshlrev_b32_e32 v6, 16, v4
	v_mov_b32_e32 v7, 0
	global_store_dwordx2 v[0:1], v[6:7], off
.LBB30_738:
	s_mov_b64 s[28:29], 0
.LBB30_739:
	s_andn2_b64 vcc, exec, s[28:29]
	s_cbranch_vccnz .LBB30_741
; %bb.740:
	v_lshlrev_b32_e32 v5, 16, v4
	v_cvt_f16_f32_e32 v5, v5
	global_store_dword v[0:1], v5, off
.LBB30_741:
	s_mov_b64 s[28:29], 0
.LBB30_742:
	s_andn2_b64 vcc, exec, s[28:29]
	s_cbranch_vccnz .LBB30_751
; %bb.743:
	v_mov_b32_e32 v5, 6
	v_cmp_lt_i16_sdwa s[30:31], s33, v5 src0_sel:BYTE_0 src1_sel:DWORD
	s_mov_b64 s[28:29], -1
	s_and_b64 vcc, exec, s[30:31]
	s_cbranch_vccnz .LBB30_749
; %bb.744:
	v_cmp_gt_i16_sdwa s[30:31], s33, v5 src0_sel:BYTE_0 src1_sel:DWORD
	s_and_b64 vcc, exec, s[30:31]
	s_cbranch_vccz .LBB30_746
; %bb.745:
	v_lshlrev_b32_e32 v5, 16, v4
	v_cvt_f64_f32_e32 v[6:7], v5
	s_mov_b64 s[28:29], 0
	global_store_dwordx2 v[0:1], v[6:7], off
.LBB30_746:
	s_andn2_b64 vcc, exec, s[28:29]
	s_cbranch_vccnz .LBB30_748
; %bb.747:
	v_lshlrev_b32_e32 v5, 16, v4
	global_store_dword v[0:1], v5, off
.LBB30_748:
	s_mov_b64 s[28:29], 0
.LBB30_749:
	s_andn2_b64 vcc, exec, s[28:29]
	s_cbranch_vccnz .LBB30_751
; %bb.750:
	v_lshlrev_b32_e32 v5, 16, v4
	v_cvt_f16_f32_e32 v5, v5
	global_store_short v[0:1], v5, off
.LBB30_751:
	s_mov_b64 s[28:29], 0
.LBB30_752:
	s_andn2_b64 vcc, exec, s[28:29]
	s_cbranch_vccnz .LBB30_768
; %bb.753:
	v_mov_b32_e32 v5, 2
	v_cmp_lt_i16_sdwa s[30:31], s33, v5 src0_sel:BYTE_0 src1_sel:DWORD
	s_mov_b64 s[28:29], -1
	s_and_b64 vcc, exec, s[30:31]
	s_cbranch_vccnz .LBB30_763
; %bb.754:
	v_mov_b32_e32 v5, 3
	v_cmp_lt_i16_sdwa s[30:31], s33, v5 src0_sel:BYTE_0 src1_sel:DWORD
	s_and_b64 vcc, exec, s[30:31]
	s_cbranch_vccnz .LBB30_760
; %bb.755:
	v_cmp_gt_i16_sdwa s[30:31], s33, v5 src0_sel:BYTE_0 src1_sel:DWORD
	s_and_b64 vcc, exec, s[30:31]
	s_cbranch_vccz .LBB30_757
; %bb.756:
	v_lshlrev_b32_e32 v5, 16, v4
	v_trunc_f32_e32 v5, v5
	s_mov_b32 s28, 0x2f800000
	v_mul_f32_e64 v6, |v5|, s28
	v_floor_f32_e32 v6, v6
	s_mov_b32 s28, 0xcf800000
	v_cvt_u32_f32_e32 v7, v6
	v_fma_f32 v6, v6, s28, |v5|
	v_cvt_u32_f32_e32 v6, v6
	v_ashrrev_i32_e32 v5, 31, v5
	v_xor_b32_e32 v7, v7, v5
	s_mov_b64 s[28:29], 0
	v_xor_b32_e32 v6, v6, v5
	v_sub_co_u32_e32 v6, vcc, v6, v5
	v_subb_co_u32_e32 v7, vcc, v7, v5, vcc
	global_store_dwordx2 v[0:1], v[6:7], off
.LBB30_757:
	s_andn2_b64 vcc, exec, s[28:29]
	s_cbranch_vccnz .LBB30_759
; %bb.758:
	v_lshlrev_b32_e32 v5, 16, v4
	v_cvt_i32_f32_e32 v5, v5
	global_store_dword v[0:1], v5, off
.LBB30_759:
	s_mov_b64 s[28:29], 0
.LBB30_760:
	s_andn2_b64 vcc, exec, s[28:29]
	s_cbranch_vccnz .LBB30_762
; %bb.761:
	v_lshlrev_b32_e32 v5, 16, v4
	v_cvt_i32_f32_e32 v5, v5
	global_store_short v[0:1], v5, off
.LBB30_762:
	s_mov_b64 s[28:29], 0
.LBB30_763:
	s_andn2_b64 vcc, exec, s[28:29]
	s_cbranch_vccnz .LBB30_768
; %bb.764:
	v_mov_b32_e32 v5, 0
	v_cmp_gt_i16_sdwa s[30:31], s33, v5 src0_sel:BYTE_0 src1_sel:DWORD
	s_mov_b64 s[28:29], -1
	s_and_b64 vcc, exec, s[30:31]
	v_lshlrev_b32_e32 v4, 16, v4
	s_cbranch_vccz .LBB30_766
; %bb.765:
	v_cvt_i32_f32_e32 v5, v4
	s_mov_b64 s[28:29], 0
	global_store_byte v[0:1], v5, off
.LBB30_766:
	s_andn2_b64 vcc, exec, s[28:29]
	s_cbranch_vccnz .LBB30_768
; %bb.767:
	v_trunc_f32_e32 v4, v4
	s_mov_b32 s28, 0x2f800000
	v_mul_f32_e64 v5, |v4|, s28
	v_floor_f32_e32 v5, v5
	s_mov_b32 s28, 0xcf800000
	v_fma_f32 v5, v5, s28, |v4|
	v_cvt_u32_f32_e32 v5, v5
	v_ashrrev_i32_e32 v4, 31, v4
	v_xor_b32_e32 v5, v5, v4
	v_sub_u32_e32 v4, v5, v4
	global_store_byte v[0:1], v4, off
.LBB30_768:
	s_mov_b64 s[28:29], -1
.LBB30_769:
	s_andn2_b64 vcc, exec, s[28:29]
	s_cbranch_vccnz .LBB30_771
; %bb.770:
	v_add_u32_e32 v2, 0x80, v2
	s_mov_b64 s[30:31], -1
	s_branch .LBB30_773
.LBB30_771:
	s_mov_b64 s[30:31], 0
.LBB30_772:
                                        ; implicit-def: $vgpr2
.LBB30_773:
	s_andn2_b64 s[28:29], s[20:21], exec
	s_and_b64 s[0:1], s[0:1], exec
	s_or_b64 s[28:29], s[28:29], s[0:1]
	s_andn2_b64 s[0:1], s[18:19], exec
	s_and_b64 s[26:27], s[26:27], exec
	s_or_b64 s[0:1], s[0:1], s[26:27]
	s_orn2_b64 s[34:35], s[30:31], exec
.LBB30_774:
	s_or_b64 exec, exec, s[24:25]
	s_mov_b64 s[30:31], 0
	s_mov_b64 s[26:27], 0
	;; [unrolled: 1-line block ×3, first 2 shown]
                                        ; implicit-def: $vgpr0_vgpr1
                                        ; implicit-def: $vgpr6
	s_and_saveexec_b64 s[24:25], s[34:35]
	s_cbranch_execz .LBB30_859
; %bb.775:
	v_cmp_gt_i32_e32 vcc, s38, v2
	s_mov_b64 s[34:35], 0
	s_mov_b64 s[38:39], s[0:1]
	s_mov_b64 s[40:41], 0
                                        ; implicit-def: $vgpr0_vgpr1
                                        ; implicit-def: $vgpr6
	s_and_saveexec_b64 s[26:27], vcc
	s_cbranch_execz .LBB30_858
; %bb.776:
	v_mul_lo_u32 v0, v2, s3
	v_ashrrev_i32_e32 v1, 31, v0
	s_waitcnt vmcnt(0)
	v_mov_b32_e32 v4, s11
	v_add_co_u32_e32 v0, vcc, s10, v0
	v_addc_co_u32_e32 v1, vcc, v4, v1, vcc
	v_cmp_lt_i16_e64 s[30:31], s43, 11
	s_and_b64 vcc, exec, s[30:31]
	s_cbranch_vccnz .LBB30_783
; %bb.777:
	v_cmp_gt_i16_e64 s[30:31], s43, 25
	s_and_b64 vcc, exec, s[30:31]
	s_cbranch_vccz .LBB30_784
; %bb.778:
	v_cmp_gt_i16_e64 s[30:31], s43, 28
	s_and_b64 vcc, exec, s[30:31]
	s_cbranch_vccz .LBB30_785
	;; [unrolled: 4-line block ×4, first 2 shown]
; %bb.781:
	v_cmp_eq_u16_e64 s[30:31], s43, 46
	s_mov_b64 s[38:39], 0
	s_and_b64 vcc, exec, s[30:31]
	s_cbranch_vccz .LBB30_792
; %bb.782:
	global_load_dword v6, v[0:1], off
	s_mov_b64 s[30:31], 0
	s_mov_b64 s[36:37], -1
	s_branch .LBB30_794
.LBB30_783:
	s_mov_b64 s[38:39], -1
                                        ; implicit-def: $vgpr6
	s_mov_b64 s[30:31], s[0:1]
	s_branch .LBB30_857
.LBB30_784:
	s_mov_b64 s[38:39], -1
	s_mov_b64 s[30:31], s[0:1]
                                        ; implicit-def: $vgpr6
	s_branch .LBB30_823
.LBB30_785:
	s_mov_b64 s[38:39], -1
	s_mov_b64 s[30:31], s[0:1]
                                        ; implicit-def: $vgpr6
	s_branch .LBB30_804
.LBB30_786:
	s_mov_b64 s[38:39], -1
	s_mov_b64 s[30:31], s[0:1]
                                        ; implicit-def: $vgpr6
	s_branch .LBB30_799
.LBB30_787:
	s_or_saveexec_b64 s[34:35], s[34:35]
                                        ; implicit-def: $sgpr36
	s_xor_b64 exec, exec, s[34:35]
	s_cbranch_execz .LBB30_682
.LBB30_788:
	s_mov_b32 s36, 0x46000000
	v_add_f32_e64 v6, |v7|, s36
	v_and_b32_e32 v6, 0xff, v6
	v_cmp_ne_u32_e32 vcc, 0, v6
	s_andn2_b64 s[30:31], s[30:31], exec
	s_and_b64 s[40:41], vcc, exec
	s_mov_b32 s36, 0
	s_or_b64 s[30:31], s[30:31], s[40:41]
	s_or_b64 exec, exec, s[34:35]
	v_mov_b32_e32 v8, s36
	s_and_saveexec_b64 s[34:35], s[30:31]
	s_cbranch_execnz .LBB30_683
	s_branch .LBB30_684
.LBB30_789:
	s_mov_b64 s[38:39], -1
	s_mov_b64 s[30:31], s[0:1]
	s_branch .LBB30_793
.LBB30_790:
	s_or_saveexec_b64 s[34:35], s[34:35]
                                        ; implicit-def: $sgpr36
	s_xor_b64 exec, exec, s[34:35]
	s_cbranch_execz .LBB30_695
.LBB30_791:
	s_mov_b32 s36, 0x42800000
	v_add_f32_e64 v6, |v7|, s36
	v_and_b32_e32 v6, 0xff, v6
	v_cmp_ne_u32_e32 vcc, 0, v6
	s_andn2_b64 s[30:31], s[30:31], exec
	s_and_b64 s[40:41], vcc, exec
	s_mov_b32 s36, 0
	s_or_b64 s[30:31], s[30:31], s[40:41]
	s_or_b64 exec, exec, s[34:35]
	v_mov_b32_e32 v8, s36
	s_and_saveexec_b64 s[34:35], s[30:31]
	s_cbranch_execnz .LBB30_696
	s_branch .LBB30_697
.LBB30_792:
	s_mov_b64 s[30:31], -1
.LBB30_793:
                                        ; implicit-def: $vgpr6
.LBB30_794:
	s_and_b64 vcc, exec, s[38:39]
	s_cbranch_vccz .LBB30_798
; %bb.795:
	v_cmp_eq_u16_e64 s[30:31], s43, 44
	s_and_b64 vcc, exec, s[30:31]
	s_cbranch_vccz .LBB30_797
; %bb.796:
	global_load_ubyte v4, v[0:1], off
	s_movk_i32 s36, 0xff
	v_mov_b32_e32 v5, 0x7f800001
	s_waitcnt vmcnt(1)
	v_mov_b32_e32 v6, 0x400000
	v_mov_b32_e32 v7, 0x7fc0
	s_mov_b64 s[30:31], 0
	s_waitcnt vmcnt(0)
	v_lshlrev_b32_e32 v8, 23, v4
	v_cmp_ne_u32_e32 vcc, s36, v4
	v_cndmask_b32_e32 v5, v5, v8, vcc
	v_cmp_ne_u32_e32 vcc, 0, v4
	v_cndmask_b32_e32 v4, v6, v5, vcc
	v_add_u32_e32 v5, 0x7fff, v4
	v_lshrrev_b32_e32 v5, 16, v5
	v_cmp_o_f32_e32 vcc, v4, v4
	v_cndmask_b32_e32 v6, v7, v5, vcc
	s_mov_b64 s[36:37], -1
	s_branch .LBB30_798
.LBB30_797:
	s_mov_b64 s[30:31], -1
                                        ; implicit-def: $vgpr6
.LBB30_798:
	s_mov_b64 s[38:39], 0
.LBB30_799:
	s_and_b64 vcc, exec, s[38:39]
	s_cbranch_vccz .LBB30_803
; %bb.800:
	v_cmp_eq_u16_e64 s[30:31], s43, 29
	s_and_b64 vcc, exec, s[30:31]
	s_cbranch_vccz .LBB30_802
; %bb.801:
	global_load_dwordx2 v[4:5], v[0:1], off
	s_movk_i32 s36, 0x7fff
	s_mov_b64 s[30:31], 0
	s_mov_b64 s[38:39], 0
	s_waitcnt vmcnt(0)
	v_ffbh_u32_e32 v6, v5
	v_min_u32_e32 v6, 32, v6
	v_lshlrev_b64 v[4:5], v6, v[4:5]
	v_min_u32_e32 v4, 1, v4
	v_or_b32_e32 v4, v5, v4
	v_cvt_f32_u32_e32 v4, v4
	v_sub_u32_e32 v5, 32, v6
	v_ldexp_f32 v4, v4, v5
	v_bfe_u32 v5, v4, 16, 1
	v_add3_u32 v4, v4, v5, s36
	v_lshrrev_b32_e32 v6, 16, v4
	s_mov_b64 s[36:37], -1
	s_branch .LBB30_804
.LBB30_802:
	s_mov_b64 s[30:31], -1
                                        ; implicit-def: $vgpr6
.LBB30_803:
	s_mov_b64 s[38:39], 0
.LBB30_804:
	s_and_b64 vcc, exec, s[38:39]
	s_cbranch_vccz .LBB30_822
; %bb.805:
	v_cmp_lt_i16_e64 s[36:37], s43, 27
	s_and_b64 vcc, exec, s[36:37]
	s_cbranch_vccnz .LBB30_808
; %bb.806:
	v_cmp_gt_i16_e64 s[36:37], s43, 27
	s_and_b64 vcc, exec, s[36:37]
	s_cbranch_vccz .LBB30_809
; %bb.807:
	global_load_dword v4, v[0:1], off
	s_movk_i32 s36, 0x7fff
	s_waitcnt vmcnt(0)
	v_cvt_f32_u32_e32 v4, v4
	v_bfe_u32 v5, v4, 16, 1
	v_add3_u32 v4, v4, v5, s36
	v_lshrrev_b32_e32 v6, 16, v4
	s_mov_b64 s[36:37], 0
	s_branch .LBB30_810
.LBB30_808:
	s_mov_b64 s[36:37], -1
                                        ; implicit-def: $vgpr6
	s_branch .LBB30_813
.LBB30_809:
	s_mov_b64 s[36:37], -1
                                        ; implicit-def: $vgpr6
.LBB30_810:
	s_andn2_b64 vcc, exec, s[36:37]
	s_cbranch_vccnz .LBB30_812
; %bb.811:
	global_load_ushort v4, v[0:1], off
	s_movk_i32 s36, 0x7fff
	s_waitcnt vmcnt(0)
	v_cvt_f32_u32_e32 v4, v4
	v_bfe_u32 v5, v4, 16, 1
	v_add3_u32 v4, v4, v5, s36
	v_lshrrev_b32_e32 v6, 16, v4
.LBB30_812:
	s_mov_b64 s[36:37], 0
.LBB30_813:
	s_andn2_b64 vcc, exec, s[36:37]
	s_cbranch_vccnz .LBB30_821
; %bb.814:
	global_load_ubyte v4, v[0:1], off
	s_movk_i32 s36, 0x7f
                                        ; implicit-def: $sgpr45
	s_waitcnt vmcnt(0)
	v_cmp_lt_i16_e32 vcc, s36, v4
	s_mov_b64 s[36:37], 0
	s_and_saveexec_b64 s[38:39], vcc
	s_xor_b64 s[38:39], exec, s[38:39]
	s_cbranch_execz .LBB30_835
; %bb.815:
	s_movk_i32 s36, 0x80
	v_cmp_eq_u16_e32 vcc, s36, v4
	s_mov_b64 s[36:37], -1
                                        ; implicit-def: $sgpr45
	s_and_saveexec_b64 s[40:41], vcc
; %bb.816:
	s_mov_b32 s45, 0x7f800001
	s_xor_b64 s[36:37], exec, -1
; %bb.817:
	s_or_b64 exec, exec, s[40:41]
	s_and_b64 s[36:37], s[36:37], exec
	s_or_saveexec_b64 s[38:39], s[38:39]
	v_mov_b32_e32 v5, s45
	s_xor_b64 exec, exec, s[38:39]
	s_cbranch_execnz .LBB30_836
.LBB30_818:
	s_or_b64 exec, exec, s[38:39]
	s_and_saveexec_b64 s[38:39], s[36:37]
	s_cbranch_execz .LBB30_820
.LBB30_819:
	v_lshlrev_b32_e32 v5, 24, v4
	v_and_b32_e32 v4, 0xffff, v4
	v_and_b32_e32 v6, 7, v4
	v_ffbh_u32_e32 v8, v6
	v_min_u32_e32 v8, 32, v8
	v_subrev_u32_e32 v9, 28, v8
	v_bfe_u32 v7, v4, 3, 4
	v_lshlrev_b32_e32 v4, v9, v4
	v_sub_u32_e32 v8, 29, v8
	v_and_b32_e32 v4, 7, v4
	v_cmp_eq_u32_e32 vcc, 0, v7
	v_cndmask_b32_e32 v7, v7, v8, vcc
	v_cndmask_b32_e32 v4, v6, v4, vcc
	v_mov_b32_e32 v6, 0x3b800000
	v_lshlrev_b32_e32 v4, 20, v4
	v_and_b32_e32 v5, 0x80000000, v5
	v_lshl_add_u32 v6, v7, 23, v6
	v_or3_b32 v5, v5, v6, v4
.LBB30_820:
	s_or_b64 exec, exec, s[38:39]
	v_bfe_u32 v4, v5, 16, 1
	s_movk_i32 s36, 0x7fff
	v_add3_u32 v4, v5, v4, s36
	v_lshrrev_b32_e32 v4, 16, v4
	v_mov_b32_e32 v6, 0x7fc0
	v_cmp_o_f32_e32 vcc, v5, v5
	v_cndmask_b32_e32 v6, v6, v4, vcc
.LBB30_821:
	s_mov_b64 s[36:37], -1
.LBB30_822:
	s_mov_b64 s[38:39], 0
.LBB30_823:
	s_and_b64 vcc, exec, s[38:39]
	s_cbranch_vccz .LBB30_856
; %bb.824:
	v_cmp_gt_i16_e64 s[34:35], s43, 22
	s_and_b64 vcc, exec, s[34:35]
	s_cbranch_vccz .LBB30_834
; %bb.825:
	v_cmp_lt_i16_e64 s[34:35], s43, 24
	s_and_b64 vcc, exec, s[34:35]
	s_cbranch_vccnz .LBB30_837
; %bb.826:
	v_cmp_gt_i16_e64 s[34:35], s43, 24
	s_and_b64 vcc, exec, s[34:35]
	s_cbranch_vccz .LBB30_838
; %bb.827:
	global_load_ubyte v4, v[0:1], off
	s_movk_i32 s34, 0x7f
                                        ; implicit-def: $sgpr40
	s_waitcnt vmcnt(0)
	v_cmp_lt_i16_e32 vcc, s34, v4
	s_mov_b64 s[34:35], 0
	s_and_saveexec_b64 s[36:37], vcc
	s_xor_b64 s[36:37], exec, s[36:37]
	s_cbranch_execz .LBB30_850
; %bb.828:
	s_movk_i32 s34, 0x80
	v_cmp_eq_u16_e32 vcc, s34, v4
	s_mov_b64 s[34:35], -1
                                        ; implicit-def: $sgpr40
	s_and_saveexec_b64 s[38:39], vcc
; %bb.829:
	s_mov_b32 s40, 0x7f800001
	s_xor_b64 s[34:35], exec, -1
; %bb.830:
	s_or_b64 exec, exec, s[38:39]
	s_and_b64 s[34:35], s[34:35], exec
	s_or_saveexec_b64 s[36:37], s[36:37]
	v_mov_b32_e32 v5, s40
	s_xor_b64 exec, exec, s[36:37]
	s_cbranch_execnz .LBB30_851
.LBB30_831:
	s_or_b64 exec, exec, s[36:37]
	s_and_saveexec_b64 s[36:37], s[34:35]
	s_cbranch_execz .LBB30_833
.LBB30_832:
	v_lshlrev_b32_e32 v5, 24, v4
	v_and_b32_e32 v4, 0xffff, v4
	v_and_b32_e32 v6, 3, v4
	v_ffbh_u32_e32 v8, v6
	v_min_u32_e32 v8, 32, v8
	v_subrev_u32_e32 v9, 29, v8
	v_bfe_u32 v7, v4, 2, 5
	v_lshlrev_b32_e32 v4, v9, v4
	v_sub_u32_e32 v8, 30, v8
	v_and_b32_e32 v4, 3, v4
	v_cmp_eq_u32_e32 vcc, 0, v7
	v_cndmask_b32_e32 v7, v7, v8, vcc
	v_cndmask_b32_e32 v4, v6, v4, vcc
	v_mov_b32_e32 v6, 0x37800000
	v_lshlrev_b32_e32 v4, 21, v4
	v_and_b32_e32 v5, 0x80000000, v5
	v_lshl_add_u32 v6, v7, 23, v6
	v_or3_b32 v5, v5, v6, v4
.LBB30_833:
	s_or_b64 exec, exec, s[36:37]
	v_bfe_u32 v4, v5, 16, 1
	s_movk_i32 s34, 0x7fff
	v_add3_u32 v4, v5, v4, s34
	v_lshrrev_b32_e32 v4, 16, v4
	v_mov_b32_e32 v6, 0x7fc0
	v_cmp_o_f32_e32 vcc, v5, v5
	v_cndmask_b32_e32 v6, v6, v4, vcc
	s_mov_b64 s[34:35], 0
	s_branch .LBB30_839
.LBB30_834:
	s_mov_b64 s[34:35], -1
                                        ; implicit-def: $vgpr6
	s_branch .LBB30_845
.LBB30_835:
	s_or_saveexec_b64 s[38:39], s[38:39]
	v_mov_b32_e32 v5, s45
	s_xor_b64 exec, exec, s[38:39]
	s_cbranch_execz .LBB30_818
.LBB30_836:
	v_cmp_ne_u16_e32 vcc, 0, v4
	s_andn2_b64 s[36:37], s[36:37], exec
	s_and_b64 s[40:41], vcc, exec
	v_mov_b32_e32 v5, 0
	s_or_b64 s[36:37], s[36:37], s[40:41]
	s_or_b64 exec, exec, s[38:39]
	s_and_saveexec_b64 s[38:39], s[36:37]
	s_cbranch_execnz .LBB30_819
	s_branch .LBB30_820
.LBB30_837:
	s_mov_b64 s[34:35], -1
                                        ; implicit-def: $vgpr6
	s_branch .LBB30_842
.LBB30_838:
	s_mov_b64 s[34:35], -1
                                        ; implicit-def: $vgpr6
.LBB30_839:
	s_and_b64 vcc, exec, s[34:35]
	s_cbranch_vccz .LBB30_841
; %bb.840:
	global_load_ubyte v4, v[0:1], off
	s_mov_b32 s34, 0x7f800000
	s_brev_b32 s35, 1
	s_movk_i32 s36, 0x7fff
	v_mov_b32_e32 v5, 0x7fc0
	s_waitcnt vmcnt(0)
	v_lshlrev_b32_e32 v4, 24, v4
	v_and_b32_e32 v6, 0x7f000000, v4
	v_ffbh_u32_e32 v7, v6
	v_min_u32_e32 v7, 32, v7
	v_sub_u32_e64 v7, v7, 4 clamp
	v_lshlrev_b32_e32 v9, v7, v6
	v_lshlrev_b32_e32 v7, 23, v7
	v_lshrrev_b32_e32 v9, 4, v9
	v_add_u32_e32 v8, 0x1000000, v6
	v_sub_u32_e32 v7, v9, v7
	v_ashrrev_i32_e32 v8, 8, v8
	v_add_u32_e32 v7, 0x3c000000, v7
	v_and_or_b32 v7, v8, s34, v7
	v_cmp_ne_u32_e32 vcc, 0, v6
	v_cndmask_b32_e32 v6, 0, v7, vcc
	v_and_or_b32 v4, v4, s35, v6
	v_bfe_u32 v6, v6, 16, 1
	v_add3_u32 v6, v4, v6, s36
	v_lshrrev_b32_e32 v6, 16, v6
	v_cmp_o_f32_e32 vcc, v4, v4
	v_cndmask_b32_e32 v6, v5, v6, vcc
.LBB30_841:
	s_mov_b64 s[34:35], 0
.LBB30_842:
	s_andn2_b64 vcc, exec, s[34:35]
	s_cbranch_vccnz .LBB30_844
; %bb.843:
	global_load_ubyte v4, v[0:1], off
	s_movk_i32 s34, 0x7f00
	s_brev_b32 s35, 16
	s_brev_b32 s36, 1
	s_movk_i32 s37, 0x7fff
	v_mov_b32_e32 v5, 0x7fc0
	s_waitcnt vmcnt(0)
	v_lshlrev_b16_e32 v6, 8, v4
	v_lshlrev_b32_e32 v4, 25, v4
	v_lshrrev_b32_e32 v7, 4, v4
	v_and_or_b32 v8, v6, s34, 0.5
	v_or_b32_e32 v7, 0x70000000, v7
	v_add_f32_e32 v8, -0.5, v8
	v_mul_f32_e32 v7, 0x7800000, v7
	v_cmp_gt_u32_e32 vcc, s35, v4
	v_bfe_i32 v6, v6, 0, 16
	v_cndmask_b32_e32 v4, v7, v8, vcc
	v_and_or_b32 v6, v6, s36, v4
	v_bfe_u32 v4, v4, 16, 1
	v_add3_u32 v4, v6, v4, s37
	v_lshrrev_b32_e32 v4, 16, v4
	v_cmp_o_f32_e32 vcc, v6, v6
	v_cndmask_b32_e32 v6, v5, v4, vcc
.LBB30_844:
	s_mov_b64 s[34:35], 0
	s_mov_b64 s[36:37], -1
.LBB30_845:
	s_andn2_b64 vcc, exec, s[34:35]
	s_mov_b64 s[34:35], 0
	s_cbranch_vccnz .LBB30_856
; %bb.846:
	v_cmp_gt_i16_e64 s[34:35], s43, 14
	s_and_b64 vcc, exec, s[34:35]
	s_cbranch_vccz .LBB30_849
; %bb.847:
	v_cmp_eq_u16_e64 s[30:31], s43, 15
	s_and_b64 vcc, exec, s[30:31]
	s_cbranch_vccz .LBB30_852
; %bb.848:
	global_load_ushort v6, v[0:1], off
	s_mov_b64 s[30:31], 0
	s_mov_b64 s[36:37], -1
	s_branch .LBB30_853
.LBB30_849:
	s_mov_b64 s[38:39], -1
                                        ; implicit-def: $vgpr6
	s_branch .LBB30_854
.LBB30_850:
	s_or_saveexec_b64 s[36:37], s[36:37]
	v_mov_b32_e32 v5, s40
	s_xor_b64 exec, exec, s[36:37]
	s_cbranch_execz .LBB30_831
.LBB30_851:
	v_cmp_ne_u16_e32 vcc, 0, v4
	s_andn2_b64 s[34:35], s[34:35], exec
	s_and_b64 s[38:39], vcc, exec
	v_mov_b32_e32 v5, 0
	s_or_b64 s[34:35], s[34:35], s[38:39]
	s_or_b64 exec, exec, s[36:37]
	s_and_saveexec_b64 s[36:37], s[34:35]
	s_cbranch_execnz .LBB30_832
	s_branch .LBB30_833
.LBB30_852:
	s_mov_b64 s[30:31], -1
                                        ; implicit-def: $vgpr6
.LBB30_853:
	s_mov_b64 s[38:39], 0
.LBB30_854:
	s_mov_b64 s[34:35], 0
	s_and_b64 vcc, exec, s[38:39]
	s_cbranch_vccz .LBB30_856
; %bb.855:
	v_cmp_ne_u16_e64 s[38:39], s43, 11
	s_andn2_b64 s[30:31], s[30:31], exec
	s_and_b64 s[38:39], s[38:39], exec
	s_mov_b64 s[34:35], -1
	s_or_b64 s[30:31], s[30:31], s[38:39]
                                        ; implicit-def: $vgpr6
.LBB30_856:
	s_mov_b64 s[38:39], 0
.LBB30_857:
	s_and_b64 s[40:41], s[38:39], exec
	s_andn2_b64 s[38:39], s[0:1], exec
	s_and_b64 s[30:31], s[30:31], exec
	s_and_b64 s[36:37], s[36:37], exec
	s_and_b64 s[34:35], s[34:35], exec
	s_or_b64 s[38:39], s[38:39], s[30:31]
.LBB30_858:
	s_or_b64 exec, exec, s[26:27]
	s_and_b64 s[30:31], s[34:35], exec
	s_andn2_b64 s[0:1], s[0:1], exec
	s_and_b64 s[34:35], s[38:39], exec
	s_and_b64 s[36:37], s[36:37], exec
	;; [unrolled: 1-line block ×3, first 2 shown]
	s_or_b64 s[0:1], s[0:1], s[34:35]
.LBB30_859:
	s_or_b64 exec, exec, s[24:25]
	s_andn2_b64 s[20:21], s[20:21], exec
	s_and_b64 s[24:25], s[28:29], exec
	s_andn2_b64 s[18:19], s[18:19], exec
	s_and_b64 s[0:1], s[0:1], exec
	s_or_b64 s[20:21], s[20:21], s[24:25]
	s_and_b64 s[28:29], s[36:37], exec
	s_and_b64 s[26:27], s[26:27], exec
	;; [unrolled: 1-line block ×3, first 2 shown]
	s_or_b64 s[18:19], s[18:19], s[0:1]
.LBB30_860:
	s_or_b64 exec, exec, s[22:23]
	s_andn2_b64 s[0:1], s[12:13], exec
	s_and_b64 s[12:13], s[20:21], exec
	s_andn2_b64 s[14:15], s[14:15], exec
	s_and_b64 s[18:19], s[18:19], exec
	s_or_b64 s[12:13], s[0:1], s[12:13]
	s_and_b64 s[0:1], s[28:29], exec
	s_and_b64 s[22:23], s[26:27], exec
	;; [unrolled: 1-line block ×3, first 2 shown]
	s_or_b64 s[14:15], s[14:15], s[18:19]
	s_or_b64 exec, exec, s[16:17]
	s_mov_b64 s[16:17], 0
	s_and_saveexec_b64 s[18:19], s[14:15]
	s_cbranch_execz .LBB30_262
.LBB30_861:
	s_mov_b64 s[16:17], exec
	s_andn2_b64 s[20:21], s[20:21], exec
	s_trap 2
                                        ; implicit-def: $vgpr6
	s_or_b64 exec, exec, s[18:19]
	s_and_saveexec_b64 s[14:15], s[20:21]
	s_xor_b64 s[14:15], exec, s[14:15]
	s_cbranch_execnz .LBB30_263
.LBB30_862:
	s_or_b64 exec, exec, s[14:15]
	s_and_saveexec_b64 s[14:15], s[22:23]
	s_cbranch_execz .LBB30_908
.LBB30_863:
	v_cmp_lt_i16_e64 s[18:19], s43, 5
	s_and_b64 vcc, exec, s[18:19]
	s_cbranch_vccnz .LBB30_868
; %bb.864:
	v_cmp_lt_i16_e64 s[18:19], s43, 8
	s_and_b64 vcc, exec, s[18:19]
	s_cbranch_vccnz .LBB30_869
; %bb.865:
	;; [unrolled: 4-line block ×3, first 2 shown]
	v_cmp_gt_i16_e64 s[18:19], s43, 9
	s_and_b64 vcc, exec, s[18:19]
	s_cbranch_vccz .LBB30_871
; %bb.867:
	global_load_dwordx2 v[4:5], v[0:1], off
	s_movk_i32 s18, 0x7fff
	s_waitcnt vmcnt(1)
	v_mov_b32_e32 v6, 0x7fc0
	s_waitcnt vmcnt(0)
	v_cvt_f32_f64_e32 v4, v[4:5]
	v_bfe_u32 v5, v4, 16, 1
	v_add3_u32 v5, v4, v5, s18
	v_lshrrev_b32_e32 v5, 16, v5
	v_cmp_o_f32_e32 vcc, v4, v4
	v_cndmask_b32_e32 v6, v6, v5, vcc
	s_mov_b64 s[18:19], 0
	s_branch .LBB30_872
.LBB30_868:
                                        ; implicit-def: $vgpr6
	s_branch .LBB30_889
.LBB30_869:
                                        ; implicit-def: $vgpr6
	s_branch .LBB30_878
.LBB30_870:
	s_mov_b64 s[18:19], -1
                                        ; implicit-def: $vgpr6
	s_branch .LBB30_875
.LBB30_871:
	s_mov_b64 s[18:19], -1
                                        ; implicit-def: $vgpr6
.LBB30_872:
	s_andn2_b64 vcc, exec, s[18:19]
	s_cbranch_vccnz .LBB30_874
; %bb.873:
	global_load_dword v4, v[0:1], off
	s_movk_i32 s18, 0x7fff
	v_mov_b32_e32 v5, 0x7fc0
	s_waitcnt vmcnt(0)
	v_bfe_u32 v6, v4, 16, 1
	v_add3_u32 v6, v4, v6, s18
	v_lshrrev_b32_e32 v6, 16, v6
	v_cmp_o_f32_e32 vcc, v4, v4
	v_cndmask_b32_e32 v6, v5, v6, vcc
.LBB30_874:
	s_mov_b64 s[18:19], 0
.LBB30_875:
	s_andn2_b64 vcc, exec, s[18:19]
	s_cbranch_vccnz .LBB30_877
; %bb.876:
	global_load_dword v4, v[0:1], off
	s_movk_i32 s18, 0x7fff
	s_waitcnt vmcnt(1)
	v_mov_b32_e32 v6, 0x7fc0
	s_waitcnt vmcnt(0)
	v_cvt_f32_f16_e32 v5, v4
	v_cmp_o_f16_e32 vcc, v4, v4
	v_bfe_u32 v7, v5, 16, 1
	v_add3_u32 v5, v5, v7, s18
	v_lshrrev_b32_e32 v5, 16, v5
	v_cndmask_b32_e32 v6, v6, v5, vcc
.LBB30_877:
	s_cbranch_execnz .LBB30_888
.LBB30_878:
	v_cmp_lt_i16_e64 s[18:19], s43, 6
	s_and_b64 vcc, exec, s[18:19]
	s_cbranch_vccnz .LBB30_881
; %bb.879:
	v_cmp_gt_i16_e64 s[18:19], s43, 6
	s_and_b64 vcc, exec, s[18:19]
	s_cbranch_vccz .LBB30_882
; %bb.880:
	global_load_dwordx2 v[4:5], v[0:1], off
	s_movk_i32 s18, 0x7fff
	s_waitcnt vmcnt(1)
	v_mov_b32_e32 v6, 0x7fc0
	s_waitcnt vmcnt(0)
	v_cvt_f32_f64_e32 v4, v[4:5]
	v_bfe_u32 v5, v4, 16, 1
	v_add3_u32 v5, v4, v5, s18
	v_lshrrev_b32_e32 v5, 16, v5
	v_cmp_o_f32_e32 vcc, v4, v4
	v_cndmask_b32_e32 v6, v6, v5, vcc
	s_mov_b64 s[18:19], 0
	s_branch .LBB30_883
.LBB30_881:
	s_mov_b64 s[18:19], -1
                                        ; implicit-def: $vgpr6
	s_branch .LBB30_886
.LBB30_882:
	s_mov_b64 s[18:19], -1
                                        ; implicit-def: $vgpr6
.LBB30_883:
	s_andn2_b64 vcc, exec, s[18:19]
	s_cbranch_vccnz .LBB30_885
; %bb.884:
	global_load_dword v4, v[0:1], off
	s_movk_i32 s18, 0x7fff
	v_mov_b32_e32 v5, 0x7fc0
	s_waitcnt vmcnt(0)
	v_bfe_u32 v6, v4, 16, 1
	v_add3_u32 v6, v4, v6, s18
	v_lshrrev_b32_e32 v6, 16, v6
	v_cmp_o_f32_e32 vcc, v4, v4
	v_cndmask_b32_e32 v6, v5, v6, vcc
.LBB30_885:
	s_mov_b64 s[18:19], 0
.LBB30_886:
	s_andn2_b64 vcc, exec, s[18:19]
	s_cbranch_vccnz .LBB30_888
; %bb.887:
	global_load_ushort v4, v[0:1], off
	s_movk_i32 s18, 0x7fff
	s_waitcnt vmcnt(1)
	v_mov_b32_e32 v6, 0x7fc0
	s_waitcnt vmcnt(0)
	v_cvt_f32_f16_e32 v5, v4
	v_cmp_o_f16_e32 vcc, v4, v4
	v_bfe_u32 v7, v5, 16, 1
	v_add3_u32 v5, v5, v7, s18
	v_lshrrev_b32_e32 v5, 16, v5
	v_cndmask_b32_e32 v6, v6, v5, vcc
.LBB30_888:
	s_cbranch_execnz .LBB30_907
.LBB30_889:
	v_cmp_lt_i16_e64 s[18:19], s43, 2
	s_and_b64 vcc, exec, s[18:19]
	s_cbranch_vccnz .LBB30_893
; %bb.890:
	v_cmp_lt_i16_e64 s[18:19], s43, 3
	s_and_b64 vcc, exec, s[18:19]
	s_cbranch_vccnz .LBB30_894
; %bb.891:
	v_cmp_gt_i16_e64 s[18:19], s43, 3
	s_and_b64 vcc, exec, s[18:19]
	s_cbranch_vccz .LBB30_895
; %bb.892:
	global_load_dwordx2 v[4:5], v[0:1], off
	s_movk_i32 s18, 0x7fff
	s_waitcnt vmcnt(0)
	v_xor_b32_e32 v7, v4, v5
	v_ffbh_i32_e32 v6, v5
	v_ashrrev_i32_e32 v7, 31, v7
	v_add_u32_e32 v6, -1, v6
	v_add_u32_e32 v7, 32, v7
	v_min_u32_e32 v6, v6, v7
	v_lshlrev_b64 v[4:5], v6, v[4:5]
	v_min_u32_e32 v4, 1, v4
	v_or_b32_e32 v4, v5, v4
	v_cvt_f32_i32_e32 v4, v4
	v_sub_u32_e32 v5, 32, v6
	v_ldexp_f32 v4, v4, v5
	v_bfe_u32 v5, v4, 16, 1
	v_add3_u32 v4, v4, v5, s18
	v_lshrrev_b32_e32 v6, 16, v4
	s_mov_b64 s[18:19], 0
	s_branch .LBB30_896
.LBB30_893:
                                        ; implicit-def: $vgpr6
	s_branch .LBB30_902
.LBB30_894:
	s_mov_b64 s[18:19], -1
                                        ; implicit-def: $vgpr6
	s_branch .LBB30_899
.LBB30_895:
	s_mov_b64 s[18:19], -1
                                        ; implicit-def: $vgpr6
.LBB30_896:
	s_andn2_b64 vcc, exec, s[18:19]
	s_cbranch_vccnz .LBB30_898
; %bb.897:
	global_load_dword v4, v[0:1], off
	s_movk_i32 s18, 0x7fff
	s_waitcnt vmcnt(0)
	v_cvt_f32_i32_e32 v4, v4
	v_bfe_u32 v5, v4, 16, 1
	v_add3_u32 v4, v4, v5, s18
	v_lshrrev_b32_e32 v6, 16, v4
.LBB30_898:
	s_mov_b64 s[18:19], 0
.LBB30_899:
	s_andn2_b64 vcc, exec, s[18:19]
	s_cbranch_vccnz .LBB30_901
; %bb.900:
	global_load_sshort v4, v[0:1], off
	s_movk_i32 s18, 0x7fff
	s_waitcnt vmcnt(0)
	v_cvt_f32_i32_e32 v4, v4
	v_bfe_u32 v5, v4, 16, 1
	v_add3_u32 v4, v4, v5, s18
	v_lshrrev_b32_e32 v6, 16, v4
.LBB30_901:
	s_cbranch_execnz .LBB30_907
.LBB30_902:
	v_cmp_gt_i16_e64 s[18:19], s43, 0
	s_and_b64 vcc, exec, s[18:19]
	s_cbranch_vccz .LBB30_904
; %bb.903:
	global_load_sbyte v4, v[0:1], off
	s_movk_i32 s18, 0x7fff
	s_waitcnt vmcnt(0)
	v_cvt_f32_i32_e32 v4, v4
	v_bfe_u32 v5, v4, 16, 1
	v_add3_u32 v4, v4, v5, s18
	v_lshrrev_b32_e32 v6, 16, v4
	s_mov_b64 s[18:19], 0
	s_branch .LBB30_905
.LBB30_904:
	s_mov_b64 s[18:19], -1
                                        ; implicit-def: $vgpr6
.LBB30_905:
	s_andn2_b64 vcc, exec, s[18:19]
	s_cbranch_vccnz .LBB30_907
; %bb.906:
	global_load_ubyte v0, v[0:1], off
	s_movk_i32 s18, 0x7fff
	s_waitcnt vmcnt(0)
	v_cvt_f32_ubyte0_e32 v0, v0
	v_bfe_u32 v1, v0, 16, 1
	v_add3_u32 v0, v0, v1, s18
	v_lshrrev_b32_e32 v6, 16, v0
.LBB30_907:
	s_or_b64 s[0:1], s[0:1], exec
.LBB30_908:
	s_or_b64 exec, exec, s[14:15]
	s_mov_b64 s[20:21], 0
	s_mov_b64 s[18:19], 0
                                        ; implicit-def: $vgpr5
                                        ; implicit-def: $vgpr0_vgpr1
                                        ; implicit-def: $vgpr4
	s_and_saveexec_b64 s[14:15], s[0:1]
	s_cbranch_execz .LBB30_926
; %bb.909:
	s_waitcnt vmcnt(0)
	v_lshlrev_b32_e32 v0, 16, v6
	v_cmp_nle_f32_e32 vcc, v3, v0
	v_cmp_nge_f32_e64 s[0:1], s44, v0
	s_or_b64 vcc, s[0:1], vcc
	v_mul_lo_u32 v0, v2, s2
	v_cndmask_b32_e32 v4, 0, v6, vcc
	v_ashrrev_i32_e32 v1, 31, v0
	v_mov_b32_e32 v2, s9
	v_add_co_u32_e32 v0, vcc, s8, v0
	v_addc_co_u32_e32 v1, vcc, v2, v1, vcc
	v_mov_b32_e32 v2, 0xff
	v_and_b32_e32 v5, s33, v2
	v_cmp_gt_i16_e32 vcc, 11, v5
	s_cbranch_vccnz .LBB30_929
; %bb.910:
	v_cmp_lt_i16_e32 vcc, 25, v5
	s_mov_b64 s[20:21], -1
	s_mov_b64 s[0:1], s[12:13]
	s_cbranch_vccz .LBB30_947
; %bb.911:
	v_cmp_lt_i16_e32 vcc, 28, v5
	s_mov_b64 s[18:19], -1
	s_mov_b64 s[0:1], s[12:13]
	s_cbranch_vccz .LBB30_931
; %bb.912:
	v_cmp_lt_i16_e32 vcc, 43, v5
	s_mov_b64 s[0:1], s[12:13]
	s_cbranch_vccz .LBB30_923
; %bb.913:
	v_cmp_lt_i16_e32 vcc, 45, v5
	s_mov_b64 s[0:1], s[12:13]
	s_cbranch_vccz .LBB30_917
; %bb.914:
	v_cmp_eq_u16_e32 vcc, 46, v5
	s_mov_b64 s[0:1], -1
	s_cbranch_vccz .LBB30_916
; %bb.915:
	v_and_b32_e32 v2, 0xffff, v4
	global_store_dword v[0:1], v2, off
	s_mov_b64 s[0:1], 0
.LBB30_916:
	s_mov_b64 s[18:19], 0
.LBB30_917:
	s_and_b64 vcc, exec, s[18:19]
	s_cbranch_vccz .LBB30_922
; %bb.918:
	v_cmp_eq_u16_e32 vcc, 44, v5
	s_mov_b64 s[0:1], -1
	s_cbranch_vccz .LBB30_922
; %bb.919:
	v_and_b32_e32 v3, 0xffff, v4
	v_bfe_u32 v2, v3, 7, 8
	s_movk_i32 s0, 0xff
	v_cmp_ne_u32_e32 vcc, s0, v2
	v_mov_b32_e32 v6, 0xff
	s_and_saveexec_b64 s[18:19], vcc
; %bb.920:
	v_lshlrev_b32_e32 v7, 16, v3
	s_mov_b32 s0, 0x3f0000
	v_lshrrev_b32_e32 v6, 7, v3
	v_and_b32_e32 v3, 64, v3
	v_and_or_b32 v2, v7, s0, v2
	v_cmp_ne_u32_e32 vcc, 0, v3
	v_cmp_ne_u32_e64 s[0:1], 0, v2
	s_and_b64 s[0:1], vcc, s[0:1]
	v_cndmask_b32_e64 v2, 0, 1, s[0:1]
	v_add_u32_e32 v6, v6, v2
; %bb.921:
	s_or_b64 exec, exec, s[18:19]
	s_mov_b64 s[0:1], 0
	global_store_byte v[0:1], v6, off
.LBB30_922:
	s_mov_b64 s[18:19], 0
.LBB30_923:
	s_and_b64 vcc, exec, s[18:19]
	s_cbranch_vccz .LBB30_930
; %bb.924:
	v_cmp_eq_u16_e32 vcc, 29, v5
	s_mov_b64 s[0:1], -1
	s_cbranch_vccz .LBB30_930
; %bb.925:
	v_lshlrev_b32_e32 v2, 16, v4
	v_trunc_f32_e32 v2, v2
	v_mul_f32_e32 v3, 0x2f800000, v2
	v_floor_f32_e32 v6, v3
	v_fmac_f32_e32 v2, 0xcf800000, v6
	v_cvt_u32_f32_e32 v3, v6
	v_cvt_u32_f32_e32 v2, v2
	s_mov_b64 s[0:1], 0
	s_mov_b64 s[18:19], 0
	global_store_dwordx2 v[0:1], v[2:3], off
	s_branch .LBB30_931
.LBB30_926:
	s_or_b64 exec, exec, s[14:15]
	s_and_saveexec_b64 s[0:1], s[12:13]
	s_cbranch_execnz .LBB30_989
.LBB30_927:
	s_or_b64 exec, exec, s[0:1]
	s_and_saveexec_b64 s[0:1], s[20:21]
	s_xor_b64 s[0:1], exec, s[0:1]
	s_cbranch_execz .LBB30_990
.LBB30_928:
	s_waitcnt vmcnt(0)
	v_and_b32_e32 v2, 0x7fff, v4
	v_cmp_ne_u16_e32 vcc, 0, v2
	v_cndmask_b32_e64 v2, 0, 1, vcc
	global_store_byte v[0:1], v2, off
	s_or_b64 exec, exec, s[0:1]
	s_and_saveexec_b64 s[0:1], s[18:19]
	s_xor_b64 s[0:1], exec, s[0:1]
	s_cbranch_execz .LBB30_1028
	s_branch .LBB30_991
.LBB30_929:
	s_mov_b64 s[18:19], -1
	s_mov_b64 s[0:1], s[12:13]
	s_branch .LBB30_988
.LBB30_930:
	s_mov_b64 s[18:19], 0
.LBB30_931:
	s_and_b64 vcc, exec, s[18:19]
	s_cbranch_vccz .LBB30_946
; %bb.932:
	v_cmp_gt_i16_e32 vcc, 27, v5
	s_mov_b64 s[18:19], -1
	s_cbranch_vccnz .LBB30_938
; %bb.933:
	v_cmp_lt_i16_e32 vcc, 27, v5
	s_cbranch_vccz .LBB30_935
; %bb.934:
	v_lshlrev_b32_e32 v2, 16, v4
	v_cvt_u32_f32_e32 v2, v2
	s_mov_b64 s[18:19], 0
	global_store_dword v[0:1], v2, off
.LBB30_935:
	s_andn2_b64 vcc, exec, s[18:19]
	s_cbranch_vccnz .LBB30_937
; %bb.936:
	v_lshlrev_b32_e32 v2, 16, v4
	v_cvt_u32_f32_e32 v2, v2
	global_store_short v[0:1], v2, off
.LBB30_937:
	s_mov_b64 s[18:19], 0
.LBB30_938:
	s_andn2_b64 vcc, exec, s[18:19]
	s_cbranch_vccnz .LBB30_946
; %bb.939:
	v_lshlrev_b32_e32 v6, 16, v4
	v_and_b32_e32 v3, 0x7fffffff, v6
	s_mov_b32 s18, 0x43800000
	v_cmp_gt_u32_e32 vcc, s18, v3
	v_mov_b32_e32 v7, 0x80
	s_and_saveexec_b64 s[18:19], vcc
	s_cbranch_execz .LBB30_945
; %bb.940:
	s_mov_b32 s20, 0x3bffffff
	v_and_b32_e32 v2, 0xffff, v4
	v_cmp_lt_u32_e32 vcc, s20, v3
	s_mov_b64 s[20:21], 0
                                        ; implicit-def: $vgpr3
	s_and_saveexec_b64 s[22:23], vcc
	s_xor_b64 s[22:23], exec, s[22:23]
	s_cbranch_execz .LBB30_1043
; %bb.941:
	v_bfe_u32 v3, v2, 4, 1
	s_mov_b32 s24, 0x487ffff
	v_add3_u32 v3, v6, v3, s24
	s_mov_b64 s[20:21], exec
	v_lshrrev_b32_e32 v3, 20, v3
                                        ; implicit-def: $vgpr6
	s_or_saveexec_b64 s[22:23], s[22:23]
                                        ; implicit-def: $sgpr24
	s_xor_b64 exec, exec, s[22:23]
	s_cbranch_execnz .LBB30_1044
.LBB30_942:
	s_or_b64 exec, exec, s[22:23]
	v_mov_b32_e32 v7, s24
	s_and_saveexec_b64 s[22:23], s[20:21]
.LBB30_943:
	v_lshrrev_b32_e32 v2, 8, v2
	s_movk_i32 s20, 0x80
	v_and_or_b32 v7, v2, s20, v3
.LBB30_944:
	s_or_b64 exec, exec, s[22:23]
.LBB30_945:
	s_or_b64 exec, exec, s[18:19]
	global_store_byte v[0:1], v7, off
.LBB30_946:
	s_mov_b64 s[20:21], 0
.LBB30_947:
	s_mov_b64 s[18:19], 0
	s_and_b64 vcc, exec, s[20:21]
	s_cbranch_vccz .LBB30_987
; %bb.948:
	v_cmp_lt_i16_e32 vcc, 22, v5
	s_mov_b64 s[20:21], -1
	s_cbranch_vccz .LBB30_980
; %bb.949:
	v_cmp_gt_i16_e32 vcc, 24, v5
	s_cbranch_vccnz .LBB30_969
; %bb.950:
	v_cmp_lt_i16_e32 vcc, 24, v5
	s_cbranch_vccz .LBB30_958
; %bb.951:
	v_lshlrev_b32_e32 v6, 16, v4
	v_and_b32_e32 v3, 0x7fffffff, v6
	s_mov_b32 s20, 0x47800000
	v_cmp_gt_u32_e32 vcc, s20, v3
	v_mov_b32_e32 v7, 0x80
	s_and_saveexec_b64 s[20:21], vcc
	s_cbranch_execz .LBB30_957
; %bb.952:
	s_mov_b32 s22, 0x37ffffff
	v_and_b32_e32 v2, 0xffff, v4
	v_cmp_lt_u32_e32 vcc, s22, v3
	s_mov_b64 s[22:23], 0
                                        ; implicit-def: $vgpr3
	s_and_saveexec_b64 s[24:25], vcc
	s_xor_b64 s[24:25], exec, s[24:25]
	s_cbranch_execz .LBB30_1167
; %bb.953:
	v_bfe_u32 v3, v2, 5, 1
	s_mov_b32 s26, 0x88fffff
	v_add3_u32 v3, v6, v3, s26
	s_mov_b64 s[22:23], exec
	v_lshrrev_b32_e32 v3, 21, v3
                                        ; implicit-def: $vgpr6
	s_or_saveexec_b64 s[24:25], s[24:25]
                                        ; implicit-def: $sgpr26
	s_xor_b64 exec, exec, s[24:25]
	s_cbranch_execnz .LBB30_1168
.LBB30_954:
	s_or_b64 exec, exec, s[24:25]
	v_mov_b32_e32 v7, s26
	s_and_saveexec_b64 s[24:25], s[22:23]
.LBB30_955:
	v_lshrrev_b32_e32 v2, 8, v2
	s_movk_i32 s22, 0x80
	v_and_or_b32 v7, v2, s22, v3
.LBB30_956:
	s_or_b64 exec, exec, s[24:25]
.LBB30_957:
	s_or_b64 exec, exec, s[20:21]
	s_mov_b64 s[20:21], 0
	global_store_byte v[0:1], v7, off
.LBB30_958:
	s_and_b64 vcc, exec, s[20:21]
	s_cbranch_vccz .LBB30_968
; %bb.959:
	v_lshlrev_b32_e32 v6, 16, v4
	v_and_b32_e32 v7, 0x7fffffff, v6
	s_mov_b32 s20, 0x43f00000
	v_and_b32_e32 v2, 0xffff, v4
	v_cmp_gt_u32_e32 vcc, s20, v7
                                        ; implicit-def: $vgpr3
	s_and_saveexec_b64 s[20:21], vcc
	s_xor_b64 s[20:21], exec, s[20:21]
	s_cbranch_execz .LBB30_965
; %bb.960:
	s_mov_b32 s22, 0x3c7fffff
	v_cmp_lt_u32_e32 vcc, s22, v7
                                        ; implicit-def: $vgpr3
	s_and_saveexec_b64 s[22:23], vcc
	s_xor_b64 s[22:23], exec, s[22:23]
; %bb.961:
	v_bfe_u32 v3, v2, 4, 1
	s_mov_b32 s24, 0x407ffff
	v_add3_u32 v3, v6, v3, s24
	v_lshrrev_b32_e32 v6, 20, v3
	v_and_b32_e32 v3, 0xff00000, v3
	s_mov_b32 s24, 0x7f00000
	v_mov_b32_e32 v7, 0x7e
	v_cmp_ne_u32_e32 vcc, s24, v3
	v_cndmask_b32_e32 v3, v7, v6, vcc
                                        ; implicit-def: $vgpr6
; %bb.962:
	s_andn2_saveexec_b64 s[22:23], s[22:23]
; %bb.963:
	s_mov_b32 s24, 0x46800000
	v_add_f32_e64 v3, |v6|, s24
; %bb.964:
	s_or_b64 exec, exec, s[22:23]
                                        ; implicit-def: $vgpr7
.LBB30_965:
	s_andn2_saveexec_b64 s[20:21], s[20:21]
; %bb.966:
	s_mov_b32 s22, 0x7f800000
	v_mov_b32_e32 v3, 0x7e
	v_mov_b32_e32 v6, 0x7f
	v_cmp_lt_u32_e32 vcc, s22, v7
	v_cndmask_b32_e32 v3, v3, v6, vcc
; %bb.967:
	s_or_b64 exec, exec, s[20:21]
	v_lshrrev_b32_e32 v2, 8, v2
	s_movk_i32 s20, 0x80
	v_and_or_b32 v2, v2, s20, v3
	global_store_byte v[0:1], v2, off
.LBB30_968:
	s_mov_b64 s[20:21], 0
.LBB30_969:
	s_andn2_b64 vcc, exec, s[20:21]
	s_cbranch_vccnz .LBB30_979
; %bb.970:
	v_lshlrev_b32_e32 v6, 16, v4
	v_and_b32_e32 v7, 0x7fffffff, v6
	s_mov_b32 s20, 0x47800000
	v_and_b32_e32 v2, 0xffff, v4
	v_cmp_gt_u32_e32 vcc, s20, v7
                                        ; implicit-def: $vgpr3
	s_and_saveexec_b64 s[20:21], vcc
	s_xor_b64 s[20:21], exec, s[20:21]
	s_cbranch_execz .LBB30_976
; %bb.971:
	s_mov_b32 s22, 0x387fffff
	v_cmp_lt_u32_e32 vcc, s22, v7
                                        ; implicit-def: $vgpr3
	s_and_saveexec_b64 s[22:23], vcc
	s_xor_b64 s[22:23], exec, s[22:23]
; %bb.972:
	v_bfe_u32 v3, v2, 5, 1
	s_mov_b32 s24, 0x80fffff
	v_add3_u32 v3, v6, v3, s24
	v_lshrrev_b32_e32 v3, 21, v3
                                        ; implicit-def: $vgpr6
; %bb.973:
	s_andn2_saveexec_b64 s[22:23], s[22:23]
; %bb.974:
	s_mov_b32 s24, 0x43000000
	v_add_f32_e64 v3, |v6|, s24
; %bb.975:
	s_or_b64 exec, exec, s[22:23]
                                        ; implicit-def: $vgpr7
.LBB30_976:
	s_andn2_saveexec_b64 s[20:21], s[20:21]
; %bb.977:
	s_mov_b32 s22, 0x7f800000
	v_mov_b32_e32 v3, 0x7c
	v_mov_b32_e32 v6, 0x7f
	v_cmp_lt_u32_e32 vcc, s22, v7
	v_cndmask_b32_e32 v3, v3, v6, vcc
; %bb.978:
	s_or_b64 exec, exec, s[20:21]
	v_lshrrev_b32_e32 v2, 8, v2
	s_movk_i32 s20, 0x80
	v_and_or_b32 v2, v2, s20, v3
	global_store_byte v[0:1], v2, off
.LBB30_979:
	s_mov_b64 s[20:21], 0
.LBB30_980:
	s_andn2_b64 vcc, exec, s[20:21]
	s_mov_b64 s[20:21], 0
	s_cbranch_vccnz .LBB30_988
; %bb.981:
	v_cmp_lt_i16_e32 vcc, 14, v5
	s_mov_b64 s[22:23], -1
	s_cbranch_vccz .LBB30_985
; %bb.982:
	v_cmp_eq_u16_e32 vcc, 15, v5
	s_mov_b64 s[0:1], -1
	s_cbranch_vccz .LBB30_984
; %bb.983:
	global_store_short v[0:1], v4, off
	s_mov_b64 s[0:1], 0
.LBB30_984:
	s_mov_b64 s[22:23], 0
.LBB30_985:
	s_and_b64 vcc, exec, s[22:23]
	s_cbranch_vccz .LBB30_988
; %bb.986:
	v_cmp_ne_u16_e32 vcc, 11, v5
	s_andn2_b64 s[0:1], s[0:1], exec
	s_and_b64 s[22:23], vcc, exec
	s_mov_b64 s[20:21], -1
	s_or_b64 s[0:1], s[0:1], s[22:23]
	s_branch .LBB30_988
.LBB30_987:
	s_mov_b64 s[20:21], 0
.LBB30_988:
	s_andn2_b64 s[12:13], s[12:13], exec
	s_and_b64 s[0:1], s[0:1], exec
	s_and_b64 s[18:19], s[18:19], exec
	;; [unrolled: 1-line block ×3, first 2 shown]
	s_or_b64 s[12:13], s[12:13], s[0:1]
	s_or_b64 exec, exec, s[14:15]
	s_and_saveexec_b64 s[0:1], s[12:13]
	s_cbranch_execz .LBB30_927
.LBB30_989:
	s_or_b64 s[16:17], s[16:17], exec
	s_andn2_b64 s[20:21], s[20:21], exec
	s_trap 2
	s_or_b64 exec, exec, s[0:1]
	s_and_saveexec_b64 s[0:1], s[20:21]
	s_xor_b64 s[0:1], exec, s[0:1]
	s_cbranch_execnz .LBB30_928
.LBB30_990:
	s_or_b64 exec, exec, s[0:1]
	s_and_saveexec_b64 s[0:1], s[18:19]
	s_xor_b64 s[0:1], exec, s[0:1]
	s_cbranch_execz .LBB30_1028
.LBB30_991:
	v_cmp_gt_i16_e32 vcc, 5, v5
	s_mov_b64 s[12:13], -1
	s_cbranch_vccnz .LBB30_1012
; %bb.992:
	v_cmp_gt_i16_e32 vcc, 8, v5
	s_cbranch_vccnz .LBB30_1002
; %bb.993:
	v_cmp_gt_i16_e32 vcc, 9, v5
	s_cbranch_vccnz .LBB30_999
; %bb.994:
	v_cmp_lt_i16_e32 vcc, 9, v5
	s_cbranch_vccz .LBB30_996
; %bb.995:
	s_waitcnt vmcnt(0)
	v_lshlrev_b32_e32 v2, 16, v4
	v_mov_b32_e32 v8, 0
	v_cvt_f64_f32_e32 v[6:7], v2
	v_mov_b32_e32 v9, v8
	s_mov_b64 s[12:13], 0
	global_store_dwordx4 v[0:1], v[6:9], off
.LBB30_996:
	s_andn2_b64 vcc, exec, s[12:13]
	s_cbranch_vccnz .LBB30_998
; %bb.997:
	s_waitcnt vmcnt(0)
	v_lshlrev_b32_e32 v2, 16, v4
	v_mov_b32_e32 v3, 0
	global_store_dwordx2 v[0:1], v[2:3], off
.LBB30_998:
	s_mov_b64 s[12:13], 0
.LBB30_999:
	s_andn2_b64 vcc, exec, s[12:13]
	s_cbranch_vccnz .LBB30_1001
; %bb.1000:
	s_waitcnt vmcnt(0)
	v_lshlrev_b32_e32 v2, 16, v4
	v_cvt_f16_f32_e32 v2, v2
	global_store_dword v[0:1], v2, off
.LBB30_1001:
	s_mov_b64 s[12:13], 0
.LBB30_1002:
	s_andn2_b64 vcc, exec, s[12:13]
	s_cbranch_vccnz .LBB30_1011
; %bb.1003:
	v_cmp_gt_i16_e32 vcc, 6, v5
	s_mov_b64 s[12:13], -1
	s_cbranch_vccnz .LBB30_1009
; %bb.1004:
	v_cmp_lt_i16_e32 vcc, 6, v5
	s_cbranch_vccz .LBB30_1006
; %bb.1005:
	s_waitcnt vmcnt(0)
	v_lshlrev_b32_e32 v2, 16, v4
	v_cvt_f64_f32_e32 v[2:3], v2
	s_mov_b64 s[12:13], 0
	global_store_dwordx2 v[0:1], v[2:3], off
.LBB30_1006:
	s_andn2_b64 vcc, exec, s[12:13]
	s_cbranch_vccnz .LBB30_1008
; %bb.1007:
	s_waitcnt vmcnt(0)
	v_lshlrev_b32_e32 v2, 16, v4
	global_store_dword v[0:1], v2, off
.LBB30_1008:
	s_mov_b64 s[12:13], 0
.LBB30_1009:
	s_andn2_b64 vcc, exec, s[12:13]
	s_cbranch_vccnz .LBB30_1011
; %bb.1010:
	s_waitcnt vmcnt(0)
	v_lshlrev_b32_e32 v2, 16, v4
	v_cvt_f16_f32_e32 v2, v2
	global_store_short v[0:1], v2, off
.LBB30_1011:
	s_mov_b64 s[12:13], 0
.LBB30_1012:
	s_andn2_b64 vcc, exec, s[12:13]
	s_cbranch_vccnz .LBB30_1028
; %bb.1013:
	v_cmp_gt_i16_e32 vcc, 2, v5
	s_mov_b64 s[12:13], -1
	s_cbranch_vccnz .LBB30_1023
; %bb.1014:
	v_cmp_gt_i16_e32 vcc, 3, v5
	s_cbranch_vccnz .LBB30_1020
; %bb.1015:
	v_cmp_lt_i16_e32 vcc, 3, v5
	s_cbranch_vccz .LBB30_1017
; %bb.1016:
	s_waitcnt vmcnt(0)
	v_lshlrev_b32_e32 v2, 16, v4
	v_trunc_f32_e32 v2, v2
	s_mov_b32 s12, 0x2f800000
	v_mul_f32_e64 v3, |v2|, s12
	v_floor_f32_e32 v3, v3
	s_mov_b32 s12, 0xcf800000
	v_cvt_u32_f32_e32 v6, v3
	v_fma_f32 v3, v3, s12, |v2|
	v_cvt_u32_f32_e32 v3, v3
	v_ashrrev_i32_e32 v7, 31, v2
	v_xor_b32_e32 v6, v6, v7
	s_mov_b64 s[12:13], 0
	v_xor_b32_e32 v2, v3, v7
	v_sub_co_u32_e32 v2, vcc, v2, v7
	v_subb_co_u32_e32 v3, vcc, v6, v7, vcc
	global_store_dwordx2 v[0:1], v[2:3], off
.LBB30_1017:
	s_andn2_b64 vcc, exec, s[12:13]
	s_cbranch_vccnz .LBB30_1019
; %bb.1018:
	s_waitcnt vmcnt(0)
	v_lshlrev_b32_e32 v2, 16, v4
	v_cvt_i32_f32_e32 v2, v2
	global_store_dword v[0:1], v2, off
.LBB30_1019:
	s_mov_b64 s[12:13], 0
.LBB30_1020:
	s_andn2_b64 vcc, exec, s[12:13]
	s_cbranch_vccnz .LBB30_1022
; %bb.1021:
	s_waitcnt vmcnt(0)
	v_lshlrev_b32_e32 v2, 16, v4
	v_cvt_i32_f32_e32 v2, v2
	global_store_short v[0:1], v2, off
.LBB30_1022:
	s_mov_b64 s[12:13], 0
.LBB30_1023:
	s_andn2_b64 vcc, exec, s[12:13]
	s_cbranch_vccnz .LBB30_1028
; %bb.1024:
	v_cmp_lt_i16_e32 vcc, 0, v5
	s_mov_b64 s[12:13], -1
	s_waitcnt vmcnt(0)
	v_lshlrev_b32_e32 v2, 16, v4
	s_cbranch_vccz .LBB30_1026
; %bb.1025:
	v_cvt_i32_f32_e32 v3, v2
	s_mov_b64 s[12:13], 0
	global_store_byte v[0:1], v3, off
.LBB30_1026:
	s_andn2_b64 vcc, exec, s[12:13]
	s_cbranch_vccnz .LBB30_1028
; %bb.1027:
	v_trunc_f32_e32 v2, v2
	s_mov_b32 s12, 0x2f800000
	v_mul_f32_e64 v3, |v2|, s12
	v_floor_f32_e32 v3, v3
	s_mov_b32 s12, 0xcf800000
	v_fma_f32 v3, v3, s12, |v2|
	v_cvt_u32_f32_e32 v3, v3
	v_ashrrev_i32_e32 v2, 31, v2
	v_xor_b32_e32 v3, v3, v2
	v_sub_u32_e32 v2, v3, v2
	global_store_byte v[0:1], v2, off
.LBB30_1028:
	s_or_b64 exec, exec, s[0:1]
	s_and_b64 s[12:13], s[16:17], exec
                                        ; implicit-def: $vgpr2
.LBB30_1029:
	s_or_saveexec_b64 s[6:7], s[6:7]
	s_mov_b64 s[0:1], 0
                                        ; implicit-def: $vgpr3
                                        ; implicit-def: $vgpr0_vgpr1
                                        ; implicit-def: $vgpr4
	s_xor_b64 exec, exec, s[6:7]
	s_cbranch_execz .LBB30_1996
; %bb.1030:
	s_waitcnt vmcnt(0)
	v_mul_lo_u32 v4, s3, v2
	v_ashrrev_i32_e32 v1, 31, v4
	v_mov_b32_e32 v3, s11
	v_add_co_u32_e32 v0, vcc, s10, v4
	v_addc_co_u32_e32 v1, vcc, v3, v1, vcc
	v_cmp_lt_i16_e64 s[0:1], s43, 11
	s_and_b64 vcc, exec, s[0:1]
	s_cbranch_vccnz .LBB30_1037
; %bb.1031:
	v_cmp_gt_i16_e64 s[4:5], s43, 25
	s_mov_b64 s[16:17], 0
	s_and_b64 vcc, exec, s[4:5]
	s_cbranch_vccz .LBB30_1039
; %bb.1032:
	v_cmp_gt_i16_e64 s[4:5], s43, 28
	s_and_b64 vcc, exec, s[4:5]
	s_cbranch_vccz .LBB30_1040
; %bb.1033:
	v_cmp_gt_i16_e64 s[4:5], s43, 43
	;; [unrolled: 4-line block ×3, first 2 shown]
	s_and_b64 vcc, exec, s[4:5]
	s_cbranch_vccz .LBB30_1042
; %bb.1035:
	v_cmp_eq_u16_e64 s[4:5], s43, 46
	s_mov_b64 s[14:15], 0
	s_and_b64 vcc, exec, s[4:5]
	s_cbranch_vccz .LBB30_1045
; %bb.1036:
	global_load_dword v3, v[0:1], off
	s_mov_b64 s[4:5], 0
	s_mov_b64 s[18:19], -1
	s_branch .LBB30_1046
.LBB30_1037:
	s_mov_b64 s[18:19], 0
                                        ; implicit-def: $vgpr3
	s_mov_b64 s[14:15], s[12:13]
	s_cbranch_execnz .LBB30_1108
.LBB30_1038:
	s_andn2_b64 vcc, exec, s[18:19]
	s_cbranch_vccz .LBB30_1153
	s_branch .LBB30_1994
.LBB30_1039:
	s_mov_b64 s[18:19], 0
	s_mov_b64 s[4:5], 0
                                        ; implicit-def: $vgpr3
	s_cbranch_execnz .LBB30_1073
	s_branch .LBB30_1104
.LBB30_1040:
	s_mov_b64 s[18:19], 0
	s_mov_b64 s[4:5], 0
                                        ; implicit-def: $vgpr3
	s_cbranch_execz .LBB30_1072
	s_branch .LBB30_1055
.LBB30_1041:
	s_mov_b64 s[18:19], 0
	s_mov_b64 s[4:5], 0
                                        ; implicit-def: $vgpr3
	s_cbranch_execnz .LBB30_1051
	s_branch .LBB30_1054
.LBB30_1042:
	s_mov_b64 s[14:15], -1
	s_mov_b64 s[18:19], 0
	s_mov_b64 s[4:5], 0
                                        ; implicit-def: $vgpr3
	s_branch .LBB30_1046
.LBB30_1043:
	s_or_saveexec_b64 s[22:23], s[22:23]
                                        ; implicit-def: $sgpr24
	s_xor_b64 exec, exec, s[22:23]
	s_cbranch_execz .LBB30_942
.LBB30_1044:
	s_mov_b32 s24, 0x46000000
	v_add_f32_e64 v3, |v6|, s24
	v_and_b32_e32 v3, 0xff, v3
	v_cmp_ne_u32_e32 vcc, 0, v3
	s_andn2_b64 s[20:21], s[20:21], exec
	s_and_b64 s[26:27], vcc, exec
	s_mov_b32 s24, 0
	s_or_b64 s[20:21], s[20:21], s[26:27]
	s_or_b64 exec, exec, s[22:23]
	v_mov_b32_e32 v7, s24
	s_and_saveexec_b64 s[22:23], s[20:21]
	s_cbranch_execnz .LBB30_943
	s_branch .LBB30_944
.LBB30_1045:
	s_mov_b64 s[4:5], -1
                                        ; implicit-def: $vgpr3
	s_mov_b64 s[18:19], 0
.LBB30_1046:
	s_and_b64 vcc, exec, s[14:15]
	s_cbranch_vccz .LBB30_1049
; %bb.1047:
	v_cmp_eq_u16_e64 s[4:5], s43, 44
	s_and_b64 vcc, exec, s[4:5]
	s_cbranch_vccz .LBB30_1050
; %bb.1048:
	global_load_ubyte v3, v[0:1], off
	s_movk_i32 s14, 0xff
	v_mov_b32_e32 v5, 0x7f800001
	v_mov_b32_e32 v6, 0x400000
	;; [unrolled: 1-line block ×3, first 2 shown]
	s_mov_b64 s[4:5], 0
	s_mov_b64 s[18:19], -1
	s_waitcnt vmcnt(0)
	v_lshlrev_b32_e32 v8, 23, v3
	v_cmp_ne_u32_e32 vcc, s14, v3
	v_cndmask_b32_e32 v5, v5, v8, vcc
	v_cmp_ne_u32_e32 vcc, 0, v3
	v_cndmask_b32_e32 v3, v6, v5, vcc
	v_add_u32_e32 v5, 0x7fff, v3
	v_lshrrev_b32_e32 v5, 16, v5
	v_cmp_o_f32_e32 vcc, v3, v3
	v_cndmask_b32_e32 v3, v7, v5, vcc
.LBB30_1049:
	s_branch .LBB30_1054
.LBB30_1050:
	s_mov_b64 s[4:5], -1
                                        ; implicit-def: $vgpr3
	s_branch .LBB30_1054
.LBB30_1051:
	v_cmp_eq_u16_e64 s[4:5], s43, 29
	s_and_b64 vcc, exec, s[4:5]
	s_cbranch_vccz .LBB30_1053
; %bb.1052:
	global_load_dwordx2 v[6:7], v[0:1], off
	s_movk_i32 s14, 0x7fff
	s_mov_b64 s[4:5], 0
	s_mov_b64 s[18:19], -1
	s_waitcnt vmcnt(0)
	v_ffbh_u32_e32 v3, v7
	v_min_u32_e32 v3, 32, v3
	v_lshlrev_b64 v[6:7], v3, v[6:7]
	v_min_u32_e32 v5, 1, v6
	v_or_b32_e32 v5, v7, v5
	v_cvt_f32_u32_e32 v5, v5
	v_sub_u32_e32 v3, 32, v3
	v_ldexp_f32 v3, v5, v3
	v_bfe_u32 v5, v3, 16, 1
	v_add3_u32 v3, v3, v5, s14
	v_lshrrev_b32_e32 v3, 16, v3
	s_branch .LBB30_1054
.LBB30_1053:
	s_mov_b64 s[4:5], -1
                                        ; implicit-def: $vgpr3
.LBB30_1054:
	s_branch .LBB30_1072
.LBB30_1055:
	v_cmp_lt_i16_e64 s[14:15], s43, 27
	s_and_b64 vcc, exec, s[14:15]
	s_cbranch_vccnz .LBB30_1058
; %bb.1056:
	v_cmp_gt_i16_e64 s[14:15], s43, 27
	s_and_b64 vcc, exec, s[14:15]
	s_cbranch_vccz .LBB30_1059
; %bb.1057:
	global_load_dword v3, v[0:1], off
	s_movk_i32 s14, 0x7fff
	s_waitcnt vmcnt(0)
	v_cvt_f32_u32_e32 v3, v3
	v_bfe_u32 v5, v3, 16, 1
	v_add3_u32 v3, v3, v5, s14
	v_lshrrev_b32_e32 v3, 16, v3
	s_mov_b64 s[14:15], 0
	s_branch .LBB30_1060
.LBB30_1058:
	s_mov_b64 s[14:15], -1
                                        ; implicit-def: $vgpr3
	s_branch .LBB30_1063
.LBB30_1059:
	s_mov_b64 s[14:15], -1
                                        ; implicit-def: $vgpr3
.LBB30_1060:
	s_andn2_b64 vcc, exec, s[14:15]
	s_cbranch_vccnz .LBB30_1062
; %bb.1061:
	global_load_ushort v3, v[0:1], off
	s_movk_i32 s14, 0x7fff
	s_waitcnt vmcnt(0)
	v_cvt_f32_u32_e32 v3, v3
	v_bfe_u32 v5, v3, 16, 1
	v_add3_u32 v3, v3, v5, s14
	v_lshrrev_b32_e32 v3, 16, v3
.LBB30_1062:
	s_mov_b64 s[14:15], 0
.LBB30_1063:
	s_andn2_b64 vcc, exec, s[14:15]
	s_cbranch_vccnz .LBB30_1071
; %bb.1064:
	global_load_ubyte v3, v[0:1], off
	s_movk_i32 s14, 0x7f
                                        ; implicit-def: $sgpr22
	s_waitcnt vmcnt(0)
	v_cmp_lt_i16_e32 vcc, s14, v3
	s_mov_b64 s[14:15], 0
	s_and_saveexec_b64 s[18:19], vcc
	s_xor_b64 s[18:19], exec, s[18:19]
	s_cbranch_execz .LBB30_1084
; %bb.1065:
	s_movk_i32 s14, 0x80
	v_cmp_eq_u16_e32 vcc, s14, v3
	s_mov_b64 s[14:15], -1
                                        ; implicit-def: $sgpr22
	s_and_saveexec_b64 s[20:21], vcc
; %bb.1066:
	s_mov_b32 s22, 0x7f800001
	s_xor_b64 s[14:15], exec, -1
; %bb.1067:
	s_or_b64 exec, exec, s[20:21]
	s_and_b64 s[14:15], s[14:15], exec
	s_or_saveexec_b64 s[18:19], s[18:19]
	v_mov_b32_e32 v5, s22
	s_xor_b64 exec, exec, s[18:19]
	s_cbranch_execnz .LBB30_1085
.LBB30_1068:
	s_or_b64 exec, exec, s[18:19]
	s_and_saveexec_b64 s[18:19], s[14:15]
	s_cbranch_execz .LBB30_1070
.LBB30_1069:
	v_lshlrev_b32_e32 v5, 24, v3
	v_and_b32_e32 v3, 0xffff, v3
	v_and_b32_e32 v6, 7, v3
	v_ffbh_u32_e32 v8, v6
	v_min_u32_e32 v8, 32, v8
	v_subrev_u32_e32 v9, 28, v8
	v_bfe_u32 v7, v3, 3, 4
	v_lshlrev_b32_e32 v3, v9, v3
	v_sub_u32_e32 v8, 29, v8
	v_and_b32_e32 v3, 7, v3
	v_cmp_eq_u32_e32 vcc, 0, v7
	v_cndmask_b32_e32 v7, v7, v8, vcc
	v_cndmask_b32_e32 v3, v6, v3, vcc
	v_mov_b32_e32 v6, 0x3b800000
	v_lshlrev_b32_e32 v3, 20, v3
	v_and_b32_e32 v5, 0x80000000, v5
	v_lshl_add_u32 v6, v7, 23, v6
	v_or3_b32 v5, v5, v6, v3
.LBB30_1070:
	s_or_b64 exec, exec, s[18:19]
	v_bfe_u32 v3, v5, 16, 1
	s_movk_i32 s14, 0x7fff
	v_add3_u32 v3, v5, v3, s14
	v_lshrrev_b32_e32 v3, 16, v3
	v_mov_b32_e32 v6, 0x7fc0
	v_cmp_o_f32_e32 vcc, v5, v5
	v_cndmask_b32_e32 v3, v6, v3, vcc
.LBB30_1071:
	s_mov_b64 s[18:19], -1
.LBB30_1072:
	s_branch .LBB30_1104
.LBB30_1073:
	v_cmp_gt_i16_e64 s[14:15], s43, 22
	s_and_b64 vcc, exec, s[14:15]
	s_cbranch_vccz .LBB30_1083
; %bb.1074:
	v_cmp_lt_i16_e64 s[14:15], s43, 24
	s_and_b64 vcc, exec, s[14:15]
	s_cbranch_vccnz .LBB30_1086
; %bb.1075:
	v_cmp_gt_i16_e64 s[14:15], s43, 24
	s_and_b64 vcc, exec, s[14:15]
	s_cbranch_vccz .LBB30_1087
; %bb.1076:
	global_load_ubyte v3, v[0:1], off
	s_movk_i32 s14, 0x7f
                                        ; implicit-def: $sgpr20
	s_waitcnt vmcnt(0)
	v_cmp_lt_i16_e32 vcc, s14, v3
	s_mov_b64 s[14:15], 0
	s_and_saveexec_b64 s[16:17], vcc
	s_xor_b64 s[16:17], exec, s[16:17]
	s_cbranch_execz .LBB30_1098
; %bb.1077:
	s_movk_i32 s14, 0x80
	v_cmp_eq_u16_e32 vcc, s14, v3
	s_mov_b64 s[14:15], -1
                                        ; implicit-def: $sgpr20
	s_and_saveexec_b64 s[18:19], vcc
; %bb.1078:
	s_mov_b32 s20, 0x7f800001
	s_xor_b64 s[14:15], exec, -1
; %bb.1079:
	s_or_b64 exec, exec, s[18:19]
	s_and_b64 s[14:15], s[14:15], exec
	s_or_saveexec_b64 s[16:17], s[16:17]
	v_mov_b32_e32 v5, s20
	s_xor_b64 exec, exec, s[16:17]
	s_cbranch_execnz .LBB30_1099
.LBB30_1080:
	s_or_b64 exec, exec, s[16:17]
	s_and_saveexec_b64 s[16:17], s[14:15]
	s_cbranch_execz .LBB30_1082
.LBB30_1081:
	v_lshlrev_b32_e32 v5, 24, v3
	v_and_b32_e32 v3, 0xffff, v3
	v_and_b32_e32 v6, 3, v3
	v_ffbh_u32_e32 v8, v6
	v_min_u32_e32 v8, 32, v8
	v_subrev_u32_e32 v9, 29, v8
	v_bfe_u32 v7, v3, 2, 5
	v_lshlrev_b32_e32 v3, v9, v3
	v_sub_u32_e32 v8, 30, v8
	v_and_b32_e32 v3, 3, v3
	v_cmp_eq_u32_e32 vcc, 0, v7
	v_cndmask_b32_e32 v7, v7, v8, vcc
	v_cndmask_b32_e32 v3, v6, v3, vcc
	v_mov_b32_e32 v6, 0x37800000
	v_lshlrev_b32_e32 v3, 21, v3
	v_and_b32_e32 v5, 0x80000000, v5
	v_lshl_add_u32 v6, v7, 23, v6
	v_or3_b32 v5, v5, v6, v3
.LBB30_1082:
	s_or_b64 exec, exec, s[16:17]
	v_bfe_u32 v3, v5, 16, 1
	s_movk_i32 s14, 0x7fff
	v_add3_u32 v3, v5, v3, s14
	v_lshrrev_b32_e32 v3, 16, v3
	v_mov_b32_e32 v6, 0x7fc0
	v_cmp_o_f32_e32 vcc, v5, v5
	v_cndmask_b32_e32 v3, v6, v3, vcc
	s_mov_b64 s[14:15], 0
	s_branch .LBB30_1088
.LBB30_1083:
                                        ; implicit-def: $vgpr3
	s_mov_b64 s[16:17], 0
	s_branch .LBB30_1094
.LBB30_1084:
	s_or_saveexec_b64 s[18:19], s[18:19]
	v_mov_b32_e32 v5, s22
	s_xor_b64 exec, exec, s[18:19]
	s_cbranch_execz .LBB30_1068
.LBB30_1085:
	v_cmp_ne_u16_e32 vcc, 0, v3
	s_andn2_b64 s[14:15], s[14:15], exec
	s_and_b64 s[20:21], vcc, exec
	v_mov_b32_e32 v5, 0
	s_or_b64 s[14:15], s[14:15], s[20:21]
	s_or_b64 exec, exec, s[18:19]
	s_and_saveexec_b64 s[18:19], s[14:15]
	s_cbranch_execnz .LBB30_1069
	s_branch .LBB30_1070
.LBB30_1086:
	s_mov_b64 s[14:15], -1
                                        ; implicit-def: $vgpr3
	s_branch .LBB30_1091
.LBB30_1087:
	s_mov_b64 s[14:15], -1
                                        ; implicit-def: $vgpr3
.LBB30_1088:
	s_and_b64 vcc, exec, s[14:15]
	s_cbranch_vccz .LBB30_1090
; %bb.1089:
	global_load_ubyte v3, v[0:1], off
	s_mov_b32 s14, 0x7f800000
	s_brev_b32 s15, 1
	s_movk_i32 s16, 0x7fff
	v_mov_b32_e32 v5, 0x7fc0
	s_waitcnt vmcnt(0)
	v_lshlrev_b32_e32 v3, 24, v3
	v_and_b32_e32 v6, 0x7f000000, v3
	v_ffbh_u32_e32 v7, v6
	v_min_u32_e32 v7, 32, v7
	v_sub_u32_e64 v7, v7, 4 clamp
	v_lshlrev_b32_e32 v9, v7, v6
	v_lshlrev_b32_e32 v7, 23, v7
	v_lshrrev_b32_e32 v9, 4, v9
	v_add_u32_e32 v8, 0x1000000, v6
	v_sub_u32_e32 v7, v9, v7
	v_ashrrev_i32_e32 v8, 8, v8
	v_add_u32_e32 v7, 0x3c000000, v7
	v_and_or_b32 v7, v8, s14, v7
	v_cmp_ne_u32_e32 vcc, 0, v6
	v_cndmask_b32_e32 v6, 0, v7, vcc
	v_and_or_b32 v3, v3, s15, v6
	v_bfe_u32 v6, v6, 16, 1
	v_add3_u32 v6, v3, v6, s16
	v_lshrrev_b32_e32 v6, 16, v6
	v_cmp_o_f32_e32 vcc, v3, v3
	v_cndmask_b32_e32 v3, v5, v6, vcc
.LBB30_1090:
	s_mov_b64 s[14:15], 0
.LBB30_1091:
	s_andn2_b64 vcc, exec, s[14:15]
	s_cbranch_vccnz .LBB30_1093
; %bb.1092:
	global_load_ubyte v3, v[0:1], off
	s_movk_i32 s14, 0x7f00
	s_brev_b32 s15, 16
	s_brev_b32 s16, 1
	s_movk_i32 s17, 0x7fff
	v_mov_b32_e32 v5, 0x7fc0
	s_waitcnt vmcnt(0)
	v_lshlrev_b16_e32 v6, 8, v3
	v_lshlrev_b32_e32 v3, 25, v3
	v_lshrrev_b32_e32 v7, 4, v3
	v_and_or_b32 v8, v6, s14, 0.5
	v_or_b32_e32 v7, 0x70000000, v7
	v_add_f32_e32 v8, -0.5, v8
	v_mul_f32_e32 v7, 0x7800000, v7
	v_cmp_gt_u32_e32 vcc, s15, v3
	v_bfe_i32 v6, v6, 0, 16
	v_cndmask_b32_e32 v3, v7, v8, vcc
	v_and_or_b32 v6, v6, s16, v3
	v_bfe_u32 v3, v3, 16, 1
	v_add3_u32 v3, v6, v3, s17
	v_lshrrev_b32_e32 v3, 16, v3
	v_cmp_o_f32_e32 vcc, v6, v6
	v_cndmask_b32_e32 v3, v5, v3, vcc
.LBB30_1093:
	s_mov_b64 s[18:19], -1
	s_mov_b64 s[16:17], 0
	s_cbranch_execnz .LBB30_1104
.LBB30_1094:
	v_cmp_gt_i16_e64 s[14:15], s43, 14
	s_and_b64 vcc, exec, s[14:15]
	s_cbranch_vccz .LBB30_1097
; %bb.1095:
	v_cmp_eq_u16_e64 s[4:5], s43, 15
	s_and_b64 vcc, exec, s[4:5]
	s_cbranch_vccz .LBB30_1100
; %bb.1096:
	global_load_ushort v3, v[0:1], off
	s_mov_b64 s[4:5], 0
	s_mov_b64 s[18:19], -1
	s_branch .LBB30_1101
.LBB30_1097:
	s_mov_b64 s[14:15], -1
                                        ; implicit-def: $vgpr3
	s_branch .LBB30_1102
.LBB30_1098:
	s_or_saveexec_b64 s[16:17], s[16:17]
	v_mov_b32_e32 v5, s20
	s_xor_b64 exec, exec, s[16:17]
	s_cbranch_execz .LBB30_1080
.LBB30_1099:
	v_cmp_ne_u16_e32 vcc, 0, v3
	s_andn2_b64 s[14:15], s[14:15], exec
	s_and_b64 s[18:19], vcc, exec
	v_mov_b32_e32 v5, 0
	s_or_b64 s[14:15], s[14:15], s[18:19]
	s_or_b64 exec, exec, s[16:17]
	s_and_saveexec_b64 s[16:17], s[14:15]
	s_cbranch_execnz .LBB30_1081
	s_branch .LBB30_1082
.LBB30_1100:
	s_mov_b64 s[4:5], -1
                                        ; implicit-def: $vgpr3
.LBB30_1101:
	s_mov_b64 s[14:15], 0
.LBB30_1102:
	s_and_b64 vcc, exec, s[14:15]
	s_cbranch_vccz .LBB30_1104
; %bb.1103:
	v_cmp_ne_u16_e64 s[4:5], s43, 11
	s_mov_b64 s[16:17], -1
                                        ; implicit-def: $vgpr3
.LBB30_1104:
	s_and_b64 vcc, exec, s[4:5]
	s_mov_b64 s[14:15], s[12:13]
	s_cbranch_vccnz .LBB30_1165
; %bb.1105:
	s_andn2_b64 vcc, exec, s[16:17]
	s_cbranch_vccnz .LBB30_1107
.LBB30_1106:
	global_load_ubyte v3, v[0:1], off
	s_mov_b64 s[18:19], -1
	s_waitcnt vmcnt(0)
	v_cmp_ne_u16_e32 vcc, 0, v3
	v_cndmask_b32_e64 v3, 0, 1.0, vcc
	v_lshrrev_b32_e32 v3, 16, v3
.LBB30_1107:
	s_branch .LBB30_1038
.LBB30_1108:
	v_cmp_lt_i16_e64 s[4:5], s43, 5
	s_and_b64 vcc, exec, s[4:5]
	s_cbranch_vccnz .LBB30_1113
; %bb.1109:
	v_cmp_lt_i16_e64 s[4:5], s43, 8
	s_and_b64 vcc, exec, s[4:5]
	s_cbranch_vccnz .LBB30_1114
; %bb.1110:
	;; [unrolled: 4-line block ×3, first 2 shown]
	v_cmp_gt_i16_e64 s[4:5], s43, 9
	s_and_b64 vcc, exec, s[4:5]
	s_cbranch_vccz .LBB30_1116
; %bb.1112:
	global_load_dwordx2 v[6:7], v[0:1], off
	s_movk_i32 s4, 0x7fff
	s_waitcnt vmcnt(1)
	v_mov_b32_e32 v3, 0x7fc0
	s_waitcnt vmcnt(0)
	v_cvt_f32_f64_e32 v5, v[6:7]
	v_bfe_u32 v6, v5, 16, 1
	v_add3_u32 v6, v5, v6, s4
	v_lshrrev_b32_e32 v6, 16, v6
	v_cmp_o_f32_e32 vcc, v5, v5
	v_cndmask_b32_e32 v3, v3, v6, vcc
	s_mov_b64 s[4:5], 0
	s_branch .LBB30_1117
.LBB30_1113:
                                        ; implicit-def: $vgpr3
	s_branch .LBB30_1134
.LBB30_1114:
                                        ; implicit-def: $vgpr3
	s_branch .LBB30_1123
.LBB30_1115:
	s_mov_b64 s[4:5], -1
                                        ; implicit-def: $vgpr3
	s_branch .LBB30_1120
.LBB30_1116:
	s_mov_b64 s[4:5], -1
                                        ; implicit-def: $vgpr3
.LBB30_1117:
	s_andn2_b64 vcc, exec, s[4:5]
	s_cbranch_vccnz .LBB30_1119
; %bb.1118:
	global_load_dword v3, v[0:1], off
	s_movk_i32 s4, 0x7fff
	v_mov_b32_e32 v5, 0x7fc0
	s_waitcnt vmcnt(0)
	v_bfe_u32 v6, v3, 16, 1
	v_add3_u32 v6, v3, v6, s4
	v_lshrrev_b32_e32 v6, 16, v6
	v_cmp_o_f32_e32 vcc, v3, v3
	v_cndmask_b32_e32 v3, v5, v6, vcc
.LBB30_1119:
	s_mov_b64 s[4:5], 0
.LBB30_1120:
	s_andn2_b64 vcc, exec, s[4:5]
	s_cbranch_vccnz .LBB30_1122
; %bb.1121:
	global_load_dword v3, v[0:1], off
	s_movk_i32 s4, 0x7fff
	v_mov_b32_e32 v6, 0x7fc0
	s_waitcnt vmcnt(0)
	v_cvt_f32_f16_e32 v5, v3
	v_cmp_o_f16_e32 vcc, v3, v3
	v_bfe_u32 v7, v5, 16, 1
	v_add3_u32 v5, v5, v7, s4
	v_lshrrev_b32_e32 v5, 16, v5
	v_cndmask_b32_e32 v3, v6, v5, vcc
.LBB30_1122:
	s_cbranch_execnz .LBB30_1133
.LBB30_1123:
	v_cmp_lt_i16_e64 s[4:5], s43, 6
	s_and_b64 vcc, exec, s[4:5]
	s_cbranch_vccnz .LBB30_1126
; %bb.1124:
	v_cmp_gt_i16_e64 s[4:5], s43, 6
	s_and_b64 vcc, exec, s[4:5]
	s_cbranch_vccz .LBB30_1127
; %bb.1125:
	global_load_dwordx2 v[6:7], v[0:1], off
	s_movk_i32 s4, 0x7fff
	s_waitcnt vmcnt(1)
	v_mov_b32_e32 v3, 0x7fc0
	s_waitcnt vmcnt(0)
	v_cvt_f32_f64_e32 v5, v[6:7]
	v_bfe_u32 v6, v5, 16, 1
	v_add3_u32 v6, v5, v6, s4
	v_lshrrev_b32_e32 v6, 16, v6
	v_cmp_o_f32_e32 vcc, v5, v5
	v_cndmask_b32_e32 v3, v3, v6, vcc
	s_mov_b64 s[4:5], 0
	s_branch .LBB30_1128
.LBB30_1126:
	s_mov_b64 s[4:5], -1
                                        ; implicit-def: $vgpr3
	s_branch .LBB30_1131
.LBB30_1127:
	s_mov_b64 s[4:5], -1
                                        ; implicit-def: $vgpr3
.LBB30_1128:
	s_andn2_b64 vcc, exec, s[4:5]
	s_cbranch_vccnz .LBB30_1130
; %bb.1129:
	global_load_dword v3, v[0:1], off
	s_movk_i32 s4, 0x7fff
	v_mov_b32_e32 v5, 0x7fc0
	s_waitcnt vmcnt(0)
	v_bfe_u32 v6, v3, 16, 1
	v_add3_u32 v6, v3, v6, s4
	v_lshrrev_b32_e32 v6, 16, v6
	v_cmp_o_f32_e32 vcc, v3, v3
	v_cndmask_b32_e32 v3, v5, v6, vcc
.LBB30_1130:
	s_mov_b64 s[4:5], 0
.LBB30_1131:
	s_andn2_b64 vcc, exec, s[4:5]
	s_cbranch_vccnz .LBB30_1133
; %bb.1132:
	global_load_ushort v3, v[0:1], off
	s_movk_i32 s4, 0x7fff
	v_mov_b32_e32 v6, 0x7fc0
	s_waitcnt vmcnt(0)
	v_cvt_f32_f16_e32 v5, v3
	v_cmp_o_f16_e32 vcc, v3, v3
	v_bfe_u32 v7, v5, 16, 1
	v_add3_u32 v5, v5, v7, s4
	v_lshrrev_b32_e32 v5, 16, v5
	v_cndmask_b32_e32 v3, v6, v5, vcc
.LBB30_1133:
	s_cbranch_execnz .LBB30_1152
.LBB30_1134:
	v_cmp_lt_i16_e64 s[4:5], s43, 2
	s_and_b64 vcc, exec, s[4:5]
	s_cbranch_vccnz .LBB30_1138
; %bb.1135:
	v_cmp_lt_i16_e64 s[4:5], s43, 3
	s_and_b64 vcc, exec, s[4:5]
	s_cbranch_vccnz .LBB30_1139
; %bb.1136:
	v_cmp_gt_i16_e64 s[4:5], s43, 3
	s_and_b64 vcc, exec, s[4:5]
	s_cbranch_vccz .LBB30_1140
; %bb.1137:
	global_load_dwordx2 v[6:7], v[0:1], off
	s_movk_i32 s4, 0x7fff
	s_waitcnt vmcnt(0)
	v_xor_b32_e32 v5, v6, v7
	v_ffbh_i32_e32 v3, v7
	v_ashrrev_i32_e32 v5, 31, v5
	v_add_u32_e32 v3, -1, v3
	v_add_u32_e32 v5, 32, v5
	v_min_u32_e32 v3, v3, v5
	v_lshlrev_b64 v[6:7], v3, v[6:7]
	v_min_u32_e32 v5, 1, v6
	v_or_b32_e32 v5, v7, v5
	v_cvt_f32_i32_e32 v5, v5
	v_sub_u32_e32 v3, 32, v3
	v_ldexp_f32 v3, v5, v3
	v_bfe_u32 v5, v3, 16, 1
	v_add3_u32 v3, v3, v5, s4
	v_lshrrev_b32_e32 v3, 16, v3
	s_mov_b64 s[4:5], 0
	s_branch .LBB30_1141
.LBB30_1138:
                                        ; implicit-def: $vgpr3
	s_branch .LBB30_1147
.LBB30_1139:
	s_mov_b64 s[4:5], -1
                                        ; implicit-def: $vgpr3
	s_branch .LBB30_1144
.LBB30_1140:
	s_mov_b64 s[4:5], -1
                                        ; implicit-def: $vgpr3
.LBB30_1141:
	s_andn2_b64 vcc, exec, s[4:5]
	s_cbranch_vccnz .LBB30_1143
; %bb.1142:
	global_load_dword v3, v[0:1], off
	s_movk_i32 s4, 0x7fff
	s_waitcnt vmcnt(0)
	v_cvt_f32_i32_e32 v3, v3
	v_bfe_u32 v5, v3, 16, 1
	v_add3_u32 v3, v3, v5, s4
	v_lshrrev_b32_e32 v3, 16, v3
.LBB30_1143:
	s_mov_b64 s[4:5], 0
.LBB30_1144:
	s_andn2_b64 vcc, exec, s[4:5]
	s_cbranch_vccnz .LBB30_1146
; %bb.1145:
	global_load_sshort v3, v[0:1], off
	s_movk_i32 s4, 0x7fff
	s_waitcnt vmcnt(0)
	v_cvt_f32_i32_e32 v3, v3
	v_bfe_u32 v5, v3, 16, 1
	v_add3_u32 v3, v3, v5, s4
	v_lshrrev_b32_e32 v3, 16, v3
.LBB30_1146:
	s_cbranch_execnz .LBB30_1152
.LBB30_1147:
	v_cmp_gt_i16_e64 s[4:5], s43, 0
	s_and_b64 vcc, exec, s[4:5]
	s_cbranch_vccz .LBB30_1149
; %bb.1148:
	global_load_sbyte v3, v[0:1], off
	s_movk_i32 s4, 0x7fff
	s_waitcnt vmcnt(0)
	v_cvt_f32_i32_e32 v3, v3
	v_bfe_u32 v5, v3, 16, 1
	v_add3_u32 v3, v3, v5, s4
	v_lshrrev_b32_e32 v3, 16, v3
	s_mov_b64 s[4:5], 0
	s_branch .LBB30_1150
.LBB30_1149:
	s_mov_b64 s[4:5], -1
                                        ; implicit-def: $vgpr3
.LBB30_1150:
	s_andn2_b64 vcc, exec, s[4:5]
	s_cbranch_vccnz .LBB30_1152
; %bb.1151:
	global_load_ubyte v0, v[0:1], off
	s_movk_i32 s4, 0x7fff
	s_waitcnt vmcnt(0)
	v_cvt_f32_ubyte0_e32 v0, v0
	v_bfe_u32 v1, v0, 16, 1
	v_add3_u32 v0, v0, v1, s4
	v_lshrrev_b32_e32 v3, 16, v0
.LBB30_1152:
.LBB30_1153:
	s_lshl_b32 s3, s3, 7
	v_add_u32_e32 v5, s3, v4
	v_ashrrev_i32_e32 v1, 31, v5
	v_mov_b32_e32 v4, s11
	v_add_co_u32_e32 v0, vcc, s10, v5
	v_addc_co_u32_e32 v1, vcc, v4, v1, vcc
	s_and_b64 vcc, exec, s[0:1]
	s_cbranch_vccnz .LBB30_1160
; %bb.1154:
	v_cmp_gt_i16_e64 s[4:5], s43, 25
	s_mov_b64 s[16:17], 0
	s_and_b64 vcc, exec, s[4:5]
	s_cbranch_vccz .LBB30_1162
; %bb.1155:
	v_cmp_gt_i16_e64 s[4:5], s43, 28
	s_and_b64 vcc, exec, s[4:5]
	s_cbranch_vccz .LBB30_1163
; %bb.1156:
	v_cmp_gt_i16_e64 s[4:5], s43, 43
	;; [unrolled: 4-line block ×3, first 2 shown]
	s_and_b64 vcc, exec, s[4:5]
	s_cbranch_vccz .LBB30_1166
; %bb.1158:
	v_cmp_eq_u16_e64 s[4:5], s43, 46
	s_mov_b64 s[20:21], 0
	s_and_b64 vcc, exec, s[4:5]
	s_cbranch_vccz .LBB30_1169
; %bb.1159:
	global_load_dword v4, v[0:1], off
	s_mov_b64 s[4:5], 0
	s_mov_b64 s[18:19], -1
	s_branch .LBB30_1170
.LBB30_1160:
	s_mov_b64 s[18:19], 0
                                        ; implicit-def: $vgpr4
	s_cbranch_execnz .LBB30_1235
.LBB30_1161:
	s_andn2_b64 vcc, exec, s[18:19]
	s_cbranch_vccnz .LBB30_1994
	s_branch .LBB30_1282
.LBB30_1162:
	s_mov_b64 s[18:19], 0
	s_mov_b64 s[4:5], 0
                                        ; implicit-def: $vgpr4
	s_cbranch_execnz .LBB30_1199
	s_branch .LBB30_1231
.LBB30_1163:
	s_mov_b64 s[20:21], -1
	s_mov_b64 s[18:19], 0
	s_mov_b64 s[4:5], 0
                                        ; implicit-def: $vgpr4
	s_branch .LBB30_1180
.LBB30_1164:
	s_mov_b64 s[20:21], -1
	s_mov_b64 s[18:19], 0
	s_mov_b64 s[4:5], 0
                                        ; implicit-def: $vgpr4
	s_branch .LBB30_1175
.LBB30_1165:
	s_or_b64 s[14:15], s[12:13], exec
	s_trap 2
                                        ; implicit-def: $vgpr3
	s_cbranch_execz .LBB30_1106
	s_branch .LBB30_1107
.LBB30_1166:
	s_mov_b64 s[20:21], -1
	s_mov_b64 s[18:19], 0
	s_mov_b64 s[4:5], 0
                                        ; implicit-def: $vgpr4
	s_branch .LBB30_1170
.LBB30_1167:
	s_or_saveexec_b64 s[24:25], s[24:25]
                                        ; implicit-def: $sgpr26
	s_xor_b64 exec, exec, s[24:25]
	s_cbranch_execz .LBB30_954
.LBB30_1168:
	s_mov_b32 s26, 0x42800000
	v_add_f32_e64 v3, |v6|, s26
	v_and_b32_e32 v3, 0xff, v3
	v_cmp_ne_u32_e32 vcc, 0, v3
	s_andn2_b64 s[22:23], s[22:23], exec
	s_and_b64 s[28:29], vcc, exec
	s_mov_b32 s26, 0
	s_or_b64 s[22:23], s[22:23], s[28:29]
	s_or_b64 exec, exec, s[24:25]
	v_mov_b32_e32 v7, s26
	s_and_saveexec_b64 s[24:25], s[22:23]
	s_cbranch_execnz .LBB30_955
	s_branch .LBB30_956
.LBB30_1169:
	s_mov_b64 s[4:5], -1
                                        ; implicit-def: $vgpr4
	s_mov_b64 s[18:19], 0
.LBB30_1170:
	s_and_b64 vcc, exec, s[20:21]
	s_cbranch_vccz .LBB30_1174
; %bb.1171:
	v_cmp_eq_u16_e64 s[4:5], s43, 44
	s_and_b64 vcc, exec, s[4:5]
	s_cbranch_vccz .LBB30_1173
; %bb.1172:
	global_load_ubyte v4, v[0:1], off
	s_movk_i32 s18, 0xff
	v_mov_b32_e32 v6, 0x7f800001
	v_mov_b32_e32 v7, 0x400000
	;; [unrolled: 1-line block ×3, first 2 shown]
	s_mov_b64 s[4:5], 0
	s_waitcnt vmcnt(0)
	v_lshlrev_b32_e32 v9, 23, v4
	v_cmp_ne_u32_e32 vcc, s18, v4
	v_cndmask_b32_e32 v6, v6, v9, vcc
	v_cmp_ne_u32_e32 vcc, 0, v4
	v_cndmask_b32_e32 v4, v7, v6, vcc
	v_add_u32_e32 v6, 0x7fff, v4
	v_lshrrev_b32_e32 v6, 16, v6
	v_cmp_o_f32_e32 vcc, v4, v4
	v_cndmask_b32_e32 v4, v8, v6, vcc
	s_mov_b64 s[18:19], -1
	s_branch .LBB30_1174
.LBB30_1173:
	s_mov_b64 s[4:5], -1
                                        ; implicit-def: $vgpr4
.LBB30_1174:
	s_mov_b64 s[20:21], 0
.LBB30_1175:
	s_and_b64 vcc, exec, s[20:21]
	s_cbranch_vccz .LBB30_1179
; %bb.1176:
	v_cmp_eq_u16_e64 s[4:5], s43, 29
	s_and_b64 vcc, exec, s[4:5]
	s_cbranch_vccz .LBB30_1178
; %bb.1177:
	global_load_dwordx2 v[6:7], v[0:1], off
	s_movk_i32 s18, 0x7fff
	s_mov_b64 s[4:5], 0
	s_mov_b64 s[20:21], 0
	s_waitcnt vmcnt(0)
	v_ffbh_u32_e32 v4, v7
	v_min_u32_e32 v4, 32, v4
	v_lshlrev_b64 v[6:7], v4, v[6:7]
	v_min_u32_e32 v6, 1, v6
	v_or_b32_e32 v6, v7, v6
	v_cvt_f32_u32_e32 v6, v6
	v_sub_u32_e32 v4, 32, v4
	v_ldexp_f32 v4, v6, v4
	v_bfe_u32 v6, v4, 16, 1
	v_add3_u32 v4, v4, v6, s18
	v_lshrrev_b32_e32 v4, 16, v4
	s_mov_b64 s[18:19], -1
	s_branch .LBB30_1180
.LBB30_1178:
	s_mov_b64 s[4:5], -1
                                        ; implicit-def: $vgpr4
.LBB30_1179:
	s_mov_b64 s[20:21], 0
.LBB30_1180:
	s_and_b64 vcc, exec, s[20:21]
	s_cbranch_vccz .LBB30_1198
; %bb.1181:
	v_cmp_lt_i16_e64 s[18:19], s43, 27
	s_and_b64 vcc, exec, s[18:19]
	s_cbranch_vccnz .LBB30_1184
; %bb.1182:
	v_cmp_gt_i16_e64 s[18:19], s43, 27
	s_and_b64 vcc, exec, s[18:19]
	s_cbranch_vccz .LBB30_1185
; %bb.1183:
	global_load_dword v4, v[0:1], off
	s_movk_i32 s18, 0x7fff
	s_waitcnt vmcnt(0)
	v_cvt_f32_u32_e32 v4, v4
	v_bfe_u32 v6, v4, 16, 1
	v_add3_u32 v4, v4, v6, s18
	v_lshrrev_b32_e32 v4, 16, v4
	s_mov_b64 s[18:19], 0
	s_branch .LBB30_1186
.LBB30_1184:
	s_mov_b64 s[18:19], -1
                                        ; implicit-def: $vgpr4
	s_branch .LBB30_1189
.LBB30_1185:
	s_mov_b64 s[18:19], -1
                                        ; implicit-def: $vgpr4
.LBB30_1186:
	s_andn2_b64 vcc, exec, s[18:19]
	s_cbranch_vccnz .LBB30_1188
; %bb.1187:
	global_load_ushort v4, v[0:1], off
	s_movk_i32 s18, 0x7fff
	s_waitcnt vmcnt(0)
	v_cvt_f32_u32_e32 v4, v4
	v_bfe_u32 v6, v4, 16, 1
	v_add3_u32 v4, v4, v6, s18
	v_lshrrev_b32_e32 v4, 16, v4
.LBB30_1188:
	s_mov_b64 s[18:19], 0
.LBB30_1189:
	s_andn2_b64 vcc, exec, s[18:19]
	s_cbranch_vccnz .LBB30_1197
; %bb.1190:
	global_load_ubyte v4, v[0:1], off
	s_movk_i32 s18, 0x7f
                                        ; implicit-def: $sgpr24
	s_waitcnt vmcnt(0)
	v_cmp_lt_i16_e32 vcc, s18, v4
	s_mov_b64 s[18:19], 0
	s_and_saveexec_b64 s[20:21], vcc
	s_xor_b64 s[20:21], exec, s[20:21]
	s_cbranch_execz .LBB30_1210
; %bb.1191:
	s_movk_i32 s18, 0x80
	v_cmp_eq_u16_e32 vcc, s18, v4
	s_mov_b64 s[18:19], -1
                                        ; implicit-def: $sgpr24
	s_and_saveexec_b64 s[22:23], vcc
; %bb.1192:
	s_mov_b32 s24, 0x7f800001
	s_xor_b64 s[18:19], exec, -1
; %bb.1193:
	s_or_b64 exec, exec, s[22:23]
	s_and_b64 s[18:19], s[18:19], exec
	s_or_saveexec_b64 s[20:21], s[20:21]
	v_mov_b32_e32 v6, s24
	s_xor_b64 exec, exec, s[20:21]
	s_cbranch_execnz .LBB30_1211
.LBB30_1194:
	s_or_b64 exec, exec, s[20:21]
	s_and_saveexec_b64 s[20:21], s[18:19]
	s_cbranch_execz .LBB30_1196
.LBB30_1195:
	v_lshlrev_b32_e32 v6, 24, v4
	v_and_b32_e32 v4, 0xffff, v4
	v_and_b32_e32 v7, 7, v4
	v_ffbh_u32_e32 v9, v7
	v_min_u32_e32 v9, 32, v9
	v_subrev_u32_e32 v10, 28, v9
	v_bfe_u32 v8, v4, 3, 4
	v_lshlrev_b32_e32 v4, v10, v4
	v_sub_u32_e32 v9, 29, v9
	v_and_b32_e32 v4, 7, v4
	v_cmp_eq_u32_e32 vcc, 0, v8
	v_cndmask_b32_e32 v8, v8, v9, vcc
	v_cndmask_b32_e32 v4, v7, v4, vcc
	v_mov_b32_e32 v7, 0x3b800000
	v_lshlrev_b32_e32 v4, 20, v4
	v_and_b32_e32 v6, 0x80000000, v6
	v_lshl_add_u32 v7, v8, 23, v7
	v_or3_b32 v6, v6, v7, v4
.LBB30_1196:
	s_or_b64 exec, exec, s[20:21]
	v_bfe_u32 v4, v6, 16, 1
	s_movk_i32 s18, 0x7fff
	v_add3_u32 v4, v6, v4, s18
	v_lshrrev_b32_e32 v4, 16, v4
	v_mov_b32_e32 v7, 0x7fc0
	v_cmp_o_f32_e32 vcc, v6, v6
	v_cndmask_b32_e32 v4, v7, v4, vcc
.LBB30_1197:
	s_mov_b64 s[18:19], -1
.LBB30_1198:
	s_branch .LBB30_1231
.LBB30_1199:
	v_cmp_gt_i16_e64 s[16:17], s43, 22
	s_and_b64 vcc, exec, s[16:17]
	s_cbranch_vccz .LBB30_1209
; %bb.1200:
	v_cmp_lt_i16_e64 s[16:17], s43, 24
	s_and_b64 vcc, exec, s[16:17]
	s_cbranch_vccnz .LBB30_1212
; %bb.1201:
	v_cmp_gt_i16_e64 s[16:17], s43, 24
	s_and_b64 vcc, exec, s[16:17]
	s_cbranch_vccz .LBB30_1213
; %bb.1202:
	global_load_ubyte v4, v[0:1], off
	s_movk_i32 s16, 0x7f
                                        ; implicit-def: $sgpr22
	s_waitcnt vmcnt(0)
	v_cmp_lt_i16_e32 vcc, s16, v4
	s_mov_b64 s[16:17], 0
	s_and_saveexec_b64 s[18:19], vcc
	s_xor_b64 s[18:19], exec, s[18:19]
	s_cbranch_execz .LBB30_1225
; %bb.1203:
	s_movk_i32 s16, 0x80
	v_cmp_eq_u16_e32 vcc, s16, v4
	s_mov_b64 s[16:17], -1
                                        ; implicit-def: $sgpr22
	s_and_saveexec_b64 s[20:21], vcc
; %bb.1204:
	s_mov_b32 s22, 0x7f800001
	s_xor_b64 s[16:17], exec, -1
; %bb.1205:
	s_or_b64 exec, exec, s[20:21]
	s_and_b64 s[16:17], s[16:17], exec
	s_or_saveexec_b64 s[18:19], s[18:19]
	v_mov_b32_e32 v6, s22
	s_xor_b64 exec, exec, s[18:19]
	s_cbranch_execnz .LBB30_1226
.LBB30_1206:
	s_or_b64 exec, exec, s[18:19]
	s_and_saveexec_b64 s[18:19], s[16:17]
	s_cbranch_execz .LBB30_1208
.LBB30_1207:
	v_lshlrev_b32_e32 v6, 24, v4
	v_and_b32_e32 v4, 0xffff, v4
	v_and_b32_e32 v7, 3, v4
	v_ffbh_u32_e32 v9, v7
	v_min_u32_e32 v9, 32, v9
	v_subrev_u32_e32 v10, 29, v9
	v_bfe_u32 v8, v4, 2, 5
	v_lshlrev_b32_e32 v4, v10, v4
	v_sub_u32_e32 v9, 30, v9
	v_and_b32_e32 v4, 3, v4
	v_cmp_eq_u32_e32 vcc, 0, v8
	v_cndmask_b32_e32 v8, v8, v9, vcc
	v_cndmask_b32_e32 v4, v7, v4, vcc
	v_mov_b32_e32 v7, 0x37800000
	v_lshlrev_b32_e32 v4, 21, v4
	v_and_b32_e32 v6, 0x80000000, v6
	v_lshl_add_u32 v7, v8, 23, v7
	v_or3_b32 v6, v6, v7, v4
.LBB30_1208:
	s_or_b64 exec, exec, s[18:19]
	v_bfe_u32 v4, v6, 16, 1
	s_movk_i32 s16, 0x7fff
	v_add3_u32 v4, v6, v4, s16
	v_lshrrev_b32_e32 v4, 16, v4
	v_mov_b32_e32 v7, 0x7fc0
	v_cmp_o_f32_e32 vcc, v6, v6
	v_cndmask_b32_e32 v4, v7, v4, vcc
	s_mov_b64 s[16:17], 0
	s_branch .LBB30_1214
.LBB30_1209:
	s_mov_b64 s[16:17], -1
                                        ; implicit-def: $vgpr4
	s_branch .LBB30_1220
.LBB30_1210:
	s_or_saveexec_b64 s[20:21], s[20:21]
	v_mov_b32_e32 v6, s24
	s_xor_b64 exec, exec, s[20:21]
	s_cbranch_execz .LBB30_1194
.LBB30_1211:
	v_cmp_ne_u16_e32 vcc, 0, v4
	s_andn2_b64 s[18:19], s[18:19], exec
	s_and_b64 s[22:23], vcc, exec
	v_mov_b32_e32 v6, 0
	s_or_b64 s[18:19], s[18:19], s[22:23]
	s_or_b64 exec, exec, s[20:21]
	s_and_saveexec_b64 s[20:21], s[18:19]
	s_cbranch_execnz .LBB30_1195
	s_branch .LBB30_1196
.LBB30_1212:
	s_mov_b64 s[16:17], -1
                                        ; implicit-def: $vgpr4
	s_branch .LBB30_1217
.LBB30_1213:
	s_mov_b64 s[16:17], -1
                                        ; implicit-def: $vgpr4
.LBB30_1214:
	s_and_b64 vcc, exec, s[16:17]
	s_cbranch_vccz .LBB30_1216
; %bb.1215:
	global_load_ubyte v4, v[0:1], off
	s_mov_b32 s16, 0x7f800000
	s_brev_b32 s17, 1
	s_movk_i32 s18, 0x7fff
	v_mov_b32_e32 v6, 0x7fc0
	s_waitcnt vmcnt(0)
	v_lshlrev_b32_e32 v4, 24, v4
	v_and_b32_e32 v7, 0x7f000000, v4
	v_ffbh_u32_e32 v8, v7
	v_min_u32_e32 v8, 32, v8
	v_sub_u32_e64 v8, v8, 4 clamp
	v_lshlrev_b32_e32 v10, v8, v7
	v_lshlrev_b32_e32 v8, 23, v8
	v_lshrrev_b32_e32 v10, 4, v10
	v_add_u32_e32 v9, 0x1000000, v7
	v_sub_u32_e32 v8, v10, v8
	v_ashrrev_i32_e32 v9, 8, v9
	v_add_u32_e32 v8, 0x3c000000, v8
	v_and_or_b32 v8, v9, s16, v8
	v_cmp_ne_u32_e32 vcc, 0, v7
	v_cndmask_b32_e32 v7, 0, v8, vcc
	v_and_or_b32 v4, v4, s17, v7
	v_bfe_u32 v7, v7, 16, 1
	v_add3_u32 v7, v4, v7, s18
	v_lshrrev_b32_e32 v7, 16, v7
	v_cmp_o_f32_e32 vcc, v4, v4
	v_cndmask_b32_e32 v4, v6, v7, vcc
.LBB30_1216:
	s_mov_b64 s[16:17], 0
.LBB30_1217:
	s_andn2_b64 vcc, exec, s[16:17]
	s_cbranch_vccnz .LBB30_1219
; %bb.1218:
	global_load_ubyte v4, v[0:1], off
	s_movk_i32 s16, 0x7f00
	s_brev_b32 s17, 16
	s_brev_b32 s18, 1
	s_movk_i32 s19, 0x7fff
	v_mov_b32_e32 v6, 0x7fc0
	s_waitcnt vmcnt(0)
	v_lshlrev_b16_e32 v7, 8, v4
	v_lshlrev_b32_e32 v4, 25, v4
	v_lshrrev_b32_e32 v8, 4, v4
	v_and_or_b32 v9, v7, s16, 0.5
	v_or_b32_e32 v8, 0x70000000, v8
	v_add_f32_e32 v9, -0.5, v9
	v_mul_f32_e32 v8, 0x7800000, v8
	v_cmp_gt_u32_e32 vcc, s17, v4
	v_bfe_i32 v7, v7, 0, 16
	v_cndmask_b32_e32 v4, v8, v9, vcc
	v_and_or_b32 v7, v7, s18, v4
	v_bfe_u32 v4, v4, 16, 1
	v_add3_u32 v4, v7, v4, s19
	v_lshrrev_b32_e32 v4, 16, v4
	v_cmp_o_f32_e32 vcc, v7, v7
	v_cndmask_b32_e32 v4, v6, v4, vcc
.LBB30_1219:
	s_mov_b64 s[16:17], 0
	s_mov_b64 s[18:19], -1
.LBB30_1220:
	s_andn2_b64 vcc, exec, s[16:17]
	s_mov_b64 s[16:17], 0
	s_cbranch_vccnz .LBB30_1231
; %bb.1221:
	v_cmp_gt_i16_e64 s[16:17], s43, 14
	s_and_b64 vcc, exec, s[16:17]
	s_cbranch_vccz .LBB30_1224
; %bb.1222:
	v_cmp_eq_u16_e64 s[4:5], s43, 15
	s_and_b64 vcc, exec, s[4:5]
	s_cbranch_vccz .LBB30_1227
; %bb.1223:
	global_load_ushort v4, v[0:1], off
	s_mov_b64 s[4:5], 0
	s_mov_b64 s[18:19], -1
	s_branch .LBB30_1228
.LBB30_1224:
	s_mov_b64 s[20:21], -1
                                        ; implicit-def: $vgpr4
	s_branch .LBB30_1229
.LBB30_1225:
	s_or_saveexec_b64 s[18:19], s[18:19]
	v_mov_b32_e32 v6, s22
	s_xor_b64 exec, exec, s[18:19]
	s_cbranch_execz .LBB30_1206
.LBB30_1226:
	v_cmp_ne_u16_e32 vcc, 0, v4
	s_andn2_b64 s[16:17], s[16:17], exec
	s_and_b64 s[20:21], vcc, exec
	v_mov_b32_e32 v6, 0
	s_or_b64 s[16:17], s[16:17], s[20:21]
	s_or_b64 exec, exec, s[18:19]
	s_and_saveexec_b64 s[18:19], s[16:17]
	s_cbranch_execnz .LBB30_1207
	s_branch .LBB30_1208
.LBB30_1227:
	s_mov_b64 s[4:5], -1
                                        ; implicit-def: $vgpr4
.LBB30_1228:
	s_mov_b64 s[20:21], 0
.LBB30_1229:
	s_mov_b64 s[16:17], 0
	s_and_b64 vcc, exec, s[20:21]
	s_cbranch_vccz .LBB30_1231
; %bb.1230:
	v_cmp_ne_u16_e64 s[4:5], s43, 11
	s_mov_b64 s[16:17], -1
                                        ; implicit-def: $vgpr4
.LBB30_1231:
	s_and_b64 vcc, exec, s[4:5]
	s_cbranch_vccnz .LBB30_1294
; %bb.1232:
	s_andn2_b64 vcc, exec, s[16:17]
	s_cbranch_vccnz .LBB30_1234
.LBB30_1233:
	global_load_ubyte v4, v[0:1], off
	s_mov_b64 s[18:19], -1
	s_waitcnt vmcnt(0)
	v_cmp_ne_u16_e32 vcc, 0, v4
	v_cndmask_b32_e64 v4, 0, 1.0, vcc
	v_lshrrev_b32_e32 v4, 16, v4
.LBB30_1234:
	s_branch .LBB30_1161
.LBB30_1235:
	v_cmp_lt_i16_e64 s[4:5], s43, 5
	s_and_b64 vcc, exec, s[4:5]
	s_cbranch_vccnz .LBB30_1240
; %bb.1236:
	v_cmp_lt_i16_e64 s[4:5], s43, 8
	s_and_b64 vcc, exec, s[4:5]
	s_cbranch_vccnz .LBB30_1241
; %bb.1237:
	;; [unrolled: 4-line block ×3, first 2 shown]
	v_cmp_gt_i16_e64 s[4:5], s43, 9
	s_and_b64 vcc, exec, s[4:5]
	s_cbranch_vccz .LBB30_1243
; %bb.1239:
	global_load_dwordx2 v[6:7], v[0:1], off
	s_movk_i32 s4, 0x7fff
	s_waitcnt vmcnt(1)
	v_mov_b32_e32 v4, 0x7fc0
	s_waitcnt vmcnt(0)
	v_cvt_f32_f64_e32 v6, v[6:7]
	v_bfe_u32 v7, v6, 16, 1
	v_add3_u32 v7, v6, v7, s4
	v_lshrrev_b32_e32 v7, 16, v7
	v_cmp_o_f32_e32 vcc, v6, v6
	v_cndmask_b32_e32 v4, v4, v7, vcc
	s_mov_b64 s[4:5], 0
	s_branch .LBB30_1244
.LBB30_1240:
                                        ; implicit-def: $vgpr4
	s_branch .LBB30_1262
.LBB30_1241:
	s_mov_b64 s[4:5], -1
                                        ; implicit-def: $vgpr4
	s_branch .LBB30_1250
.LBB30_1242:
	s_mov_b64 s[4:5], -1
                                        ; implicit-def: $vgpr4
	s_branch .LBB30_1247
.LBB30_1243:
	s_mov_b64 s[4:5], -1
                                        ; implicit-def: $vgpr4
.LBB30_1244:
	s_andn2_b64 vcc, exec, s[4:5]
	s_cbranch_vccnz .LBB30_1246
; %bb.1245:
	global_load_dword v4, v[0:1], off
	s_movk_i32 s4, 0x7fff
	v_mov_b32_e32 v6, 0x7fc0
	s_waitcnt vmcnt(0)
	v_bfe_u32 v7, v4, 16, 1
	v_add3_u32 v7, v4, v7, s4
	v_lshrrev_b32_e32 v7, 16, v7
	v_cmp_o_f32_e32 vcc, v4, v4
	v_cndmask_b32_e32 v4, v6, v7, vcc
.LBB30_1246:
	s_mov_b64 s[4:5], 0
.LBB30_1247:
	s_andn2_b64 vcc, exec, s[4:5]
	s_cbranch_vccnz .LBB30_1249
; %bb.1248:
	global_load_dword v4, v[0:1], off
	s_movk_i32 s4, 0x7fff
	v_mov_b32_e32 v7, 0x7fc0
	s_waitcnt vmcnt(0)
	v_cvt_f32_f16_e32 v6, v4
	v_cmp_o_f16_e32 vcc, v4, v4
	v_bfe_u32 v8, v6, 16, 1
	v_add3_u32 v6, v6, v8, s4
	v_lshrrev_b32_e32 v6, 16, v6
	v_cndmask_b32_e32 v4, v7, v6, vcc
.LBB30_1249:
	s_mov_b64 s[4:5], 0
.LBB30_1250:
	s_andn2_b64 vcc, exec, s[4:5]
	s_cbranch_vccnz .LBB30_1261
; %bb.1251:
	v_cmp_lt_i16_e64 s[4:5], s43, 6
	s_and_b64 vcc, exec, s[4:5]
	s_cbranch_vccnz .LBB30_1254
; %bb.1252:
	v_cmp_gt_i16_e64 s[4:5], s43, 6
	s_and_b64 vcc, exec, s[4:5]
	s_cbranch_vccz .LBB30_1255
; %bb.1253:
	global_load_dwordx2 v[6:7], v[0:1], off
	s_movk_i32 s4, 0x7fff
	s_waitcnt vmcnt(1)
	v_mov_b32_e32 v4, 0x7fc0
	s_waitcnt vmcnt(0)
	v_cvt_f32_f64_e32 v6, v[6:7]
	v_bfe_u32 v7, v6, 16, 1
	v_add3_u32 v7, v6, v7, s4
	v_lshrrev_b32_e32 v7, 16, v7
	v_cmp_o_f32_e32 vcc, v6, v6
	v_cndmask_b32_e32 v4, v4, v7, vcc
	s_mov_b64 s[4:5], 0
	s_branch .LBB30_1256
.LBB30_1254:
	s_mov_b64 s[4:5], -1
                                        ; implicit-def: $vgpr4
	s_branch .LBB30_1259
.LBB30_1255:
	s_mov_b64 s[4:5], -1
                                        ; implicit-def: $vgpr4
.LBB30_1256:
	s_andn2_b64 vcc, exec, s[4:5]
	s_cbranch_vccnz .LBB30_1258
; %bb.1257:
	global_load_dword v4, v[0:1], off
	s_movk_i32 s4, 0x7fff
	v_mov_b32_e32 v6, 0x7fc0
	s_waitcnt vmcnt(0)
	v_bfe_u32 v7, v4, 16, 1
	v_add3_u32 v7, v4, v7, s4
	v_lshrrev_b32_e32 v7, 16, v7
	v_cmp_o_f32_e32 vcc, v4, v4
	v_cndmask_b32_e32 v4, v6, v7, vcc
.LBB30_1258:
	s_mov_b64 s[4:5], 0
.LBB30_1259:
	s_andn2_b64 vcc, exec, s[4:5]
	s_cbranch_vccnz .LBB30_1261
; %bb.1260:
	global_load_ushort v4, v[0:1], off
	s_movk_i32 s4, 0x7fff
	v_mov_b32_e32 v7, 0x7fc0
	s_waitcnt vmcnt(0)
	v_cvt_f32_f16_e32 v6, v4
	v_cmp_o_f16_e32 vcc, v4, v4
	v_bfe_u32 v8, v6, 16, 1
	v_add3_u32 v6, v6, v8, s4
	v_lshrrev_b32_e32 v6, 16, v6
	v_cndmask_b32_e32 v4, v7, v6, vcc
.LBB30_1261:
	s_cbranch_execnz .LBB30_1281
.LBB30_1262:
	v_cmp_lt_i16_e64 s[4:5], s43, 2
	s_and_b64 vcc, exec, s[4:5]
	s_cbranch_vccnz .LBB30_1266
; %bb.1263:
	v_cmp_lt_i16_e64 s[4:5], s43, 3
	s_and_b64 vcc, exec, s[4:5]
	s_cbranch_vccnz .LBB30_1267
; %bb.1264:
	v_cmp_gt_i16_e64 s[4:5], s43, 3
	s_and_b64 vcc, exec, s[4:5]
	s_cbranch_vccz .LBB30_1268
; %bb.1265:
	global_load_dwordx2 v[6:7], v[0:1], off
	s_movk_i32 s4, 0x7fff
	s_waitcnt vmcnt(0)
	v_xor_b32_e32 v8, v6, v7
	v_ffbh_i32_e32 v4, v7
	v_ashrrev_i32_e32 v8, 31, v8
	v_add_u32_e32 v4, -1, v4
	v_add_u32_e32 v8, 32, v8
	v_min_u32_e32 v4, v4, v8
	v_lshlrev_b64 v[6:7], v4, v[6:7]
	v_min_u32_e32 v6, 1, v6
	v_or_b32_e32 v6, v7, v6
	v_cvt_f32_i32_e32 v6, v6
	v_sub_u32_e32 v4, 32, v4
	v_ldexp_f32 v4, v6, v4
	v_bfe_u32 v6, v4, 16, 1
	v_add3_u32 v4, v4, v6, s4
	v_lshrrev_b32_e32 v4, 16, v4
	s_mov_b64 s[4:5], 0
	s_branch .LBB30_1269
.LBB30_1266:
	s_mov_b64 s[4:5], -1
                                        ; implicit-def: $vgpr4
	s_branch .LBB30_1275
.LBB30_1267:
	s_mov_b64 s[4:5], -1
                                        ; implicit-def: $vgpr4
	s_branch .LBB30_1272
.LBB30_1268:
	s_mov_b64 s[4:5], -1
                                        ; implicit-def: $vgpr4
.LBB30_1269:
	s_andn2_b64 vcc, exec, s[4:5]
	s_cbranch_vccnz .LBB30_1271
; %bb.1270:
	global_load_dword v4, v[0:1], off
	s_movk_i32 s4, 0x7fff
	s_waitcnt vmcnt(0)
	v_cvt_f32_i32_e32 v4, v4
	v_bfe_u32 v6, v4, 16, 1
	v_add3_u32 v4, v4, v6, s4
	v_lshrrev_b32_e32 v4, 16, v4
.LBB30_1271:
	s_mov_b64 s[4:5], 0
.LBB30_1272:
	s_andn2_b64 vcc, exec, s[4:5]
	s_cbranch_vccnz .LBB30_1274
; %bb.1273:
	global_load_sshort v4, v[0:1], off
	s_movk_i32 s4, 0x7fff
	s_waitcnt vmcnt(0)
	v_cvt_f32_i32_e32 v4, v4
	v_bfe_u32 v6, v4, 16, 1
	v_add3_u32 v4, v4, v6, s4
	v_lshrrev_b32_e32 v4, 16, v4
.LBB30_1274:
	s_mov_b64 s[4:5], 0
.LBB30_1275:
	s_andn2_b64 vcc, exec, s[4:5]
	s_cbranch_vccnz .LBB30_1281
; %bb.1276:
	v_cmp_gt_i16_e64 s[4:5], s43, 0
	s_and_b64 vcc, exec, s[4:5]
	s_cbranch_vccz .LBB30_1278
; %bb.1277:
	global_load_sbyte v4, v[0:1], off
	s_movk_i32 s4, 0x7fff
	s_waitcnt vmcnt(0)
	v_cvt_f32_i32_e32 v4, v4
	v_bfe_u32 v6, v4, 16, 1
	v_add3_u32 v4, v4, v6, s4
	v_lshrrev_b32_e32 v4, 16, v4
	s_mov_b64 s[4:5], 0
	s_branch .LBB30_1279
.LBB30_1278:
	s_mov_b64 s[4:5], -1
                                        ; implicit-def: $vgpr4
.LBB30_1279:
	s_andn2_b64 vcc, exec, s[4:5]
	s_cbranch_vccnz .LBB30_1281
; %bb.1280:
	global_load_ubyte v0, v[0:1], off
	s_movk_i32 s4, 0x7fff
	s_waitcnt vmcnt(0)
	v_cvt_f32_ubyte0_e32 v0, v0
	v_bfe_u32 v1, v0, 16, 1
	v_add3_u32 v0, v0, v1, s4
	v_lshrrev_b32_e32 v4, 16, v0
.LBB30_1281:
.LBB30_1282:
	v_add_u32_e32 v6, s3, v5
	v_ashrrev_i32_e32 v1, 31, v6
	v_mov_b32_e32 v5, s11
	v_add_co_u32_e32 v0, vcc, s10, v6
	v_addc_co_u32_e32 v1, vcc, v5, v1, vcc
	s_and_b64 vcc, exec, s[0:1]
	s_cbranch_vccnz .LBB30_1289
; %bb.1283:
	v_cmp_gt_i16_e64 s[4:5], s43, 25
	s_mov_b64 s[16:17], 0
	s_and_b64 vcc, exec, s[4:5]
	s_cbranch_vccz .LBB30_1291
; %bb.1284:
	v_cmp_gt_i16_e64 s[4:5], s43, 28
	s_and_b64 vcc, exec, s[4:5]
	s_cbranch_vccz .LBB30_1292
; %bb.1285:
	v_cmp_gt_i16_e64 s[4:5], s43, 43
	;; [unrolled: 4-line block ×3, first 2 shown]
	s_and_b64 vcc, exec, s[4:5]
	s_cbranch_vccz .LBB30_1295
; %bb.1287:
	v_cmp_eq_u16_e64 s[4:5], s43, 46
	s_mov_b64 s[20:21], 0
	s_and_b64 vcc, exec, s[4:5]
	s_cbranch_vccz .LBB30_1296
; %bb.1288:
	global_load_dword v5, v[0:1], off
	s_mov_b64 s[4:5], 0
	s_mov_b64 s[18:19], -1
	s_branch .LBB30_1297
.LBB30_1289:
	s_mov_b64 s[18:19], 0
                                        ; implicit-def: $vgpr5
	s_cbranch_execnz .LBB30_1363
.LBB30_1290:
	s_andn2_b64 vcc, exec, s[18:19]
	s_cbranch_vccnz .LBB30_1994
	s_branch .LBB30_1411
.LBB30_1291:
	s_mov_b64 s[20:21], -1
	s_mov_b64 s[18:19], 0
	s_mov_b64 s[4:5], 0
                                        ; implicit-def: $vgpr5
	s_branch .LBB30_1326
.LBB30_1292:
	s_mov_b64 s[20:21], -1
	s_mov_b64 s[18:19], 0
	s_mov_b64 s[4:5], 0
                                        ; implicit-def: $vgpr5
	s_branch .LBB30_1307
.LBB30_1293:
	s_mov_b64 s[20:21], -1
	s_mov_b64 s[18:19], 0
	s_mov_b64 s[4:5], 0
                                        ; implicit-def: $vgpr5
	s_branch .LBB30_1302
.LBB30_1294:
	s_trap 2
	s_or_b64 s[14:15], s[14:15], exec
                                        ; implicit-def: $vgpr4
	s_cbranch_execz .LBB30_1233
	s_branch .LBB30_1234
.LBB30_1295:
	s_mov_b64 s[20:21], -1
	s_mov_b64 s[18:19], 0
	s_mov_b64 s[4:5], 0
                                        ; implicit-def: $vgpr5
	s_branch .LBB30_1297
.LBB30_1296:
	s_mov_b64 s[4:5], -1
                                        ; implicit-def: $vgpr5
	s_mov_b64 s[18:19], 0
.LBB30_1297:
	s_and_b64 vcc, exec, s[20:21]
	s_cbranch_vccz .LBB30_1301
; %bb.1298:
	v_cmp_eq_u16_e64 s[4:5], s43, 44
	s_and_b64 vcc, exec, s[4:5]
	s_cbranch_vccz .LBB30_1300
; %bb.1299:
	global_load_ubyte v5, v[0:1], off
	s_movk_i32 s18, 0xff
	v_mov_b32_e32 v7, 0x7f800001
	v_mov_b32_e32 v8, 0x400000
	;; [unrolled: 1-line block ×3, first 2 shown]
	s_mov_b64 s[4:5], 0
	s_waitcnt vmcnt(0)
	v_lshlrev_b32_e32 v10, 23, v5
	v_cmp_ne_u32_e32 vcc, s18, v5
	v_cndmask_b32_e32 v7, v7, v10, vcc
	v_cmp_ne_u32_e32 vcc, 0, v5
	v_cndmask_b32_e32 v5, v8, v7, vcc
	v_add_u32_e32 v7, 0x7fff, v5
	v_lshrrev_b32_e32 v7, 16, v7
	v_cmp_o_f32_e32 vcc, v5, v5
	v_cndmask_b32_e32 v5, v9, v7, vcc
	s_mov_b64 s[18:19], -1
	s_branch .LBB30_1301
.LBB30_1300:
	s_mov_b64 s[4:5], -1
                                        ; implicit-def: $vgpr5
.LBB30_1301:
	s_mov_b64 s[20:21], 0
.LBB30_1302:
	s_and_b64 vcc, exec, s[20:21]
	s_cbranch_vccz .LBB30_1306
; %bb.1303:
	v_cmp_eq_u16_e64 s[4:5], s43, 29
	s_and_b64 vcc, exec, s[4:5]
	s_cbranch_vccz .LBB30_1305
; %bb.1304:
	global_load_dwordx2 v[8:9], v[0:1], off
	s_movk_i32 s18, 0x7fff
	s_mov_b64 s[4:5], 0
	s_mov_b64 s[20:21], 0
	s_waitcnt vmcnt(0)
	v_ffbh_u32_e32 v5, v9
	v_min_u32_e32 v5, 32, v5
	v_lshlrev_b64 v[8:9], v5, v[8:9]
	v_min_u32_e32 v7, 1, v8
	v_or_b32_e32 v7, v9, v7
	v_cvt_f32_u32_e32 v7, v7
	v_sub_u32_e32 v5, 32, v5
	v_ldexp_f32 v5, v7, v5
	v_bfe_u32 v7, v5, 16, 1
	v_add3_u32 v5, v5, v7, s18
	v_lshrrev_b32_e32 v5, 16, v5
	s_mov_b64 s[18:19], -1
	s_branch .LBB30_1307
.LBB30_1305:
	s_mov_b64 s[4:5], -1
                                        ; implicit-def: $vgpr5
.LBB30_1306:
	s_mov_b64 s[20:21], 0
.LBB30_1307:
	s_and_b64 vcc, exec, s[20:21]
	s_cbranch_vccz .LBB30_1325
; %bb.1308:
	v_cmp_lt_i16_e64 s[18:19], s43, 27
	s_and_b64 vcc, exec, s[18:19]
	s_cbranch_vccnz .LBB30_1311
; %bb.1309:
	v_cmp_gt_i16_e64 s[18:19], s43, 27
	s_and_b64 vcc, exec, s[18:19]
	s_cbranch_vccz .LBB30_1312
; %bb.1310:
	global_load_dword v5, v[0:1], off
	s_movk_i32 s18, 0x7fff
	s_waitcnt vmcnt(0)
	v_cvt_f32_u32_e32 v5, v5
	v_bfe_u32 v7, v5, 16, 1
	v_add3_u32 v5, v5, v7, s18
	v_lshrrev_b32_e32 v5, 16, v5
	s_mov_b64 s[18:19], 0
	s_branch .LBB30_1313
.LBB30_1311:
	s_mov_b64 s[18:19], -1
                                        ; implicit-def: $vgpr5
	s_branch .LBB30_1316
.LBB30_1312:
	s_mov_b64 s[18:19], -1
                                        ; implicit-def: $vgpr5
.LBB30_1313:
	s_andn2_b64 vcc, exec, s[18:19]
	s_cbranch_vccnz .LBB30_1315
; %bb.1314:
	global_load_ushort v5, v[0:1], off
	s_movk_i32 s18, 0x7fff
	s_waitcnt vmcnt(0)
	v_cvt_f32_u32_e32 v5, v5
	v_bfe_u32 v7, v5, 16, 1
	v_add3_u32 v5, v5, v7, s18
	v_lshrrev_b32_e32 v5, 16, v5
.LBB30_1315:
	s_mov_b64 s[18:19], 0
.LBB30_1316:
	s_andn2_b64 vcc, exec, s[18:19]
	s_cbranch_vccnz .LBB30_1324
; %bb.1317:
	global_load_ubyte v5, v[0:1], off
	s_movk_i32 s18, 0x7f
                                        ; implicit-def: $sgpr24
	s_waitcnt vmcnt(0)
	v_cmp_lt_i16_e32 vcc, s18, v5
	s_mov_b64 s[18:19], 0
	s_and_saveexec_b64 s[20:21], vcc
	s_xor_b64 s[20:21], exec, s[20:21]
	s_cbranch_execz .LBB30_1338
; %bb.1318:
	s_movk_i32 s18, 0x80
	v_cmp_eq_u16_e32 vcc, s18, v5
	s_mov_b64 s[18:19], -1
                                        ; implicit-def: $sgpr24
	s_and_saveexec_b64 s[22:23], vcc
; %bb.1319:
	s_mov_b32 s24, 0x7f800001
	s_xor_b64 s[18:19], exec, -1
; %bb.1320:
	s_or_b64 exec, exec, s[22:23]
	s_and_b64 s[18:19], s[18:19], exec
	s_or_saveexec_b64 s[20:21], s[20:21]
	v_mov_b32_e32 v7, s24
	s_xor_b64 exec, exec, s[20:21]
	s_cbranch_execnz .LBB30_1339
.LBB30_1321:
	s_or_b64 exec, exec, s[20:21]
	s_and_saveexec_b64 s[20:21], s[18:19]
	s_cbranch_execz .LBB30_1323
.LBB30_1322:
	v_lshlrev_b32_e32 v7, 24, v5
	v_and_b32_e32 v5, 0xffff, v5
	v_and_b32_e32 v8, 7, v5
	v_ffbh_u32_e32 v10, v8
	v_min_u32_e32 v10, 32, v10
	v_subrev_u32_e32 v11, 28, v10
	v_bfe_u32 v9, v5, 3, 4
	v_lshlrev_b32_e32 v5, v11, v5
	v_sub_u32_e32 v10, 29, v10
	v_and_b32_e32 v5, 7, v5
	v_cmp_eq_u32_e32 vcc, 0, v9
	v_cndmask_b32_e32 v9, v9, v10, vcc
	v_cndmask_b32_e32 v5, v8, v5, vcc
	v_mov_b32_e32 v8, 0x3b800000
	v_lshlrev_b32_e32 v5, 20, v5
	v_and_b32_e32 v7, 0x80000000, v7
	v_lshl_add_u32 v8, v9, 23, v8
	v_or3_b32 v7, v7, v8, v5
.LBB30_1323:
	s_or_b64 exec, exec, s[20:21]
	v_bfe_u32 v5, v7, 16, 1
	s_movk_i32 s18, 0x7fff
	v_add3_u32 v5, v7, v5, s18
	v_lshrrev_b32_e32 v5, 16, v5
	v_mov_b32_e32 v8, 0x7fc0
	v_cmp_o_f32_e32 vcc, v7, v7
	v_cndmask_b32_e32 v5, v8, v5, vcc
.LBB30_1324:
	s_mov_b64 s[18:19], -1
.LBB30_1325:
	s_mov_b64 s[20:21], 0
.LBB30_1326:
	s_and_b64 vcc, exec, s[20:21]
	s_cbranch_vccz .LBB30_1359
; %bb.1327:
	v_cmp_gt_i16_e64 s[16:17], s43, 22
	s_and_b64 vcc, exec, s[16:17]
	s_cbranch_vccz .LBB30_1337
; %bb.1328:
	v_cmp_lt_i16_e64 s[16:17], s43, 24
	s_and_b64 vcc, exec, s[16:17]
	s_cbranch_vccnz .LBB30_1340
; %bb.1329:
	v_cmp_gt_i16_e64 s[16:17], s43, 24
	s_and_b64 vcc, exec, s[16:17]
	s_cbranch_vccz .LBB30_1341
; %bb.1330:
	global_load_ubyte v5, v[0:1], off
	s_movk_i32 s16, 0x7f
                                        ; implicit-def: $sgpr22
	s_waitcnt vmcnt(0)
	v_cmp_lt_i16_e32 vcc, s16, v5
	s_mov_b64 s[16:17], 0
	s_and_saveexec_b64 s[18:19], vcc
	s_xor_b64 s[18:19], exec, s[18:19]
	s_cbranch_execz .LBB30_1353
; %bb.1331:
	s_movk_i32 s16, 0x80
	v_cmp_eq_u16_e32 vcc, s16, v5
	s_mov_b64 s[16:17], -1
                                        ; implicit-def: $sgpr22
	s_and_saveexec_b64 s[20:21], vcc
; %bb.1332:
	s_mov_b32 s22, 0x7f800001
	s_xor_b64 s[16:17], exec, -1
; %bb.1333:
	s_or_b64 exec, exec, s[20:21]
	s_and_b64 s[16:17], s[16:17], exec
	s_or_saveexec_b64 s[18:19], s[18:19]
	v_mov_b32_e32 v7, s22
	s_xor_b64 exec, exec, s[18:19]
	s_cbranch_execnz .LBB30_1354
.LBB30_1334:
	s_or_b64 exec, exec, s[18:19]
	s_and_saveexec_b64 s[18:19], s[16:17]
	s_cbranch_execz .LBB30_1336
.LBB30_1335:
	v_lshlrev_b32_e32 v7, 24, v5
	v_and_b32_e32 v5, 0xffff, v5
	v_and_b32_e32 v8, 3, v5
	v_ffbh_u32_e32 v10, v8
	v_min_u32_e32 v10, 32, v10
	v_subrev_u32_e32 v11, 29, v10
	v_bfe_u32 v9, v5, 2, 5
	v_lshlrev_b32_e32 v5, v11, v5
	v_sub_u32_e32 v10, 30, v10
	v_and_b32_e32 v5, 3, v5
	v_cmp_eq_u32_e32 vcc, 0, v9
	v_cndmask_b32_e32 v9, v9, v10, vcc
	v_cndmask_b32_e32 v5, v8, v5, vcc
	v_mov_b32_e32 v8, 0x37800000
	v_lshlrev_b32_e32 v5, 21, v5
	v_and_b32_e32 v7, 0x80000000, v7
	v_lshl_add_u32 v8, v9, 23, v8
	v_or3_b32 v7, v7, v8, v5
.LBB30_1336:
	s_or_b64 exec, exec, s[18:19]
	v_bfe_u32 v5, v7, 16, 1
	s_movk_i32 s16, 0x7fff
	v_add3_u32 v5, v7, v5, s16
	v_lshrrev_b32_e32 v5, 16, v5
	v_mov_b32_e32 v8, 0x7fc0
	v_cmp_o_f32_e32 vcc, v7, v7
	v_cndmask_b32_e32 v5, v8, v5, vcc
	s_mov_b64 s[16:17], 0
	s_branch .LBB30_1342
.LBB30_1337:
	s_mov_b64 s[16:17], -1
                                        ; implicit-def: $vgpr5
	s_branch .LBB30_1348
.LBB30_1338:
	s_or_saveexec_b64 s[20:21], s[20:21]
	v_mov_b32_e32 v7, s24
	s_xor_b64 exec, exec, s[20:21]
	s_cbranch_execz .LBB30_1321
.LBB30_1339:
	v_cmp_ne_u16_e32 vcc, 0, v5
	s_andn2_b64 s[18:19], s[18:19], exec
	s_and_b64 s[22:23], vcc, exec
	v_mov_b32_e32 v7, 0
	s_or_b64 s[18:19], s[18:19], s[22:23]
	s_or_b64 exec, exec, s[20:21]
	s_and_saveexec_b64 s[20:21], s[18:19]
	s_cbranch_execnz .LBB30_1322
	s_branch .LBB30_1323
.LBB30_1340:
	s_mov_b64 s[16:17], -1
                                        ; implicit-def: $vgpr5
	s_branch .LBB30_1345
.LBB30_1341:
	s_mov_b64 s[16:17], -1
                                        ; implicit-def: $vgpr5
.LBB30_1342:
	s_and_b64 vcc, exec, s[16:17]
	s_cbranch_vccz .LBB30_1344
; %bb.1343:
	global_load_ubyte v5, v[0:1], off
	s_mov_b32 s16, 0x7f800000
	s_brev_b32 s17, 1
	s_movk_i32 s18, 0x7fff
	v_mov_b32_e32 v7, 0x7fc0
	s_waitcnt vmcnt(0)
	v_lshlrev_b32_e32 v5, 24, v5
	v_and_b32_e32 v8, 0x7f000000, v5
	v_ffbh_u32_e32 v9, v8
	v_min_u32_e32 v9, 32, v9
	v_sub_u32_e64 v9, v9, 4 clamp
	v_lshlrev_b32_e32 v11, v9, v8
	v_lshlrev_b32_e32 v9, 23, v9
	v_lshrrev_b32_e32 v11, 4, v11
	v_add_u32_e32 v10, 0x1000000, v8
	v_sub_u32_e32 v9, v11, v9
	v_ashrrev_i32_e32 v10, 8, v10
	v_add_u32_e32 v9, 0x3c000000, v9
	v_and_or_b32 v9, v10, s16, v9
	v_cmp_ne_u32_e32 vcc, 0, v8
	v_cndmask_b32_e32 v8, 0, v9, vcc
	v_and_or_b32 v5, v5, s17, v8
	v_bfe_u32 v8, v8, 16, 1
	v_add3_u32 v8, v5, v8, s18
	v_lshrrev_b32_e32 v8, 16, v8
	v_cmp_o_f32_e32 vcc, v5, v5
	v_cndmask_b32_e32 v5, v7, v8, vcc
.LBB30_1344:
	s_mov_b64 s[16:17], 0
.LBB30_1345:
	s_andn2_b64 vcc, exec, s[16:17]
	s_cbranch_vccnz .LBB30_1347
; %bb.1346:
	global_load_ubyte v5, v[0:1], off
	s_movk_i32 s16, 0x7f00
	s_brev_b32 s17, 16
	s_brev_b32 s18, 1
	s_movk_i32 s19, 0x7fff
	v_mov_b32_e32 v7, 0x7fc0
	s_waitcnt vmcnt(0)
	v_lshlrev_b16_e32 v8, 8, v5
	v_lshlrev_b32_e32 v5, 25, v5
	v_lshrrev_b32_e32 v9, 4, v5
	v_and_or_b32 v10, v8, s16, 0.5
	v_or_b32_e32 v9, 0x70000000, v9
	v_add_f32_e32 v10, -0.5, v10
	v_mul_f32_e32 v9, 0x7800000, v9
	v_cmp_gt_u32_e32 vcc, s17, v5
	v_bfe_i32 v8, v8, 0, 16
	v_cndmask_b32_e32 v5, v9, v10, vcc
	v_and_or_b32 v8, v8, s18, v5
	v_bfe_u32 v5, v5, 16, 1
	v_add3_u32 v5, v8, v5, s19
	v_lshrrev_b32_e32 v5, 16, v5
	v_cmp_o_f32_e32 vcc, v8, v8
	v_cndmask_b32_e32 v5, v7, v5, vcc
.LBB30_1347:
	s_mov_b64 s[16:17], 0
	s_mov_b64 s[18:19], -1
.LBB30_1348:
	s_andn2_b64 vcc, exec, s[16:17]
	s_mov_b64 s[16:17], 0
	s_cbranch_vccnz .LBB30_1359
; %bb.1349:
	v_cmp_gt_i16_e64 s[16:17], s43, 14
	s_and_b64 vcc, exec, s[16:17]
	s_cbranch_vccz .LBB30_1352
; %bb.1350:
	v_cmp_eq_u16_e64 s[4:5], s43, 15
	s_and_b64 vcc, exec, s[4:5]
	s_cbranch_vccz .LBB30_1355
; %bb.1351:
	global_load_ushort v5, v[0:1], off
	s_mov_b64 s[4:5], 0
	s_mov_b64 s[18:19], -1
	s_branch .LBB30_1356
.LBB30_1352:
	s_mov_b64 s[20:21], -1
                                        ; implicit-def: $vgpr5
	s_branch .LBB30_1357
.LBB30_1353:
	s_or_saveexec_b64 s[18:19], s[18:19]
	v_mov_b32_e32 v7, s22
	s_xor_b64 exec, exec, s[18:19]
	s_cbranch_execz .LBB30_1334
.LBB30_1354:
	v_cmp_ne_u16_e32 vcc, 0, v5
	s_andn2_b64 s[16:17], s[16:17], exec
	s_and_b64 s[20:21], vcc, exec
	v_mov_b32_e32 v7, 0
	s_or_b64 s[16:17], s[16:17], s[20:21]
	s_or_b64 exec, exec, s[18:19]
	s_and_saveexec_b64 s[18:19], s[16:17]
	s_cbranch_execnz .LBB30_1335
	s_branch .LBB30_1336
.LBB30_1355:
	s_mov_b64 s[4:5], -1
                                        ; implicit-def: $vgpr5
.LBB30_1356:
	s_mov_b64 s[20:21], 0
.LBB30_1357:
	s_mov_b64 s[16:17], 0
	s_and_b64 vcc, exec, s[20:21]
	s_cbranch_vccz .LBB30_1359
; %bb.1358:
	v_cmp_ne_u16_e64 s[4:5], s43, 11
	s_mov_b64 s[16:17], -1
                                        ; implicit-def: $vgpr5
.LBB30_1359:
	s_and_b64 vcc, exec, s[4:5]
	s_cbranch_vccnz .LBB30_1422
; %bb.1360:
	s_andn2_b64 vcc, exec, s[16:17]
	s_cbranch_vccnz .LBB30_1362
.LBB30_1361:
	global_load_ubyte v5, v[0:1], off
	s_mov_b64 s[18:19], -1
	s_waitcnt vmcnt(0)
	v_cmp_ne_u16_e32 vcc, 0, v5
	v_cndmask_b32_e64 v5, 0, 1.0, vcc
	v_lshrrev_b32_e32 v5, 16, v5
.LBB30_1362:
	s_branch .LBB30_1290
.LBB30_1363:
	v_cmp_lt_i16_e64 s[4:5], s43, 5
	s_and_b64 vcc, exec, s[4:5]
	s_cbranch_vccnz .LBB30_1368
; %bb.1364:
	v_cmp_lt_i16_e64 s[4:5], s43, 8
	s_and_b64 vcc, exec, s[4:5]
	s_cbranch_vccnz .LBB30_1369
; %bb.1365:
	;; [unrolled: 4-line block ×3, first 2 shown]
	v_cmp_gt_i16_e64 s[4:5], s43, 9
	s_and_b64 vcc, exec, s[4:5]
	s_cbranch_vccz .LBB30_1371
; %bb.1367:
	global_load_dwordx2 v[8:9], v[0:1], off
	s_movk_i32 s4, 0x7fff
	s_waitcnt vmcnt(1)
	v_mov_b32_e32 v5, 0x7fc0
	s_waitcnt vmcnt(0)
	v_cvt_f32_f64_e32 v7, v[8:9]
	v_bfe_u32 v8, v7, 16, 1
	v_add3_u32 v8, v7, v8, s4
	v_lshrrev_b32_e32 v8, 16, v8
	v_cmp_o_f32_e32 vcc, v7, v7
	v_cndmask_b32_e32 v5, v5, v8, vcc
	s_mov_b64 s[4:5], 0
	s_branch .LBB30_1372
.LBB30_1368:
	s_mov_b64 s[4:5], -1
                                        ; implicit-def: $vgpr5
	s_branch .LBB30_1390
.LBB30_1369:
	s_mov_b64 s[4:5], -1
                                        ; implicit-def: $vgpr5
	s_branch .LBB30_1378
.LBB30_1370:
	s_mov_b64 s[4:5], -1
                                        ; implicit-def: $vgpr5
	s_branch .LBB30_1375
.LBB30_1371:
	s_mov_b64 s[4:5], -1
                                        ; implicit-def: $vgpr5
.LBB30_1372:
	s_andn2_b64 vcc, exec, s[4:5]
	s_cbranch_vccnz .LBB30_1374
; %bb.1373:
	global_load_dword v5, v[0:1], off
	s_movk_i32 s4, 0x7fff
	v_mov_b32_e32 v7, 0x7fc0
	s_waitcnt vmcnt(0)
	v_bfe_u32 v8, v5, 16, 1
	v_add3_u32 v8, v5, v8, s4
	v_lshrrev_b32_e32 v8, 16, v8
	v_cmp_o_f32_e32 vcc, v5, v5
	v_cndmask_b32_e32 v5, v7, v8, vcc
.LBB30_1374:
	s_mov_b64 s[4:5], 0
.LBB30_1375:
	s_andn2_b64 vcc, exec, s[4:5]
	s_cbranch_vccnz .LBB30_1377
; %bb.1376:
	global_load_dword v5, v[0:1], off
	s_movk_i32 s4, 0x7fff
	v_mov_b32_e32 v8, 0x7fc0
	s_waitcnt vmcnt(0)
	v_cvt_f32_f16_e32 v7, v5
	v_cmp_o_f16_e32 vcc, v5, v5
	v_bfe_u32 v9, v7, 16, 1
	v_add3_u32 v7, v7, v9, s4
	v_lshrrev_b32_e32 v7, 16, v7
	v_cndmask_b32_e32 v5, v8, v7, vcc
.LBB30_1377:
	s_mov_b64 s[4:5], 0
.LBB30_1378:
	s_andn2_b64 vcc, exec, s[4:5]
	s_cbranch_vccnz .LBB30_1389
; %bb.1379:
	v_cmp_lt_i16_e64 s[4:5], s43, 6
	s_and_b64 vcc, exec, s[4:5]
	s_cbranch_vccnz .LBB30_1382
; %bb.1380:
	v_cmp_gt_i16_e64 s[4:5], s43, 6
	s_and_b64 vcc, exec, s[4:5]
	s_cbranch_vccz .LBB30_1383
; %bb.1381:
	global_load_dwordx2 v[8:9], v[0:1], off
	s_movk_i32 s4, 0x7fff
	s_waitcnt vmcnt(1)
	v_mov_b32_e32 v5, 0x7fc0
	s_waitcnt vmcnt(0)
	v_cvt_f32_f64_e32 v7, v[8:9]
	v_bfe_u32 v8, v7, 16, 1
	v_add3_u32 v8, v7, v8, s4
	v_lshrrev_b32_e32 v8, 16, v8
	v_cmp_o_f32_e32 vcc, v7, v7
	v_cndmask_b32_e32 v5, v5, v8, vcc
	s_mov_b64 s[4:5], 0
	s_branch .LBB30_1384
.LBB30_1382:
	s_mov_b64 s[4:5], -1
                                        ; implicit-def: $vgpr5
	s_branch .LBB30_1387
.LBB30_1383:
	s_mov_b64 s[4:5], -1
                                        ; implicit-def: $vgpr5
.LBB30_1384:
	s_andn2_b64 vcc, exec, s[4:5]
	s_cbranch_vccnz .LBB30_1386
; %bb.1385:
	global_load_dword v5, v[0:1], off
	s_movk_i32 s4, 0x7fff
	v_mov_b32_e32 v7, 0x7fc0
	s_waitcnt vmcnt(0)
	v_bfe_u32 v8, v5, 16, 1
	v_add3_u32 v8, v5, v8, s4
	v_lshrrev_b32_e32 v8, 16, v8
	v_cmp_o_f32_e32 vcc, v5, v5
	v_cndmask_b32_e32 v5, v7, v8, vcc
.LBB30_1386:
	s_mov_b64 s[4:5], 0
.LBB30_1387:
	s_andn2_b64 vcc, exec, s[4:5]
	s_cbranch_vccnz .LBB30_1389
; %bb.1388:
	global_load_ushort v5, v[0:1], off
	s_movk_i32 s4, 0x7fff
	v_mov_b32_e32 v8, 0x7fc0
	s_waitcnt vmcnt(0)
	v_cvt_f32_f16_e32 v7, v5
	v_cmp_o_f16_e32 vcc, v5, v5
	v_bfe_u32 v9, v7, 16, 1
	v_add3_u32 v7, v7, v9, s4
	v_lshrrev_b32_e32 v7, 16, v7
	v_cndmask_b32_e32 v5, v8, v7, vcc
.LBB30_1389:
	s_mov_b64 s[4:5], 0
.LBB30_1390:
	s_andn2_b64 vcc, exec, s[4:5]
	s_cbranch_vccnz .LBB30_1410
; %bb.1391:
	v_cmp_lt_i16_e64 s[4:5], s43, 2
	s_and_b64 vcc, exec, s[4:5]
	s_cbranch_vccnz .LBB30_1395
; %bb.1392:
	v_cmp_lt_i16_e64 s[4:5], s43, 3
	s_and_b64 vcc, exec, s[4:5]
	s_cbranch_vccnz .LBB30_1396
; %bb.1393:
	v_cmp_gt_i16_e64 s[4:5], s43, 3
	s_and_b64 vcc, exec, s[4:5]
	s_cbranch_vccz .LBB30_1397
; %bb.1394:
	global_load_dwordx2 v[8:9], v[0:1], off
	s_movk_i32 s4, 0x7fff
	s_waitcnt vmcnt(0)
	v_xor_b32_e32 v7, v8, v9
	v_ffbh_i32_e32 v5, v9
	v_ashrrev_i32_e32 v7, 31, v7
	v_add_u32_e32 v5, -1, v5
	v_add_u32_e32 v7, 32, v7
	v_min_u32_e32 v5, v5, v7
	v_lshlrev_b64 v[8:9], v5, v[8:9]
	v_min_u32_e32 v7, 1, v8
	v_or_b32_e32 v7, v9, v7
	v_cvt_f32_i32_e32 v7, v7
	v_sub_u32_e32 v5, 32, v5
	v_ldexp_f32 v5, v7, v5
	v_bfe_u32 v7, v5, 16, 1
	v_add3_u32 v5, v5, v7, s4
	v_lshrrev_b32_e32 v5, 16, v5
	s_mov_b64 s[4:5], 0
	s_branch .LBB30_1398
.LBB30_1395:
	s_mov_b64 s[4:5], -1
                                        ; implicit-def: $vgpr5
	s_branch .LBB30_1404
.LBB30_1396:
	s_mov_b64 s[4:5], -1
                                        ; implicit-def: $vgpr5
	s_branch .LBB30_1401
.LBB30_1397:
	s_mov_b64 s[4:5], -1
                                        ; implicit-def: $vgpr5
.LBB30_1398:
	s_andn2_b64 vcc, exec, s[4:5]
	s_cbranch_vccnz .LBB30_1400
; %bb.1399:
	global_load_dword v5, v[0:1], off
	s_movk_i32 s4, 0x7fff
	s_waitcnt vmcnt(0)
	v_cvt_f32_i32_e32 v5, v5
	v_bfe_u32 v7, v5, 16, 1
	v_add3_u32 v5, v5, v7, s4
	v_lshrrev_b32_e32 v5, 16, v5
.LBB30_1400:
	s_mov_b64 s[4:5], 0
.LBB30_1401:
	s_andn2_b64 vcc, exec, s[4:5]
	s_cbranch_vccnz .LBB30_1403
; %bb.1402:
	global_load_sshort v5, v[0:1], off
	s_movk_i32 s4, 0x7fff
	s_waitcnt vmcnt(0)
	v_cvt_f32_i32_e32 v5, v5
	v_bfe_u32 v7, v5, 16, 1
	v_add3_u32 v5, v5, v7, s4
	v_lshrrev_b32_e32 v5, 16, v5
.LBB30_1403:
	s_mov_b64 s[4:5], 0
.LBB30_1404:
	s_andn2_b64 vcc, exec, s[4:5]
	s_cbranch_vccnz .LBB30_1410
; %bb.1405:
	v_cmp_gt_i16_e64 s[4:5], s43, 0
	s_and_b64 vcc, exec, s[4:5]
	s_cbranch_vccz .LBB30_1407
; %bb.1406:
	global_load_sbyte v5, v[0:1], off
	s_movk_i32 s4, 0x7fff
	s_waitcnt vmcnt(0)
	v_cvt_f32_i32_e32 v5, v5
	v_bfe_u32 v7, v5, 16, 1
	v_add3_u32 v5, v5, v7, s4
	v_lshrrev_b32_e32 v5, 16, v5
	s_mov_b64 s[4:5], 0
	s_branch .LBB30_1408
.LBB30_1407:
	s_mov_b64 s[4:5], -1
                                        ; implicit-def: $vgpr5
.LBB30_1408:
	s_andn2_b64 vcc, exec, s[4:5]
	s_cbranch_vccnz .LBB30_1410
; %bb.1409:
	global_load_ubyte v0, v[0:1], off
	s_movk_i32 s4, 0x7fff
	s_waitcnt vmcnt(0)
	v_cvt_f32_ubyte0_e32 v0, v0
	v_bfe_u32 v1, v0, 16, 1
	v_add3_u32 v0, v0, v1, s4
	v_lshrrev_b32_e32 v5, 16, v0
.LBB30_1410:
.LBB30_1411:
	v_add_u32_e32 v0, s3, v6
	v_ashrrev_i32_e32 v1, 31, v0
	v_mov_b32_e32 v6, s11
	v_add_co_u32_e32 v0, vcc, s10, v0
	v_addc_co_u32_e32 v1, vcc, v6, v1, vcc
	s_and_b64 vcc, exec, s[0:1]
	s_cbranch_vccnz .LBB30_1418
; %bb.1412:
	v_cmp_gt_i16_e64 s[0:1], s43, 25
	s_mov_b64 s[4:5], 0
	s_and_b64 vcc, exec, s[0:1]
	s_cbranch_vccz .LBB30_1419
; %bb.1413:
	v_cmp_gt_i16_e64 s[0:1], s43, 28
	s_and_b64 vcc, exec, s[0:1]
	s_cbranch_vccz .LBB30_1420
; %bb.1414:
	v_cmp_gt_i16_e64 s[0:1], s43, 43
	s_and_b64 vcc, exec, s[0:1]
	s_cbranch_vccz .LBB30_1421
; %bb.1415:
	v_cmp_gt_i16_e64 s[0:1], s43, 45
	s_and_b64 vcc, exec, s[0:1]
	s_cbranch_vccz .LBB30_1423
; %bb.1416:
	v_cmp_eq_u16_e64 s[0:1], s43, 46
	s_mov_b64 s[16:17], 0
	s_and_b64 vcc, exec, s[0:1]
	s_cbranch_vccz .LBB30_1424
; %bb.1417:
	global_load_dword v6, v[0:1], off
	s_mov_b64 s[0:1], 0
	s_mov_b64 s[10:11], -1
	s_branch .LBB30_1425
.LBB30_1418:
	s_mov_b64 s[0:1], -1
	s_mov_b64 s[10:11], 0
                                        ; implicit-def: $vgpr6
	s_branch .LBB30_1491
.LBB30_1419:
	s_mov_b64 s[16:17], -1
	s_mov_b64 s[10:11], 0
	s_mov_b64 s[0:1], 0
                                        ; implicit-def: $vgpr6
	s_branch .LBB30_1454
.LBB30_1420:
	s_mov_b64 s[16:17], -1
	s_mov_b64 s[10:11], 0
	s_mov_b64 s[0:1], 0
                                        ; implicit-def: $vgpr6
	s_branch .LBB30_1435
.LBB30_1421:
	s_mov_b64 s[16:17], -1
	s_mov_b64 s[10:11], 0
	s_mov_b64 s[0:1], 0
                                        ; implicit-def: $vgpr6
	s_branch .LBB30_1430
.LBB30_1422:
	s_trap 2
	s_or_b64 s[14:15], s[14:15], exec
                                        ; implicit-def: $vgpr5
	s_cbranch_execz .LBB30_1361
	s_branch .LBB30_1362
.LBB30_1423:
	s_mov_b64 s[16:17], -1
	s_mov_b64 s[10:11], 0
	s_mov_b64 s[0:1], 0
                                        ; implicit-def: $vgpr6
	s_branch .LBB30_1425
.LBB30_1424:
	s_mov_b64 s[0:1], -1
                                        ; implicit-def: $vgpr6
	s_mov_b64 s[10:11], 0
.LBB30_1425:
	s_and_b64 vcc, exec, s[16:17]
	s_cbranch_vccz .LBB30_1429
; %bb.1426:
	v_cmp_eq_u16_e64 s[0:1], s43, 44
	s_and_b64 vcc, exec, s[0:1]
	s_cbranch_vccz .LBB30_1428
; %bb.1427:
	global_load_ubyte v6, v[0:1], off
	s_movk_i32 s3, 0xff
	v_mov_b32_e32 v7, 0x7f800001
	v_mov_b32_e32 v8, 0x400000
	;; [unrolled: 1-line block ×3, first 2 shown]
	s_mov_b64 s[0:1], 0
	s_mov_b64 s[10:11], -1
	s_waitcnt vmcnt(0)
	v_lshlrev_b32_e32 v10, 23, v6
	v_cmp_ne_u32_e32 vcc, s3, v6
	v_cndmask_b32_e32 v7, v7, v10, vcc
	v_cmp_ne_u32_e32 vcc, 0, v6
	v_cndmask_b32_e32 v6, v8, v7, vcc
	v_add_u32_e32 v7, 0x7fff, v6
	v_lshrrev_b32_e32 v7, 16, v7
	v_cmp_o_f32_e32 vcc, v6, v6
	v_cndmask_b32_e32 v6, v9, v7, vcc
	s_branch .LBB30_1429
.LBB30_1428:
	s_mov_b64 s[0:1], -1
                                        ; implicit-def: $vgpr6
.LBB30_1429:
	s_mov_b64 s[16:17], 0
.LBB30_1430:
	s_and_b64 vcc, exec, s[16:17]
	s_cbranch_vccz .LBB30_1434
; %bb.1431:
	v_cmp_eq_u16_e64 s[0:1], s43, 29
	s_and_b64 vcc, exec, s[0:1]
	s_cbranch_vccz .LBB30_1433
; %bb.1432:
	global_load_dwordx2 v[6:7], v[0:1], off
	s_movk_i32 s3, 0x7fff
	s_mov_b64 s[0:1], 0
	s_mov_b64 s[10:11], -1
	s_mov_b64 s[16:17], 0
	s_waitcnt vmcnt(0)
	v_ffbh_u32_e32 v8, v7
	v_min_u32_e32 v8, 32, v8
	v_lshlrev_b64 v[6:7], v8, v[6:7]
	v_min_u32_e32 v6, 1, v6
	v_or_b32_e32 v6, v7, v6
	v_cvt_f32_u32_e32 v6, v6
	v_sub_u32_e32 v7, 32, v8
	v_ldexp_f32 v6, v6, v7
	v_bfe_u32 v7, v6, 16, 1
	v_add3_u32 v6, v6, v7, s3
	v_lshrrev_b32_e32 v6, 16, v6
	s_branch .LBB30_1435
.LBB30_1433:
	s_mov_b64 s[0:1], -1
                                        ; implicit-def: $vgpr6
.LBB30_1434:
	s_mov_b64 s[16:17], 0
.LBB30_1435:
	s_and_b64 vcc, exec, s[16:17]
	s_cbranch_vccz .LBB30_1453
; %bb.1436:
	v_cmp_lt_i16_e64 s[10:11], s43, 27
	s_and_b64 vcc, exec, s[10:11]
	s_cbranch_vccnz .LBB30_1439
; %bb.1437:
	v_cmp_gt_i16_e64 s[10:11], s43, 27
	s_and_b64 vcc, exec, s[10:11]
	s_cbranch_vccz .LBB30_1440
; %bb.1438:
	global_load_dword v6, v[0:1], off
	s_movk_i32 s3, 0x7fff
	s_mov_b64 s[10:11], 0
	s_waitcnt vmcnt(0)
	v_cvt_f32_u32_e32 v6, v6
	v_bfe_u32 v7, v6, 16, 1
	v_add3_u32 v6, v6, v7, s3
	v_lshrrev_b32_e32 v6, 16, v6
	s_branch .LBB30_1441
.LBB30_1439:
	s_mov_b64 s[10:11], -1
                                        ; implicit-def: $vgpr6
	s_branch .LBB30_1444
.LBB30_1440:
	s_mov_b64 s[10:11], -1
                                        ; implicit-def: $vgpr6
.LBB30_1441:
	s_andn2_b64 vcc, exec, s[10:11]
	s_cbranch_vccnz .LBB30_1443
; %bb.1442:
	global_load_ushort v6, v[0:1], off
	s_movk_i32 s3, 0x7fff
	s_waitcnt vmcnt(0)
	v_cvt_f32_u32_e32 v6, v6
	v_bfe_u32 v7, v6, 16, 1
	v_add3_u32 v6, v6, v7, s3
	v_lshrrev_b32_e32 v6, 16, v6
.LBB30_1443:
	s_mov_b64 s[10:11], 0
.LBB30_1444:
	s_andn2_b64 vcc, exec, s[10:11]
	s_cbranch_vccnz .LBB30_1452
; %bb.1445:
	global_load_ubyte v6, v[0:1], off
	s_movk_i32 s3, 0x7f
	s_mov_b64 s[10:11], 0
	s_waitcnt vmcnt(0)
	v_cmp_lt_i16_e32 vcc, s3, v6
                                        ; implicit-def: $sgpr3
	s_and_saveexec_b64 s[16:17], vcc
	s_xor_b64 s[16:17], exec, s[16:17]
	s_cbranch_execz .LBB30_1466
; %bb.1446:
	s_movk_i32 s3, 0x80
	v_cmp_eq_u16_e32 vcc, s3, v6
	s_mov_b64 s[10:11], -1
                                        ; implicit-def: $sgpr3
	s_and_saveexec_b64 s[18:19], vcc
; %bb.1447:
	s_mov_b32 s3, 0x7f800001
	s_xor_b64 s[10:11], exec, -1
; %bb.1448:
	s_or_b64 exec, exec, s[18:19]
	s_and_b64 s[10:11], s[10:11], exec
	s_or_saveexec_b64 s[16:17], s[16:17]
	v_mov_b32_e32 v7, s3
	s_xor_b64 exec, exec, s[16:17]
	s_cbranch_execnz .LBB30_1467
.LBB30_1449:
	s_or_b64 exec, exec, s[16:17]
	s_and_saveexec_b64 s[16:17], s[10:11]
	s_cbranch_execz .LBB30_1451
.LBB30_1450:
	v_lshlrev_b32_e32 v7, 24, v6
	v_and_b32_e32 v6, 0xffff, v6
	v_and_b32_e32 v8, 7, v6
	v_ffbh_u32_e32 v10, v8
	v_min_u32_e32 v10, 32, v10
	v_subrev_u32_e32 v11, 28, v10
	v_bfe_u32 v9, v6, 3, 4
	v_lshlrev_b32_e32 v6, v11, v6
	v_sub_u32_e32 v10, 29, v10
	v_and_b32_e32 v6, 7, v6
	v_cmp_eq_u32_e32 vcc, 0, v9
	v_cndmask_b32_e32 v9, v9, v10, vcc
	v_cndmask_b32_e32 v6, v8, v6, vcc
	v_mov_b32_e32 v8, 0x3b800000
	v_lshlrev_b32_e32 v6, 20, v6
	v_and_b32_e32 v7, 0x80000000, v7
	v_lshl_add_u32 v8, v9, 23, v8
	v_or3_b32 v7, v7, v8, v6
.LBB30_1451:
	s_or_b64 exec, exec, s[16:17]
	v_bfe_u32 v6, v7, 16, 1
	s_movk_i32 s3, 0x7fff
	v_add3_u32 v6, v7, v6, s3
	v_lshrrev_b32_e32 v6, 16, v6
	v_mov_b32_e32 v8, 0x7fc0
	v_cmp_o_f32_e32 vcc, v7, v7
	v_cndmask_b32_e32 v6, v8, v6, vcc
.LBB30_1452:
	s_mov_b64 s[10:11], -1
.LBB30_1453:
	s_mov_b64 s[16:17], 0
.LBB30_1454:
	s_and_b64 vcc, exec, s[16:17]
	s_cbranch_vccz .LBB30_1487
; %bb.1455:
	v_cmp_gt_i16_e64 s[4:5], s43, 22
	s_and_b64 vcc, exec, s[4:5]
	s_cbranch_vccz .LBB30_1465
; %bb.1456:
	v_cmp_lt_i16_e64 s[4:5], s43, 24
	s_and_b64 vcc, exec, s[4:5]
	s_cbranch_vccnz .LBB30_1468
; %bb.1457:
	v_cmp_gt_i16_e64 s[4:5], s43, 24
	s_and_b64 vcc, exec, s[4:5]
	s_cbranch_vccz .LBB30_1469
; %bb.1458:
	global_load_ubyte v6, v[0:1], off
	s_movk_i32 s3, 0x7f
	s_mov_b64 s[4:5], 0
	s_waitcnt vmcnt(0)
	v_cmp_lt_i16_e32 vcc, s3, v6
                                        ; implicit-def: $sgpr3
	s_and_saveexec_b64 s[10:11], vcc
	s_xor_b64 s[10:11], exec, s[10:11]
	s_cbranch_execz .LBB30_1481
; %bb.1459:
	s_movk_i32 s3, 0x80
	v_cmp_eq_u16_e32 vcc, s3, v6
	s_mov_b64 s[4:5], -1
                                        ; implicit-def: $sgpr3
	s_and_saveexec_b64 s[16:17], vcc
; %bb.1460:
	s_mov_b32 s3, 0x7f800001
	s_xor_b64 s[4:5], exec, -1
; %bb.1461:
	s_or_b64 exec, exec, s[16:17]
	s_and_b64 s[4:5], s[4:5], exec
	s_or_saveexec_b64 s[10:11], s[10:11]
	v_mov_b32_e32 v7, s3
	s_xor_b64 exec, exec, s[10:11]
	s_cbranch_execnz .LBB30_1482
.LBB30_1462:
	s_or_b64 exec, exec, s[10:11]
	s_and_saveexec_b64 s[10:11], s[4:5]
	s_cbranch_execz .LBB30_1464
.LBB30_1463:
	v_lshlrev_b32_e32 v7, 24, v6
	v_and_b32_e32 v6, 0xffff, v6
	v_and_b32_e32 v8, 3, v6
	v_ffbh_u32_e32 v10, v8
	v_min_u32_e32 v10, 32, v10
	v_subrev_u32_e32 v11, 29, v10
	v_bfe_u32 v9, v6, 2, 5
	v_lshlrev_b32_e32 v6, v11, v6
	v_sub_u32_e32 v10, 30, v10
	v_and_b32_e32 v6, 3, v6
	v_cmp_eq_u32_e32 vcc, 0, v9
	v_cndmask_b32_e32 v9, v9, v10, vcc
	v_cndmask_b32_e32 v6, v8, v6, vcc
	v_mov_b32_e32 v8, 0x37800000
	v_lshlrev_b32_e32 v6, 21, v6
	v_and_b32_e32 v7, 0x80000000, v7
	v_lshl_add_u32 v8, v9, 23, v8
	v_or3_b32 v7, v7, v8, v6
.LBB30_1464:
	s_or_b64 exec, exec, s[10:11]
	v_bfe_u32 v6, v7, 16, 1
	s_movk_i32 s3, 0x7fff
	v_add3_u32 v6, v7, v6, s3
	v_lshrrev_b32_e32 v6, 16, v6
	v_mov_b32_e32 v8, 0x7fc0
	v_cmp_o_f32_e32 vcc, v7, v7
	v_cndmask_b32_e32 v6, v8, v6, vcc
	s_mov_b64 s[4:5], 0
	s_branch .LBB30_1470
.LBB30_1465:
	s_mov_b64 s[4:5], -1
                                        ; implicit-def: $vgpr6
	s_branch .LBB30_1476
.LBB30_1466:
	s_or_saveexec_b64 s[16:17], s[16:17]
	v_mov_b32_e32 v7, s3
	s_xor_b64 exec, exec, s[16:17]
	s_cbranch_execz .LBB30_1449
.LBB30_1467:
	v_cmp_ne_u16_e32 vcc, 0, v6
	s_andn2_b64 s[10:11], s[10:11], exec
	s_and_b64 s[18:19], vcc, exec
	v_mov_b32_e32 v7, 0
	s_or_b64 s[10:11], s[10:11], s[18:19]
	s_or_b64 exec, exec, s[16:17]
	s_and_saveexec_b64 s[16:17], s[10:11]
	s_cbranch_execnz .LBB30_1450
	s_branch .LBB30_1451
.LBB30_1468:
	s_mov_b64 s[4:5], -1
                                        ; implicit-def: $vgpr6
	s_branch .LBB30_1473
.LBB30_1469:
	s_mov_b64 s[4:5], -1
                                        ; implicit-def: $vgpr6
.LBB30_1470:
	s_and_b64 vcc, exec, s[4:5]
	s_cbranch_vccz .LBB30_1472
; %bb.1471:
	global_load_ubyte v6, v[0:1], off
	s_mov_b32 s3, 0x7f800000
	s_brev_b32 s4, 1
	s_movk_i32 s5, 0x7fff
	v_mov_b32_e32 v7, 0x7fc0
	s_waitcnt vmcnt(0)
	v_lshlrev_b32_e32 v6, 24, v6
	v_and_b32_e32 v8, 0x7f000000, v6
	v_ffbh_u32_e32 v9, v8
	v_min_u32_e32 v9, 32, v9
	v_sub_u32_e64 v9, v9, 4 clamp
	v_lshlrev_b32_e32 v11, v9, v8
	v_lshlrev_b32_e32 v9, 23, v9
	v_lshrrev_b32_e32 v11, 4, v11
	v_add_u32_e32 v10, 0x1000000, v8
	v_sub_u32_e32 v9, v11, v9
	v_ashrrev_i32_e32 v10, 8, v10
	v_add_u32_e32 v9, 0x3c000000, v9
	v_and_or_b32 v9, v10, s3, v9
	v_cmp_ne_u32_e32 vcc, 0, v8
	v_cndmask_b32_e32 v8, 0, v9, vcc
	v_and_or_b32 v6, v6, s4, v8
	v_bfe_u32 v8, v8, 16, 1
	v_add3_u32 v8, v6, v8, s5
	v_lshrrev_b32_e32 v8, 16, v8
	v_cmp_o_f32_e32 vcc, v6, v6
	v_cndmask_b32_e32 v6, v7, v8, vcc
.LBB30_1472:
	s_mov_b64 s[4:5], 0
.LBB30_1473:
	s_andn2_b64 vcc, exec, s[4:5]
	s_cbranch_vccnz .LBB30_1475
; %bb.1474:
	global_load_ubyte v6, v[0:1], off
	s_movk_i32 s3, 0x7f00
	s_brev_b32 s4, 16
	s_brev_b32 s5, 1
	s_movk_i32 s10, 0x7fff
	v_mov_b32_e32 v7, 0x7fc0
	s_waitcnt vmcnt(0)
	v_lshlrev_b16_e32 v8, 8, v6
	v_lshlrev_b32_e32 v6, 25, v6
	v_lshrrev_b32_e32 v9, 4, v6
	v_and_or_b32 v10, v8, s3, 0.5
	v_or_b32_e32 v9, 0x70000000, v9
	v_add_f32_e32 v10, -0.5, v10
	v_mul_f32_e32 v9, 0x7800000, v9
	v_cmp_gt_u32_e32 vcc, s4, v6
	v_bfe_i32 v8, v8, 0, 16
	v_cndmask_b32_e32 v6, v9, v10, vcc
	v_and_or_b32 v8, v8, s5, v6
	v_bfe_u32 v6, v6, 16, 1
	v_add3_u32 v6, v8, v6, s10
	v_lshrrev_b32_e32 v6, 16, v6
	v_cmp_o_f32_e32 vcc, v8, v8
	v_cndmask_b32_e32 v6, v7, v6, vcc
.LBB30_1475:
	s_mov_b64 s[4:5], 0
	s_mov_b64 s[10:11], -1
.LBB30_1476:
	s_andn2_b64 vcc, exec, s[4:5]
	s_mov_b64 s[4:5], 0
	s_cbranch_vccnz .LBB30_1487
; %bb.1477:
	v_cmp_gt_i16_e64 s[4:5], s43, 14
	s_and_b64 vcc, exec, s[4:5]
	s_cbranch_vccz .LBB30_1480
; %bb.1478:
	v_cmp_eq_u16_e64 s[0:1], s43, 15
	s_and_b64 vcc, exec, s[0:1]
	s_cbranch_vccz .LBB30_1483
; %bb.1479:
	global_load_ushort v6, v[0:1], off
	s_mov_b64 s[0:1], 0
	s_mov_b64 s[10:11], -1
	s_branch .LBB30_1484
.LBB30_1480:
	s_mov_b64 s[16:17], -1
                                        ; implicit-def: $vgpr6
	s_branch .LBB30_1485
.LBB30_1481:
	s_or_saveexec_b64 s[10:11], s[10:11]
	v_mov_b32_e32 v7, s3
	s_xor_b64 exec, exec, s[10:11]
	s_cbranch_execz .LBB30_1462
.LBB30_1482:
	v_cmp_ne_u16_e32 vcc, 0, v6
	s_andn2_b64 s[4:5], s[4:5], exec
	s_and_b64 s[16:17], vcc, exec
	v_mov_b32_e32 v7, 0
	s_or_b64 s[4:5], s[4:5], s[16:17]
	s_or_b64 exec, exec, s[10:11]
	s_and_saveexec_b64 s[10:11], s[4:5]
	s_cbranch_execnz .LBB30_1463
	s_branch .LBB30_1464
.LBB30_1483:
	s_mov_b64 s[0:1], -1
                                        ; implicit-def: $vgpr6
.LBB30_1484:
	s_mov_b64 s[16:17], 0
.LBB30_1485:
	s_mov_b64 s[4:5], 0
	s_and_b64 vcc, exec, s[16:17]
	s_cbranch_vccz .LBB30_1487
; %bb.1486:
	v_cmp_ne_u16_e64 s[0:1], s43, 11
	s_mov_b64 s[4:5], -1
                                        ; implicit-def: $vgpr6
.LBB30_1487:
	s_and_b64 vcc, exec, s[0:1]
	s_cbranch_vccnz .LBB30_1551
; %bb.1488:
	s_andn2_b64 vcc, exec, s[4:5]
	s_cbranch_vccnz .LBB30_1490
.LBB30_1489:
	global_load_ubyte v6, v[0:1], off
	s_mov_b64 s[10:11], -1
	s_waitcnt vmcnt(0)
	v_cmp_ne_u16_e32 vcc, 0, v6
	v_cndmask_b32_e64 v6, 0, 1.0, vcc
	v_lshrrev_b32_e32 v6, 16, v6
.LBB30_1490:
	s_mov_b64 s[0:1], 0
.LBB30_1491:
	s_and_b64 vcc, exec, s[0:1]
	s_cbranch_vccz .LBB30_1540
; %bb.1492:
	v_cmp_lt_i16_e64 s[0:1], s43, 5
	s_and_b64 vcc, exec, s[0:1]
	s_cbranch_vccnz .LBB30_1497
; %bb.1493:
	v_cmp_lt_i16_e64 s[0:1], s43, 8
	s_and_b64 vcc, exec, s[0:1]
	s_cbranch_vccnz .LBB30_1498
	;; [unrolled: 4-line block ×3, first 2 shown]
; %bb.1495:
	v_cmp_gt_i16_e64 s[0:1], s43, 9
	s_and_b64 vcc, exec, s[0:1]
	s_cbranch_vccz .LBB30_1500
; %bb.1496:
	global_load_dwordx2 v[6:7], v[0:1], off
	s_movk_i32 s0, 0x7fff
	v_mov_b32_e32 v8, 0x7fc0
	s_waitcnt vmcnt(0)
	v_cvt_f32_f64_e32 v6, v[6:7]
	v_bfe_u32 v7, v6, 16, 1
	v_add3_u32 v7, v6, v7, s0
	v_lshrrev_b32_e32 v7, 16, v7
	v_cmp_o_f32_e32 vcc, v6, v6
	v_cndmask_b32_e32 v6, v8, v7, vcc
	s_mov_b64 s[0:1], 0
	s_branch .LBB30_1501
.LBB30_1497:
	s_mov_b64 s[0:1], -1
                                        ; implicit-def: $vgpr6
	s_branch .LBB30_1519
.LBB30_1498:
	s_mov_b64 s[0:1], -1
                                        ; implicit-def: $vgpr6
	s_branch .LBB30_1507
.LBB30_1499:
	s_mov_b64 s[0:1], -1
                                        ; implicit-def: $vgpr6
	s_branch .LBB30_1504
.LBB30_1500:
	s_mov_b64 s[0:1], -1
                                        ; implicit-def: $vgpr6
.LBB30_1501:
	s_andn2_b64 vcc, exec, s[0:1]
	s_cbranch_vccnz .LBB30_1503
; %bb.1502:
	global_load_dword v6, v[0:1], off
	s_movk_i32 s0, 0x7fff
	v_mov_b32_e32 v7, 0x7fc0
	s_waitcnt vmcnt(0)
	v_bfe_u32 v8, v6, 16, 1
	v_add3_u32 v8, v6, v8, s0
	v_lshrrev_b32_e32 v8, 16, v8
	v_cmp_o_f32_e32 vcc, v6, v6
	v_cndmask_b32_e32 v6, v7, v8, vcc
.LBB30_1503:
	s_mov_b64 s[0:1], 0
.LBB30_1504:
	s_andn2_b64 vcc, exec, s[0:1]
	s_cbranch_vccnz .LBB30_1506
; %bb.1505:
	global_load_dword v6, v[0:1], off
	s_movk_i32 s0, 0x7fff
	v_mov_b32_e32 v8, 0x7fc0
	s_waitcnt vmcnt(0)
	v_cvt_f32_f16_e32 v7, v6
	v_cmp_o_f16_e32 vcc, v6, v6
	v_bfe_u32 v9, v7, 16, 1
	v_add3_u32 v7, v7, v9, s0
	v_lshrrev_b32_e32 v7, 16, v7
	v_cndmask_b32_e32 v6, v8, v7, vcc
.LBB30_1506:
	s_mov_b64 s[0:1], 0
.LBB30_1507:
	s_andn2_b64 vcc, exec, s[0:1]
	s_cbranch_vccnz .LBB30_1518
; %bb.1508:
	v_cmp_lt_i16_e64 s[0:1], s43, 6
	s_and_b64 vcc, exec, s[0:1]
	s_cbranch_vccnz .LBB30_1511
; %bb.1509:
	v_cmp_gt_i16_e64 s[0:1], s43, 6
	s_and_b64 vcc, exec, s[0:1]
	s_cbranch_vccz .LBB30_1512
; %bb.1510:
	global_load_dwordx2 v[6:7], v[0:1], off
	s_movk_i32 s0, 0x7fff
	v_mov_b32_e32 v8, 0x7fc0
	s_waitcnt vmcnt(0)
	v_cvt_f32_f64_e32 v6, v[6:7]
	v_bfe_u32 v7, v6, 16, 1
	v_add3_u32 v7, v6, v7, s0
	v_lshrrev_b32_e32 v7, 16, v7
	v_cmp_o_f32_e32 vcc, v6, v6
	v_cndmask_b32_e32 v6, v8, v7, vcc
	s_mov_b64 s[0:1], 0
	s_branch .LBB30_1513
.LBB30_1511:
	s_mov_b64 s[0:1], -1
                                        ; implicit-def: $vgpr6
	s_branch .LBB30_1516
.LBB30_1512:
	s_mov_b64 s[0:1], -1
                                        ; implicit-def: $vgpr6
.LBB30_1513:
	s_andn2_b64 vcc, exec, s[0:1]
	s_cbranch_vccnz .LBB30_1515
; %bb.1514:
	global_load_dword v6, v[0:1], off
	s_movk_i32 s0, 0x7fff
	v_mov_b32_e32 v7, 0x7fc0
	s_waitcnt vmcnt(0)
	v_bfe_u32 v8, v6, 16, 1
	v_add3_u32 v8, v6, v8, s0
	v_lshrrev_b32_e32 v8, 16, v8
	v_cmp_o_f32_e32 vcc, v6, v6
	v_cndmask_b32_e32 v6, v7, v8, vcc
.LBB30_1515:
	s_mov_b64 s[0:1], 0
.LBB30_1516:
	s_andn2_b64 vcc, exec, s[0:1]
	s_cbranch_vccnz .LBB30_1518
; %bb.1517:
	global_load_ushort v6, v[0:1], off
	s_movk_i32 s0, 0x7fff
	v_mov_b32_e32 v8, 0x7fc0
	s_waitcnt vmcnt(0)
	v_cvt_f32_f16_e32 v7, v6
	v_cmp_o_f16_e32 vcc, v6, v6
	v_bfe_u32 v9, v7, 16, 1
	v_add3_u32 v7, v7, v9, s0
	v_lshrrev_b32_e32 v7, 16, v7
	v_cndmask_b32_e32 v6, v8, v7, vcc
.LBB30_1518:
	s_mov_b64 s[0:1], 0
.LBB30_1519:
	s_andn2_b64 vcc, exec, s[0:1]
	s_cbranch_vccnz .LBB30_1539
; %bb.1520:
	v_cmp_lt_i16_e64 s[0:1], s43, 2
	s_and_b64 vcc, exec, s[0:1]
	s_cbranch_vccnz .LBB30_1524
; %bb.1521:
	v_cmp_lt_i16_e64 s[0:1], s43, 3
	s_and_b64 vcc, exec, s[0:1]
	s_cbranch_vccnz .LBB30_1525
; %bb.1522:
	v_cmp_gt_i16_e64 s[0:1], s43, 3
	s_and_b64 vcc, exec, s[0:1]
	s_cbranch_vccz .LBB30_1526
; %bb.1523:
	global_load_dwordx2 v[6:7], v[0:1], off
	s_movk_i32 s0, 0x7fff
	s_waitcnt vmcnt(0)
	v_xor_b32_e32 v9, v6, v7
	v_ffbh_i32_e32 v8, v7
	v_ashrrev_i32_e32 v9, 31, v9
	v_add_u32_e32 v8, -1, v8
	v_add_u32_e32 v9, 32, v9
	v_min_u32_e32 v8, v8, v9
	v_lshlrev_b64 v[6:7], v8, v[6:7]
	v_min_u32_e32 v6, 1, v6
	v_or_b32_e32 v6, v7, v6
	v_cvt_f32_i32_e32 v6, v6
	v_sub_u32_e32 v7, 32, v8
	v_ldexp_f32 v6, v6, v7
	v_bfe_u32 v7, v6, 16, 1
	v_add3_u32 v6, v6, v7, s0
	v_lshrrev_b32_e32 v6, 16, v6
	s_mov_b64 s[0:1], 0
	s_branch .LBB30_1527
.LBB30_1524:
	s_mov_b64 s[0:1], -1
                                        ; implicit-def: $vgpr6
	s_branch .LBB30_1533
.LBB30_1525:
	s_mov_b64 s[0:1], -1
                                        ; implicit-def: $vgpr6
	s_branch .LBB30_1530
.LBB30_1526:
	s_mov_b64 s[0:1], -1
                                        ; implicit-def: $vgpr6
.LBB30_1527:
	s_andn2_b64 vcc, exec, s[0:1]
	s_cbranch_vccnz .LBB30_1529
; %bb.1528:
	global_load_dword v6, v[0:1], off
	s_movk_i32 s0, 0x7fff
	s_waitcnt vmcnt(0)
	v_cvt_f32_i32_e32 v6, v6
	v_bfe_u32 v7, v6, 16, 1
	v_add3_u32 v6, v6, v7, s0
	v_lshrrev_b32_e32 v6, 16, v6
.LBB30_1529:
	s_mov_b64 s[0:1], 0
.LBB30_1530:
	s_andn2_b64 vcc, exec, s[0:1]
	s_cbranch_vccnz .LBB30_1532
; %bb.1531:
	global_load_sshort v6, v[0:1], off
	s_movk_i32 s0, 0x7fff
	s_waitcnt vmcnt(0)
	v_cvt_f32_i32_e32 v6, v6
	v_bfe_u32 v7, v6, 16, 1
	v_add3_u32 v6, v6, v7, s0
	v_lshrrev_b32_e32 v6, 16, v6
.LBB30_1532:
	s_mov_b64 s[0:1], 0
.LBB30_1533:
	s_andn2_b64 vcc, exec, s[0:1]
	s_cbranch_vccnz .LBB30_1539
; %bb.1534:
	v_cmp_gt_i16_e64 s[0:1], s43, 0
	s_and_b64 vcc, exec, s[0:1]
	s_cbranch_vccz .LBB30_1536
; %bb.1535:
	global_load_sbyte v6, v[0:1], off
	s_movk_i32 s0, 0x7fff
	s_waitcnt vmcnt(0)
	v_cvt_f32_i32_e32 v6, v6
	v_bfe_u32 v7, v6, 16, 1
	v_add3_u32 v6, v6, v7, s0
	v_lshrrev_b32_e32 v6, 16, v6
	s_mov_b64 s[0:1], 0
	s_branch .LBB30_1537
.LBB30_1536:
	s_mov_b64 s[0:1], -1
                                        ; implicit-def: $vgpr6
.LBB30_1537:
	s_andn2_b64 vcc, exec, s[0:1]
	s_cbranch_vccnz .LBB30_1539
; %bb.1538:
	global_load_ubyte v0, v[0:1], off
	s_movk_i32 s0, 0x7fff
	s_waitcnt vmcnt(0)
	v_cvt_f32_ubyte0_e32 v0, v0
	v_bfe_u32 v1, v0, 16, 1
	v_add3_u32 v0, v0, v1, s0
	v_lshrrev_b32_e32 v6, 16, v0
.LBB30_1539:
	s_mov_b64 s[10:11], -1
.LBB30_1540:
	s_andn2_b64 vcc, exec, s[10:11]
	s_cbranch_vccnz .LBB30_1994
; %bb.1541:
	s_lshl_b32 s20, s42, 16
	s_xor_b32 s0, s20, 0x80000000
	s_bfe_u32 s1, s0, 0x10010
	s_add_i32 s0, s0, s1
	s_addk_i32 s0, 0x7fff
	s_and_b32 s0, s0, 0xffff0000
	v_mov_b32_e32 v0, 0x7fc00000
	v_mov_b32_e32 v1, s0
	v_cmp_o_f32_e64 vcc, s20, s20
	v_cndmask_b32_e32 v7, v0, v1, vcc
	s_waitcnt vmcnt(0)
	v_lshlrev_b32_e32 v0, 16, v3
	v_cmp_nle_f32_e32 vcc, v7, v0
	v_cmp_nge_f32_e64 s[0:1], s20, v0
	s_or_b64 vcc, s[0:1], vcc
	v_mul_lo_u32 v2, s2, v2
	v_cndmask_b32_e32 v3, 0, v3, vcc
	v_ashrrev_i32_e32 v1, 31, v2
	v_mov_b32_e32 v8, s9
	v_add_co_u32_e32 v0, vcc, s8, v2
	v_addc_co_u32_e32 v1, vcc, v8, v1, vcc
	v_mov_b32_e32 v8, 11
	v_cmp_lt_i16_sdwa s[0:1], s33, v8 src0_sel:BYTE_0 src1_sel:DWORD
	s_and_b64 vcc, exec, s[0:1]
	s_cbranch_vccnz .LBB30_1548
; %bb.1542:
	v_mov_b32_e32 v8, 25
	v_cmp_gt_i16_sdwa s[0:1], s33, v8 src0_sel:BYTE_0 src1_sel:DWORD
	s_mov_b64 s[16:17], -1
	s_mov_b64 s[4:5], 0
	s_and_b64 vcc, exec, s[0:1]
	s_mov_b64 s[10:11], 0
	s_mov_b64 s[0:1], 0
	s_cbranch_vccz .LBB30_1580
; %bb.1543:
	v_mov_b32_e32 v8, 28
	v_cmp_gt_i16_sdwa s[0:1], s33, v8 src0_sel:BYTE_0 src1_sel:DWORD
	s_and_b64 vcc, exec, s[0:1]
	s_cbranch_vccz .LBB30_1549
; %bb.1544:
	v_mov_b32_e32 v8, 43
	v_cmp_gt_i16_sdwa s[0:1], s33, v8 src0_sel:BYTE_0 src1_sel:DWORD
	s_and_b64 vcc, exec, s[0:1]
	;; [unrolled: 5-line block ×3, first 2 shown]
	s_cbranch_vccz .LBB30_1552
; %bb.1546:
	v_mov_b32_e32 v8, 46
	v_cmp_eq_u16_sdwa s[10:11], s33, v8 src0_sel:BYTE_0 src1_sel:DWORD
	s_mov_b64 s[0:1], -1
	s_mov_b64 s[16:17], 0
	s_and_b64 vcc, exec, s[10:11]
	s_mov_b64 s[10:11], 0
	s_cbranch_vccz .LBB30_1553
; %bb.1547:
	v_and_b32_e32 v8, 0xffff, v3
	global_store_dword v[0:1], v8, off
	s_mov_b64 s[0:1], 0
	s_mov_b64 s[10:11], -1
	s_branch .LBB30_1553
.LBB30_1548:
	s_mov_b64 s[0:1], -1
	s_mov_b64 s[10:11], 0
	s_branch .LBB30_1624
.LBB30_1549:
	s_mov_b64 s[0:1], 0
	s_branch .LBB30_1563
.LBB30_1550:
	s_mov_b64 s[0:1], 0
	s_branch .LBB30_1559
.LBB30_1551:
	s_trap 2
	s_or_b64 s[14:15], s[14:15], exec
                                        ; implicit-def: $vgpr6
	s_cbranch_execz .LBB30_1489
	s_branch .LBB30_1490
.LBB30_1552:
	s_mov_b64 s[0:1], 0
.LBB30_1553:
	s_and_b64 vcc, exec, s[16:17]
	s_cbranch_vccz .LBB30_1558
; %bb.1554:
	v_mov_b32_e32 v8, 44
	v_cmp_eq_u16_sdwa s[16:17], s33, v8 src0_sel:BYTE_0 src1_sel:DWORD
	s_mov_b64 s[0:1], -1
	s_and_b64 vcc, exec, s[16:17]
	s_cbranch_vccz .LBB30_1558
; %bb.1555:
	v_and_b32_e32 v9, 0xffff, v3
	v_bfe_u32 v8, v9, 7, 8
	s_movk_i32 s0, 0xff
	v_cmp_ne_u32_e32 vcc, s0, v8
	v_mov_b32_e32 v10, 0xff
	s_and_saveexec_b64 s[10:11], vcc
; %bb.1556:
	v_lshlrev_b32_e32 v11, 16, v9
	s_mov_b32 s0, 0x3f0000
	v_lshrrev_b32_e32 v10, 7, v9
	v_and_b32_e32 v9, 64, v9
	v_and_or_b32 v8, v11, s0, v8
	v_cmp_ne_u32_e32 vcc, 0, v9
	v_cmp_ne_u32_e64 s[0:1], 0, v8
	s_and_b64 s[0:1], vcc, s[0:1]
	v_cndmask_b32_e64 v8, 0, 1, s[0:1]
	v_add_u32_e32 v10, v10, v8
; %bb.1557:
	s_or_b64 exec, exec, s[10:11]
	s_mov_b64 s[0:1], 0
	s_mov_b64 s[10:11], -1
	global_store_byte v[0:1], v10, off
.LBB30_1558:
	s_mov_b64 s[16:17], 0
.LBB30_1559:
	s_and_b64 vcc, exec, s[16:17]
	s_cbranch_vccz .LBB30_1562
; %bb.1560:
	v_mov_b32_e32 v8, 29
	v_cmp_eq_u16_sdwa s[16:17], s33, v8 src0_sel:BYTE_0 src1_sel:DWORD
	s_mov_b64 s[0:1], -1
	s_and_b64 vcc, exec, s[16:17]
	s_cbranch_vccz .LBB30_1562
; %bb.1561:
	v_lshlrev_b32_e32 v8, 16, v3
	v_trunc_f32_e32 v8, v8
	v_mul_f32_e32 v9, 0x2f800000, v8
	v_floor_f32_e32 v10, v9
	v_fmac_f32_e32 v8, 0xcf800000, v10
	v_cvt_u32_f32_e32 v9, v10
	v_cvt_u32_f32_e32 v8, v8
	s_mov_b64 s[0:1], 0
	s_mov_b64 s[10:11], -1
	s_mov_b64 s[16:17], 0
	global_store_dwordx2 v[0:1], v[8:9], off
	s_branch .LBB30_1563
.LBB30_1562:
	s_mov_b64 s[16:17], 0
.LBB30_1563:
	s_and_b64 vcc, exec, s[16:17]
	s_cbranch_vccz .LBB30_1579
; %bb.1564:
	v_mov_b32_e32 v8, 27
	v_cmp_lt_i16_sdwa s[16:17], s33, v8 src0_sel:BYTE_0 src1_sel:DWORD
	s_mov_b64 s[10:11], -1
	s_and_b64 vcc, exec, s[16:17]
	s_cbranch_vccnz .LBB30_1570
; %bb.1565:
	v_cmp_gt_i16_sdwa s[16:17], s33, v8 src0_sel:BYTE_0 src1_sel:DWORD
	s_and_b64 vcc, exec, s[16:17]
	s_cbranch_vccz .LBB30_1567
; %bb.1566:
	v_lshlrev_b32_e32 v8, 16, v3
	v_cvt_u32_f32_e32 v8, v8
	s_mov_b64 s[10:11], 0
	global_store_dword v[0:1], v8, off
.LBB30_1567:
	s_andn2_b64 vcc, exec, s[10:11]
	s_cbranch_vccnz .LBB30_1569
; %bb.1568:
	v_lshlrev_b32_e32 v8, 16, v3
	v_cvt_u32_f32_e32 v8, v8
	global_store_short v[0:1], v8, off
.LBB30_1569:
	s_mov_b64 s[10:11], 0
.LBB30_1570:
	s_andn2_b64 vcc, exec, s[10:11]
	s_cbranch_vccnz .LBB30_1578
; %bb.1571:
	v_lshlrev_b32_e32 v10, 16, v3
	v_and_b32_e32 v9, 0x7fffffff, v10
	s_mov_b32 s3, 0x43800000
	v_cmp_gt_u32_e32 vcc, s3, v9
	v_mov_b32_e32 v11, 0x80
	s_and_saveexec_b64 s[10:11], vcc
	s_cbranch_execz .LBB30_1577
; %bb.1572:
	s_mov_b32 s3, 0x3bffffff
	v_and_b32_e32 v8, 0xffff, v3
	v_cmp_lt_u32_e32 vcc, s3, v9
	s_mov_b64 s[16:17], 0
                                        ; implicit-def: $vgpr9
	s_and_saveexec_b64 s[18:19], vcc
	s_xor_b64 s[18:19], exec, s[18:19]
	s_cbranch_execz .LBB30_1673
; %bb.1573:
	v_bfe_u32 v9, v8, 4, 1
	s_mov_b32 s3, 0x487ffff
	v_add3_u32 v9, v10, v9, s3
	s_mov_b64 s[16:17], exec
	v_lshrrev_b32_e32 v9, 20, v9
                                        ; implicit-def: $vgpr10
	s_or_saveexec_b64 s[18:19], s[18:19]
                                        ; implicit-def: $sgpr3
	s_xor_b64 exec, exec, s[18:19]
	s_cbranch_execnz .LBB30_1674
.LBB30_1574:
	s_or_b64 exec, exec, s[18:19]
	v_mov_b32_e32 v11, s3
	s_and_saveexec_b64 s[18:19], s[16:17]
.LBB30_1575:
	v_lshrrev_b32_e32 v8, 8, v8
	s_movk_i32 s3, 0x80
	v_and_or_b32 v11, v8, s3, v9
.LBB30_1576:
	s_or_b64 exec, exec, s[18:19]
.LBB30_1577:
	s_or_b64 exec, exec, s[10:11]
	global_store_byte v[0:1], v11, off
.LBB30_1578:
	s_mov_b64 s[10:11], -1
.LBB30_1579:
	s_mov_b64 s[16:17], 0
.LBB30_1580:
	s_and_b64 vcc, exec, s[16:17]
	s_cbranch_vccz .LBB30_1620
; %bb.1581:
	v_mov_b32_e32 v8, 22
	v_cmp_gt_i16_sdwa s[16:17], s33, v8 src0_sel:BYTE_0 src1_sel:DWORD
	s_mov_b64 s[4:5], -1
	s_and_b64 vcc, exec, s[16:17]
	s_cbranch_vccz .LBB30_1613
; %bb.1582:
	v_mov_b32_e32 v8, 24
	v_cmp_lt_i16_sdwa s[10:11], s33, v8 src0_sel:BYTE_0 src1_sel:DWORD
	s_and_b64 vcc, exec, s[10:11]
	s_cbranch_vccnz .LBB30_1602
; %bb.1583:
	v_cmp_gt_i16_sdwa s[10:11], s33, v8 src0_sel:BYTE_0 src1_sel:DWORD
	s_and_b64 vcc, exec, s[10:11]
	s_cbranch_vccz .LBB30_1591
; %bb.1584:
	v_lshlrev_b32_e32 v10, 16, v3
	v_and_b32_e32 v9, 0x7fffffff, v10
	s_mov_b32 s3, 0x47800000
	v_cmp_gt_u32_e32 vcc, s3, v9
	v_mov_b32_e32 v11, 0x80
	s_and_saveexec_b64 s[4:5], vcc
	s_cbranch_execz .LBB30_1590
; %bb.1585:
	s_mov_b32 s3, 0x37ffffff
	v_and_b32_e32 v8, 0xffff, v3
	v_cmp_lt_u32_e32 vcc, s3, v9
	s_mov_b64 s[10:11], 0
                                        ; implicit-def: $vgpr9
	s_and_saveexec_b64 s[16:17], vcc
	s_xor_b64 s[16:17], exec, s[16:17]
	s_cbranch_execz .LBB30_1677
; %bb.1586:
	v_bfe_u32 v9, v8, 5, 1
	s_mov_b32 s3, 0x88fffff
	v_add3_u32 v9, v10, v9, s3
	s_mov_b64 s[10:11], exec
	v_lshrrev_b32_e32 v9, 21, v9
                                        ; implicit-def: $vgpr10
	s_or_saveexec_b64 s[16:17], s[16:17]
                                        ; implicit-def: $sgpr3
	s_xor_b64 exec, exec, s[16:17]
	s_cbranch_execnz .LBB30_1678
.LBB30_1587:
	s_or_b64 exec, exec, s[16:17]
	v_mov_b32_e32 v11, s3
	s_and_saveexec_b64 s[16:17], s[10:11]
.LBB30_1588:
	v_lshrrev_b32_e32 v8, 8, v8
	s_movk_i32 s3, 0x80
	v_and_or_b32 v11, v8, s3, v9
.LBB30_1589:
	s_or_b64 exec, exec, s[16:17]
.LBB30_1590:
	s_or_b64 exec, exec, s[4:5]
	s_mov_b64 s[4:5], 0
	global_store_byte v[0:1], v11, off
.LBB30_1591:
	s_and_b64 vcc, exec, s[4:5]
	s_cbranch_vccz .LBB30_1601
; %bb.1592:
	v_lshlrev_b32_e32 v10, 16, v3
	v_and_b32_e32 v11, 0x7fffffff, v10
	s_mov_b32 s3, 0x43f00000
	v_and_b32_e32 v8, 0xffff, v3
	v_cmp_gt_u32_e32 vcc, s3, v11
                                        ; implicit-def: $vgpr9
	s_and_saveexec_b64 s[4:5], vcc
	s_xor_b64 s[4:5], exec, s[4:5]
	s_cbranch_execz .LBB30_1598
; %bb.1593:
	s_mov_b32 s3, 0x3c7fffff
	v_cmp_lt_u32_e32 vcc, s3, v11
                                        ; implicit-def: $vgpr9
	s_and_saveexec_b64 s[10:11], vcc
	s_xor_b64 s[10:11], exec, s[10:11]
; %bb.1594:
	v_bfe_u32 v9, v8, 4, 1
	s_mov_b32 s3, 0x407ffff
	v_add3_u32 v9, v10, v9, s3
	v_lshrrev_b32_e32 v10, 20, v9
	v_and_b32_e32 v9, 0xff00000, v9
	s_mov_b32 s3, 0x7f00000
	v_mov_b32_e32 v11, 0x7e
	v_cmp_ne_u32_e32 vcc, s3, v9
	v_cndmask_b32_e32 v9, v11, v10, vcc
                                        ; implicit-def: $vgpr10
; %bb.1595:
	s_andn2_saveexec_b64 s[10:11], s[10:11]
; %bb.1596:
	s_mov_b32 s3, 0x46800000
	v_add_f32_e64 v9, |v10|, s3
; %bb.1597:
	s_or_b64 exec, exec, s[10:11]
                                        ; implicit-def: $vgpr11
.LBB30_1598:
	s_andn2_saveexec_b64 s[4:5], s[4:5]
; %bb.1599:
	s_mov_b32 s3, 0x7f800000
	v_mov_b32_e32 v9, 0x7e
	v_mov_b32_e32 v10, 0x7f
	v_cmp_lt_u32_e32 vcc, s3, v11
	v_cndmask_b32_e32 v9, v9, v10, vcc
; %bb.1600:
	s_or_b64 exec, exec, s[4:5]
	v_lshrrev_b32_e32 v8, 8, v8
	s_movk_i32 s3, 0x80
	v_and_or_b32 v8, v8, s3, v9
	global_store_byte v[0:1], v8, off
.LBB30_1601:
	s_mov_b64 s[4:5], 0
.LBB30_1602:
	s_andn2_b64 vcc, exec, s[4:5]
	s_cbranch_vccnz .LBB30_1612
; %bb.1603:
	v_lshlrev_b32_e32 v10, 16, v3
	v_and_b32_e32 v11, 0x7fffffff, v10
	s_mov_b32 s3, 0x47800000
	v_and_b32_e32 v8, 0xffff, v3
	v_cmp_gt_u32_e32 vcc, s3, v11
                                        ; implicit-def: $vgpr9
	s_and_saveexec_b64 s[4:5], vcc
	s_xor_b64 s[4:5], exec, s[4:5]
	s_cbranch_execz .LBB30_1609
; %bb.1604:
	s_mov_b32 s3, 0x387fffff
	v_cmp_lt_u32_e32 vcc, s3, v11
                                        ; implicit-def: $vgpr9
	s_and_saveexec_b64 s[10:11], vcc
	s_xor_b64 s[10:11], exec, s[10:11]
; %bb.1605:
	v_bfe_u32 v9, v8, 5, 1
	s_mov_b32 s3, 0x80fffff
	v_add3_u32 v9, v10, v9, s3
	v_lshrrev_b32_e32 v9, 21, v9
                                        ; implicit-def: $vgpr10
; %bb.1606:
	s_andn2_saveexec_b64 s[10:11], s[10:11]
; %bb.1607:
	s_mov_b32 s3, 0x43000000
	v_add_f32_e64 v9, |v10|, s3
; %bb.1608:
	s_or_b64 exec, exec, s[10:11]
                                        ; implicit-def: $vgpr11
.LBB30_1609:
	s_andn2_saveexec_b64 s[4:5], s[4:5]
; %bb.1610:
	s_mov_b32 s3, 0x7f800000
	v_mov_b32_e32 v9, 0x7c
	v_mov_b32_e32 v10, 0x7f
	v_cmp_lt_u32_e32 vcc, s3, v11
	v_cndmask_b32_e32 v9, v9, v10, vcc
; %bb.1611:
	s_or_b64 exec, exec, s[4:5]
	v_lshrrev_b32_e32 v8, 8, v8
	s_movk_i32 s3, 0x80
	v_and_or_b32 v8, v8, s3, v9
	global_store_byte v[0:1], v8, off
.LBB30_1612:
	s_mov_b64 s[4:5], 0
	s_mov_b64 s[10:11], -1
.LBB30_1613:
	s_andn2_b64 vcc, exec, s[4:5]
	s_mov_b64 s[4:5], 0
	s_cbranch_vccnz .LBB30_1620
; %bb.1614:
	v_mov_b32_e32 v8, 14
	v_cmp_gt_i16_sdwa s[4:5], s33, v8 src0_sel:BYTE_0 src1_sel:DWORD
	s_mov_b64 s[16:17], -1
	s_and_b64 vcc, exec, s[4:5]
	s_cbranch_vccz .LBB30_1618
; %bb.1615:
	v_mov_b32_e32 v8, 15
	v_cmp_eq_u16_sdwa s[4:5], s33, v8 src0_sel:BYTE_0 src1_sel:DWORD
	s_mov_b64 s[0:1], -1
	s_and_b64 vcc, exec, s[4:5]
	s_cbranch_vccz .LBB30_1617
; %bb.1616:
	global_store_short v[0:1], v3, off
	s_mov_b64 s[0:1], 0
	s_mov_b64 s[10:11], -1
.LBB30_1617:
	s_mov_b64 s[16:17], 0
.LBB30_1618:
	s_mov_b64 s[4:5], 0
	s_and_b64 vcc, exec, s[16:17]
	s_cbranch_vccz .LBB30_1620
; %bb.1619:
	v_mov_b32_e32 v8, 11
	v_cmp_ne_u16_sdwa s[0:1], s33, v8 src0_sel:BYTE_0 src1_sel:DWORD
	s_mov_b64 s[4:5], -1
.LBB30_1620:
	s_and_b64 vcc, exec, s[0:1]
	s_cbranch_vccnz .LBB30_1676
; %bb.1621:
	s_andn2_b64 vcc, exec, s[4:5]
	s_cbranch_vccnz .LBB30_1623
.LBB30_1622:
	v_and_b32_e32 v8, 0x7fff, v3
	v_cmp_ne_u16_e32 vcc, 0, v8
	v_cndmask_b32_e64 v8, 0, 1, vcc
	s_mov_b64 s[10:11], -1
	global_store_byte v[0:1], v8, off
.LBB30_1623:
	s_mov_b64 s[0:1], 0
.LBB30_1624:
	s_and_b64 vcc, exec, s[0:1]
	s_cbranch_vccz .LBB30_1663
; %bb.1625:
	v_mov_b32_e32 v8, 5
	v_cmp_lt_i16_sdwa s[4:5], s33, v8 src0_sel:BYTE_0 src1_sel:DWORD
	s_mov_b64 s[0:1], -1
	s_and_b64 vcc, exec, s[4:5]
	s_cbranch_vccnz .LBB30_1646
; %bb.1626:
	v_mov_b32_e32 v8, 8
	v_cmp_lt_i16_sdwa s[4:5], s33, v8 src0_sel:BYTE_0 src1_sel:DWORD
	s_and_b64 vcc, exec, s[4:5]
	s_cbranch_vccnz .LBB30_1636
; %bb.1627:
	v_mov_b32_e32 v8, 9
	v_cmp_lt_i16_sdwa s[4:5], s33, v8 src0_sel:BYTE_0 src1_sel:DWORD
	s_and_b64 vcc, exec, s[4:5]
	s_cbranch_vccnz .LBB30_1633
; %bb.1628:
	v_cmp_gt_i16_sdwa s[4:5], s33, v8 src0_sel:BYTE_0 src1_sel:DWORD
	s_and_b64 vcc, exec, s[4:5]
	s_cbranch_vccz .LBB30_1630
; %bb.1629:
	v_lshlrev_b32_e32 v8, 16, v3
	v_mov_b32_e32 v10, 0
	v_cvt_f64_f32_e32 v[8:9], v8
	v_mov_b32_e32 v11, v10
	global_store_dwordx4 v[0:1], v[8:11], off
	s_mov_b64 s[0:1], 0
.LBB30_1630:
	s_andn2_b64 vcc, exec, s[0:1]
	s_cbranch_vccnz .LBB30_1632
; %bb.1631:
	v_lshlrev_b32_e32 v8, 16, v3
	v_mov_b32_e32 v9, 0
	global_store_dwordx2 v[0:1], v[8:9], off
.LBB30_1632:
	s_mov_b64 s[0:1], 0
.LBB30_1633:
	s_andn2_b64 vcc, exec, s[0:1]
	s_cbranch_vccnz .LBB30_1635
; %bb.1634:
	v_lshlrev_b32_e32 v8, 16, v3
	v_cvt_f16_f32_e32 v8, v8
	global_store_dword v[0:1], v8, off
.LBB30_1635:
	s_mov_b64 s[0:1], 0
.LBB30_1636:
	s_andn2_b64 vcc, exec, s[0:1]
	s_cbranch_vccnz .LBB30_1645
; %bb.1637:
	v_mov_b32_e32 v8, 6
	v_cmp_lt_i16_sdwa s[4:5], s33, v8 src0_sel:BYTE_0 src1_sel:DWORD
	s_mov_b64 s[0:1], -1
	s_and_b64 vcc, exec, s[4:5]
	s_cbranch_vccnz .LBB30_1643
; %bb.1638:
	v_cmp_gt_i16_sdwa s[4:5], s33, v8 src0_sel:BYTE_0 src1_sel:DWORD
	s_and_b64 vcc, exec, s[4:5]
	s_cbranch_vccz .LBB30_1640
; %bb.1639:
	v_lshlrev_b32_e32 v8, 16, v3
	v_cvt_f64_f32_e32 v[8:9], v8
	global_store_dwordx2 v[0:1], v[8:9], off
	s_mov_b64 s[0:1], 0
.LBB30_1640:
	s_andn2_b64 vcc, exec, s[0:1]
	s_cbranch_vccnz .LBB30_1642
; %bb.1641:
	v_lshlrev_b32_e32 v8, 16, v3
	global_store_dword v[0:1], v8, off
.LBB30_1642:
	s_mov_b64 s[0:1], 0
.LBB30_1643:
	s_andn2_b64 vcc, exec, s[0:1]
	s_cbranch_vccnz .LBB30_1645
; %bb.1644:
	v_lshlrev_b32_e32 v8, 16, v3
	v_cvt_f16_f32_e32 v8, v8
	global_store_short v[0:1], v8, off
.LBB30_1645:
	s_mov_b64 s[0:1], 0
.LBB30_1646:
	s_andn2_b64 vcc, exec, s[0:1]
	s_cbranch_vccnz .LBB30_1662
; %bb.1647:
	v_mov_b32_e32 v8, 2
	v_cmp_lt_i16_sdwa s[4:5], s33, v8 src0_sel:BYTE_0 src1_sel:DWORD
	s_mov_b64 s[0:1], -1
	s_and_b64 vcc, exec, s[4:5]
	s_cbranch_vccnz .LBB30_1657
; %bb.1648:
	v_mov_b32_e32 v8, 3
	v_cmp_lt_i16_sdwa s[4:5], s33, v8 src0_sel:BYTE_0 src1_sel:DWORD
	s_and_b64 vcc, exec, s[4:5]
	s_cbranch_vccnz .LBB30_1654
; %bb.1649:
	v_cmp_gt_i16_sdwa s[4:5], s33, v8 src0_sel:BYTE_0 src1_sel:DWORD
	s_and_b64 vcc, exec, s[4:5]
	s_cbranch_vccz .LBB30_1651
; %bb.1650:
	v_lshlrev_b32_e32 v8, 16, v3
	v_trunc_f32_e32 v8, v8
	s_mov_b32 s0, 0x2f800000
	v_mul_f32_e64 v9, |v8|, s0
	v_floor_f32_e32 v9, v9
	s_mov_b32 s0, 0xcf800000
	v_cvt_u32_f32_e32 v10, v9
	v_fma_f32 v9, v9, s0, |v8|
	v_cvt_u32_f32_e32 v9, v9
	v_ashrrev_i32_e32 v11, 31, v8
	v_xor_b32_e32 v10, v10, v11
	s_mov_b64 s[0:1], 0
	v_xor_b32_e32 v8, v9, v11
	v_sub_co_u32_e32 v8, vcc, v8, v11
	v_subb_co_u32_e32 v9, vcc, v10, v11, vcc
	global_store_dwordx2 v[0:1], v[8:9], off
.LBB30_1651:
	s_andn2_b64 vcc, exec, s[0:1]
	s_cbranch_vccnz .LBB30_1653
; %bb.1652:
	v_lshlrev_b32_e32 v8, 16, v3
	v_cvt_i32_f32_e32 v8, v8
	global_store_dword v[0:1], v8, off
.LBB30_1653:
	s_mov_b64 s[0:1], 0
.LBB30_1654:
	s_andn2_b64 vcc, exec, s[0:1]
	s_cbranch_vccnz .LBB30_1656
; %bb.1655:
	v_lshlrev_b32_e32 v8, 16, v3
	v_cvt_i32_f32_e32 v8, v8
	global_store_short v[0:1], v8, off
.LBB30_1656:
	s_mov_b64 s[0:1], 0
.LBB30_1657:
	s_andn2_b64 vcc, exec, s[0:1]
	s_cbranch_vccnz .LBB30_1662
; %bb.1658:
	v_mov_b32_e32 v8, 0
	v_cmp_gt_i16_sdwa s[4:5], s33, v8 src0_sel:BYTE_0 src1_sel:DWORD
	s_mov_b64 s[0:1], -1
	s_and_b64 vcc, exec, s[4:5]
	v_lshlrev_b32_e32 v3, 16, v3
	s_cbranch_vccz .LBB30_1660
; %bb.1659:
	v_cvt_i32_f32_e32 v8, v3
	s_mov_b64 s[0:1], 0
	global_store_byte v[0:1], v8, off
.LBB30_1660:
	s_andn2_b64 vcc, exec, s[0:1]
	s_cbranch_vccnz .LBB30_1662
; %bb.1661:
	v_trunc_f32_e32 v3, v3
	s_mov_b32 s0, 0x2f800000
	v_mul_f32_e64 v8, |v3|, s0
	v_floor_f32_e32 v8, v8
	s_mov_b32 s0, 0xcf800000
	v_fma_f32 v8, v8, s0, |v3|
	v_cvt_u32_f32_e32 v8, v8
	v_ashrrev_i32_e32 v3, 31, v3
	v_xor_b32_e32 v8, v8, v3
	v_sub_u32_e32 v3, v8, v3
	global_store_byte v[0:1], v3, off
.LBB30_1662:
	s_mov_b64 s[10:11], -1
.LBB30_1663:
	s_andn2_b64 vcc, exec, s[10:11]
	s_cbranch_vccnz .LBB30_1994
; %bb.1664:
	v_lshlrev_b32_e32 v0, 16, v4
	v_cmp_nle_f32_e32 vcc, v7, v0
	v_cmp_nge_f32_e64 s[0:1], s20, v0
	s_lshl_b32 s18, s2, 7
	s_or_b64 vcc, s[0:1], vcc
	v_add_u32_e32 v2, s18, v2
	v_cndmask_b32_e32 v3, 0, v4, vcc
	v_ashrrev_i32_e32 v1, 31, v2
	v_mov_b32_e32 v4, s9
	v_add_co_u32_e32 v0, vcc, s8, v2
	v_addc_co_u32_e32 v1, vcc, v4, v1, vcc
	v_mov_b32_e32 v4, 11
	v_cmp_lt_i16_sdwa s[0:1], s33, v4 src0_sel:BYTE_0 src1_sel:DWORD
	s_and_b64 vcc, exec, s[0:1]
	s_cbranch_vccnz .LBB30_1671
; %bb.1665:
	v_mov_b32_e32 v4, 25
	v_cmp_gt_i16_sdwa s[0:1], s33, v4 src0_sel:BYTE_0 src1_sel:DWORD
	s_mov_b64 s[10:11], -1
	s_mov_b64 s[2:3], 0
	s_and_b64 vcc, exec, s[0:1]
	s_mov_b64 s[4:5], 0
	s_mov_b64 s[0:1], 0
	s_cbranch_vccz .LBB30_1707
; %bb.1666:
	v_mov_b32_e32 v4, 28
	v_cmp_gt_i16_sdwa s[0:1], s33, v4 src0_sel:BYTE_0 src1_sel:DWORD
	s_and_b64 vcc, exec, s[0:1]
	s_cbranch_vccz .LBB30_1672
; %bb.1667:
	v_mov_b32_e32 v4, 43
	v_cmp_gt_i16_sdwa s[0:1], s33, v4 src0_sel:BYTE_0 src1_sel:DWORD
	s_and_b64 vcc, exec, s[0:1]
	;; [unrolled: 5-line block ×3, first 2 shown]
	s_cbranch_vccz .LBB30_1679
; %bb.1669:
	v_mov_b32_e32 v4, 46
	v_cmp_eq_u16_sdwa s[4:5], s33, v4 src0_sel:BYTE_0 src1_sel:DWORD
	s_mov_b64 s[0:1], -1
	s_mov_b64 s[10:11], 0
	s_and_b64 vcc, exec, s[4:5]
	s_mov_b64 s[4:5], 0
	s_cbranch_vccz .LBB30_1680
; %bb.1670:
	v_and_b32_e32 v4, 0xffff, v3
	global_store_dword v[0:1], v4, off
	s_mov_b64 s[0:1], 0
	s_mov_b64 s[4:5], -1
	s_branch .LBB30_1680
.LBB30_1671:
	s_mov_b64 s[0:1], -1
	s_mov_b64 s[4:5], 0
	s_branch .LBB30_1751
.LBB30_1672:
	s_mov_b64 s[0:1], 0
	s_branch .LBB30_1690
.LBB30_1673:
	s_or_saveexec_b64 s[18:19], s[18:19]
                                        ; implicit-def: $sgpr3
	s_xor_b64 exec, exec, s[18:19]
	s_cbranch_execz .LBB30_1574
.LBB30_1674:
	s_mov_b32 s3, 0x46000000
	v_add_f32_e64 v9, |v10|, s3
	v_and_b32_e32 v9, 0xff, v9
	v_cmp_ne_u32_e32 vcc, 0, v9
	s_andn2_b64 s[16:17], s[16:17], exec
	s_and_b64 s[22:23], vcc, exec
	s_mov_b32 s3, 0
	s_or_b64 s[16:17], s[16:17], s[22:23]
	s_or_b64 exec, exec, s[18:19]
	v_mov_b32_e32 v11, s3
	s_and_saveexec_b64 s[18:19], s[16:17]
	s_cbranch_execnz .LBB30_1575
	s_branch .LBB30_1576
.LBB30_1675:
	s_mov_b64 s[0:1], 0
	s_branch .LBB30_1686
.LBB30_1676:
	s_trap 2
	s_or_b64 s[14:15], s[14:15], exec
	s_cbranch_execz .LBB30_1622
	s_branch .LBB30_1623
.LBB30_1677:
	s_or_saveexec_b64 s[16:17], s[16:17]
                                        ; implicit-def: $sgpr3
	s_xor_b64 exec, exec, s[16:17]
	s_cbranch_execz .LBB30_1587
.LBB30_1678:
	s_mov_b32 s3, 0x42800000
	v_add_f32_e64 v9, |v10|, s3
	v_and_b32_e32 v9, 0xff, v9
	v_cmp_ne_u32_e32 vcc, 0, v9
	s_andn2_b64 s[10:11], s[10:11], exec
	s_and_b64 s[18:19], vcc, exec
	s_mov_b32 s3, 0
	s_or_b64 s[10:11], s[10:11], s[18:19]
	s_or_b64 exec, exec, s[16:17]
	v_mov_b32_e32 v11, s3
	s_and_saveexec_b64 s[16:17], s[10:11]
	s_cbranch_execnz .LBB30_1588
	s_branch .LBB30_1589
.LBB30_1679:
	s_mov_b64 s[0:1], 0
.LBB30_1680:
	s_and_b64 vcc, exec, s[10:11]
	s_cbranch_vccz .LBB30_1685
; %bb.1681:
	v_mov_b32_e32 v4, 44
	v_cmp_eq_u16_sdwa s[10:11], s33, v4 src0_sel:BYTE_0 src1_sel:DWORD
	s_mov_b64 s[0:1], -1
	s_and_b64 vcc, exec, s[10:11]
	s_cbranch_vccz .LBB30_1685
; %bb.1682:
	v_and_b32_e32 v8, 0xffff, v3
	v_bfe_u32 v4, v8, 7, 8
	s_movk_i32 s0, 0xff
	v_cmp_ne_u32_e32 vcc, s0, v4
	v_mov_b32_e32 v9, 0xff
	s_and_saveexec_b64 s[4:5], vcc
; %bb.1683:
	v_lshlrev_b32_e32 v10, 16, v8
	s_mov_b32 s0, 0x3f0000
	v_lshrrev_b32_e32 v9, 7, v8
	v_and_b32_e32 v8, 64, v8
	v_and_or_b32 v4, v10, s0, v4
	v_cmp_ne_u32_e32 vcc, 0, v8
	v_cmp_ne_u32_e64 s[0:1], 0, v4
	s_and_b64 s[0:1], vcc, s[0:1]
	v_cndmask_b32_e64 v4, 0, 1, s[0:1]
	v_add_u32_e32 v9, v9, v4
; %bb.1684:
	s_or_b64 exec, exec, s[4:5]
	s_mov_b64 s[0:1], 0
	s_mov_b64 s[4:5], -1
	global_store_byte v[0:1], v9, off
.LBB30_1685:
	s_mov_b64 s[10:11], 0
.LBB30_1686:
	s_and_b64 vcc, exec, s[10:11]
	s_cbranch_vccz .LBB30_1689
; %bb.1687:
	v_mov_b32_e32 v4, 29
	v_cmp_eq_u16_sdwa s[10:11], s33, v4 src0_sel:BYTE_0 src1_sel:DWORD
	s_mov_b64 s[0:1], -1
	s_and_b64 vcc, exec, s[10:11]
	s_cbranch_vccz .LBB30_1689
; %bb.1688:
	v_lshlrev_b32_e32 v4, 16, v3
	v_trunc_f32_e32 v4, v4
	v_mul_f32_e32 v8, 0x2f800000, v4
	v_floor_f32_e32 v8, v8
	v_fmac_f32_e32 v4, 0xcf800000, v8
	v_cvt_u32_f32_e32 v9, v8
	v_cvt_u32_f32_e32 v8, v4
	s_mov_b64 s[0:1], 0
	s_mov_b64 s[4:5], -1
	s_mov_b64 s[10:11], 0
	global_store_dwordx2 v[0:1], v[8:9], off
	s_branch .LBB30_1690
.LBB30_1689:
	s_mov_b64 s[10:11], 0
.LBB30_1690:
	s_and_b64 vcc, exec, s[10:11]
	s_cbranch_vccz .LBB30_1706
; %bb.1691:
	v_mov_b32_e32 v4, 27
	v_cmp_lt_i16_sdwa s[10:11], s33, v4 src0_sel:BYTE_0 src1_sel:DWORD
	s_mov_b64 s[4:5], -1
	s_and_b64 vcc, exec, s[10:11]
	s_cbranch_vccnz .LBB30_1697
; %bb.1692:
	v_cmp_gt_i16_sdwa s[10:11], s33, v4 src0_sel:BYTE_0 src1_sel:DWORD
	s_and_b64 vcc, exec, s[10:11]
	s_cbranch_vccz .LBB30_1694
; %bb.1693:
	v_lshlrev_b32_e32 v4, 16, v3
	v_cvt_u32_f32_e32 v4, v4
	s_mov_b64 s[4:5], 0
	global_store_dword v[0:1], v4, off
.LBB30_1694:
	s_andn2_b64 vcc, exec, s[4:5]
	s_cbranch_vccnz .LBB30_1696
; %bb.1695:
	v_lshlrev_b32_e32 v4, 16, v3
	v_cvt_u32_f32_e32 v4, v4
	global_store_short v[0:1], v4, off
.LBB30_1696:
	s_mov_b64 s[4:5], 0
.LBB30_1697:
	s_andn2_b64 vcc, exec, s[4:5]
	s_cbranch_vccnz .LBB30_1705
; %bb.1698:
	v_lshlrev_b32_e32 v9, 16, v3
	v_and_b32_e32 v8, 0x7fffffff, v9
	s_mov_b32 s4, 0x43800000
	v_cmp_gt_u32_e32 vcc, s4, v8
	v_mov_b32_e32 v10, 0x80
	s_and_saveexec_b64 s[4:5], vcc
	s_cbranch_execz .LBB30_1704
; %bb.1699:
	s_mov_b32 s10, 0x3bffffff
	v_and_b32_e32 v4, 0xffff, v3
	v_cmp_lt_u32_e32 vcc, s10, v8
	s_mov_b64 s[10:11], 0
                                        ; implicit-def: $vgpr8
	s_and_saveexec_b64 s[16:17], vcc
	s_xor_b64 s[16:17], exec, s[16:17]
	s_cbranch_execz .LBB30_1800
; %bb.1700:
	v_bfe_u32 v8, v4, 4, 1
	s_mov_b32 s19, 0x487ffff
	v_add3_u32 v8, v9, v8, s19
	s_mov_b64 s[10:11], exec
	v_lshrrev_b32_e32 v8, 20, v8
                                        ; implicit-def: $vgpr9
	s_or_saveexec_b64 s[16:17], s[16:17]
                                        ; implicit-def: $sgpr19
	s_xor_b64 exec, exec, s[16:17]
	s_cbranch_execnz .LBB30_1801
.LBB30_1701:
	s_or_b64 exec, exec, s[16:17]
	v_mov_b32_e32 v10, s19
	s_and_saveexec_b64 s[16:17], s[10:11]
.LBB30_1702:
	v_lshrrev_b32_e32 v4, 8, v4
	s_movk_i32 s10, 0x80
	v_and_or_b32 v10, v4, s10, v8
.LBB30_1703:
	s_or_b64 exec, exec, s[16:17]
.LBB30_1704:
	s_or_b64 exec, exec, s[4:5]
	global_store_byte v[0:1], v10, off
.LBB30_1705:
	s_mov_b64 s[4:5], -1
.LBB30_1706:
	s_mov_b64 s[10:11], 0
.LBB30_1707:
	s_and_b64 vcc, exec, s[10:11]
	s_cbranch_vccz .LBB30_1747
; %bb.1708:
	v_mov_b32_e32 v4, 22
	v_cmp_gt_i16_sdwa s[10:11], s33, v4 src0_sel:BYTE_0 src1_sel:DWORD
	s_mov_b64 s[2:3], -1
	s_and_b64 vcc, exec, s[10:11]
	s_cbranch_vccz .LBB30_1740
; %bb.1709:
	v_mov_b32_e32 v4, 24
	v_cmp_lt_i16_sdwa s[4:5], s33, v4 src0_sel:BYTE_0 src1_sel:DWORD
	s_and_b64 vcc, exec, s[4:5]
	s_cbranch_vccnz .LBB30_1729
; %bb.1710:
	v_cmp_gt_i16_sdwa s[4:5], s33, v4 src0_sel:BYTE_0 src1_sel:DWORD
	s_and_b64 vcc, exec, s[4:5]
	s_cbranch_vccz .LBB30_1718
; %bb.1711:
	v_lshlrev_b32_e32 v9, 16, v3
	v_and_b32_e32 v8, 0x7fffffff, v9
	s_mov_b32 s2, 0x47800000
	v_cmp_gt_u32_e32 vcc, s2, v8
	v_mov_b32_e32 v10, 0x80
	s_and_saveexec_b64 s[2:3], vcc
	s_cbranch_execz .LBB30_1717
; %bb.1712:
	s_mov_b32 s4, 0x37ffffff
	v_and_b32_e32 v4, 0xffff, v3
	v_cmp_lt_u32_e32 vcc, s4, v8
	s_mov_b64 s[4:5], 0
                                        ; implicit-def: $vgpr8
	s_and_saveexec_b64 s[10:11], vcc
	s_xor_b64 s[10:11], exec, s[10:11]
	s_cbranch_execz .LBB30_1804
; %bb.1713:
	v_bfe_u32 v8, v4, 5, 1
	s_mov_b32 s16, 0x88fffff
	v_add3_u32 v8, v9, v8, s16
	s_mov_b64 s[4:5], exec
	v_lshrrev_b32_e32 v8, 21, v8
                                        ; implicit-def: $vgpr9
	s_or_saveexec_b64 s[10:11], s[10:11]
                                        ; implicit-def: $sgpr16
	s_xor_b64 exec, exec, s[10:11]
	s_cbranch_execnz .LBB30_1805
.LBB30_1714:
	s_or_b64 exec, exec, s[10:11]
	v_mov_b32_e32 v10, s16
	s_and_saveexec_b64 s[10:11], s[4:5]
.LBB30_1715:
	v_lshrrev_b32_e32 v4, 8, v4
	s_movk_i32 s4, 0x80
	v_and_or_b32 v10, v4, s4, v8
.LBB30_1716:
	s_or_b64 exec, exec, s[10:11]
.LBB30_1717:
	s_or_b64 exec, exec, s[2:3]
	s_mov_b64 s[2:3], 0
	global_store_byte v[0:1], v10, off
.LBB30_1718:
	s_and_b64 vcc, exec, s[2:3]
	s_cbranch_vccz .LBB30_1728
; %bb.1719:
	v_lshlrev_b32_e32 v9, 16, v3
	v_and_b32_e32 v10, 0x7fffffff, v9
	s_mov_b32 s2, 0x43f00000
	v_and_b32_e32 v4, 0xffff, v3
	v_cmp_gt_u32_e32 vcc, s2, v10
                                        ; implicit-def: $vgpr8
	s_and_saveexec_b64 s[2:3], vcc
	s_xor_b64 s[2:3], exec, s[2:3]
	s_cbranch_execz .LBB30_1725
; %bb.1720:
	s_mov_b32 s4, 0x3c7fffff
	v_cmp_lt_u32_e32 vcc, s4, v10
                                        ; implicit-def: $vgpr8
	s_and_saveexec_b64 s[4:5], vcc
	s_xor_b64 s[4:5], exec, s[4:5]
; %bb.1721:
	v_bfe_u32 v8, v4, 4, 1
	s_mov_b32 s10, 0x407ffff
	v_add3_u32 v8, v9, v8, s10
	v_lshrrev_b32_e32 v9, 20, v8
	v_and_b32_e32 v8, 0xff00000, v8
	s_mov_b32 s10, 0x7f00000
	v_mov_b32_e32 v10, 0x7e
	v_cmp_ne_u32_e32 vcc, s10, v8
	v_cndmask_b32_e32 v8, v10, v9, vcc
                                        ; implicit-def: $vgpr9
; %bb.1722:
	s_andn2_saveexec_b64 s[4:5], s[4:5]
; %bb.1723:
	s_mov_b32 s10, 0x46800000
	v_add_f32_e64 v8, |v9|, s10
; %bb.1724:
	s_or_b64 exec, exec, s[4:5]
                                        ; implicit-def: $vgpr10
.LBB30_1725:
	s_andn2_saveexec_b64 s[2:3], s[2:3]
; %bb.1726:
	s_mov_b32 s4, 0x7f800000
	v_mov_b32_e32 v8, 0x7e
	v_mov_b32_e32 v9, 0x7f
	v_cmp_lt_u32_e32 vcc, s4, v10
	v_cndmask_b32_e32 v8, v8, v9, vcc
; %bb.1727:
	s_or_b64 exec, exec, s[2:3]
	v_lshrrev_b32_e32 v4, 8, v4
	s_movk_i32 s2, 0x80
	v_and_or_b32 v4, v4, s2, v8
	global_store_byte v[0:1], v4, off
.LBB30_1728:
	s_mov_b64 s[2:3], 0
.LBB30_1729:
	s_andn2_b64 vcc, exec, s[2:3]
	s_cbranch_vccnz .LBB30_1739
; %bb.1730:
	v_lshlrev_b32_e32 v9, 16, v3
	v_and_b32_e32 v10, 0x7fffffff, v9
	s_mov_b32 s2, 0x47800000
	v_and_b32_e32 v4, 0xffff, v3
	v_cmp_gt_u32_e32 vcc, s2, v10
                                        ; implicit-def: $vgpr8
	s_and_saveexec_b64 s[2:3], vcc
	s_xor_b64 s[2:3], exec, s[2:3]
	s_cbranch_execz .LBB30_1736
; %bb.1731:
	s_mov_b32 s4, 0x387fffff
	v_cmp_lt_u32_e32 vcc, s4, v10
                                        ; implicit-def: $vgpr8
	s_and_saveexec_b64 s[4:5], vcc
	s_xor_b64 s[4:5], exec, s[4:5]
; %bb.1732:
	v_bfe_u32 v8, v4, 5, 1
	s_mov_b32 s10, 0x80fffff
	v_add3_u32 v8, v9, v8, s10
	v_lshrrev_b32_e32 v8, 21, v8
                                        ; implicit-def: $vgpr9
; %bb.1733:
	s_andn2_saveexec_b64 s[4:5], s[4:5]
; %bb.1734:
	s_mov_b32 s10, 0x43000000
	v_add_f32_e64 v8, |v9|, s10
; %bb.1735:
	s_or_b64 exec, exec, s[4:5]
                                        ; implicit-def: $vgpr10
.LBB30_1736:
	s_andn2_saveexec_b64 s[2:3], s[2:3]
; %bb.1737:
	s_mov_b32 s4, 0x7f800000
	v_mov_b32_e32 v8, 0x7c
	v_mov_b32_e32 v9, 0x7f
	v_cmp_lt_u32_e32 vcc, s4, v10
	v_cndmask_b32_e32 v8, v8, v9, vcc
; %bb.1738:
	s_or_b64 exec, exec, s[2:3]
	v_lshrrev_b32_e32 v4, 8, v4
	s_movk_i32 s2, 0x80
	v_and_or_b32 v4, v4, s2, v8
	global_store_byte v[0:1], v4, off
.LBB30_1739:
	s_mov_b64 s[2:3], 0
	s_mov_b64 s[4:5], -1
.LBB30_1740:
	s_andn2_b64 vcc, exec, s[2:3]
	s_mov_b64 s[2:3], 0
	s_cbranch_vccnz .LBB30_1747
; %bb.1741:
	v_mov_b32_e32 v4, 14
	v_cmp_gt_i16_sdwa s[2:3], s33, v4 src0_sel:BYTE_0 src1_sel:DWORD
	s_mov_b64 s[10:11], -1
	s_and_b64 vcc, exec, s[2:3]
	s_cbranch_vccz .LBB30_1745
; %bb.1742:
	v_mov_b32_e32 v4, 15
	v_cmp_eq_u16_sdwa s[2:3], s33, v4 src0_sel:BYTE_0 src1_sel:DWORD
	s_mov_b64 s[0:1], -1
	s_and_b64 vcc, exec, s[2:3]
	s_cbranch_vccz .LBB30_1744
; %bb.1743:
	global_store_short v[0:1], v3, off
	s_mov_b64 s[0:1], 0
	s_mov_b64 s[4:5], -1
.LBB30_1744:
	s_mov_b64 s[10:11], 0
.LBB30_1745:
	s_mov_b64 s[2:3], 0
	s_and_b64 vcc, exec, s[10:11]
	s_cbranch_vccz .LBB30_1747
; %bb.1746:
	v_mov_b32_e32 v4, 11
	v_cmp_ne_u16_sdwa s[0:1], s33, v4 src0_sel:BYTE_0 src1_sel:DWORD
	s_mov_b64 s[2:3], -1
.LBB30_1747:
	s_and_b64 vcc, exec, s[0:1]
	s_cbranch_vccnz .LBB30_1803
; %bb.1748:
	s_andn2_b64 vcc, exec, s[2:3]
	s_cbranch_vccnz .LBB30_1750
.LBB30_1749:
	v_and_b32_e32 v4, 0x7fff, v3
	v_cmp_ne_u16_e32 vcc, 0, v4
	v_cndmask_b32_e64 v4, 0, 1, vcc
	s_mov_b64 s[4:5], -1
	global_store_byte v[0:1], v4, off
.LBB30_1750:
	s_mov_b64 s[0:1], 0
.LBB30_1751:
	s_and_b64 vcc, exec, s[0:1]
	s_cbranch_vccz .LBB30_1790
; %bb.1752:
	v_mov_b32_e32 v4, 5
	v_cmp_lt_i16_sdwa s[2:3], s33, v4 src0_sel:BYTE_0 src1_sel:DWORD
	s_mov_b64 s[0:1], -1
	s_and_b64 vcc, exec, s[2:3]
	s_cbranch_vccnz .LBB30_1773
; %bb.1753:
	v_mov_b32_e32 v4, 8
	v_cmp_lt_i16_sdwa s[2:3], s33, v4 src0_sel:BYTE_0 src1_sel:DWORD
	s_and_b64 vcc, exec, s[2:3]
	s_cbranch_vccnz .LBB30_1763
; %bb.1754:
	v_mov_b32_e32 v4, 9
	v_cmp_lt_i16_sdwa s[2:3], s33, v4 src0_sel:BYTE_0 src1_sel:DWORD
	s_and_b64 vcc, exec, s[2:3]
	s_cbranch_vccnz .LBB30_1760
; %bb.1755:
	v_cmp_gt_i16_sdwa s[2:3], s33, v4 src0_sel:BYTE_0 src1_sel:DWORD
	s_and_b64 vcc, exec, s[2:3]
	s_cbranch_vccz .LBB30_1757
; %bb.1756:
	v_lshlrev_b32_e32 v4, 16, v3
	v_mov_b32_e32 v10, 0
	v_cvt_f64_f32_e32 v[8:9], v4
	v_mov_b32_e32 v11, v10
	global_store_dwordx4 v[0:1], v[8:11], off
	s_mov_b64 s[0:1], 0
.LBB30_1757:
	s_andn2_b64 vcc, exec, s[0:1]
	s_cbranch_vccnz .LBB30_1759
; %bb.1758:
	v_lshlrev_b32_e32 v8, 16, v3
	v_mov_b32_e32 v9, 0
	global_store_dwordx2 v[0:1], v[8:9], off
.LBB30_1759:
	s_mov_b64 s[0:1], 0
.LBB30_1760:
	s_andn2_b64 vcc, exec, s[0:1]
	s_cbranch_vccnz .LBB30_1762
; %bb.1761:
	v_lshlrev_b32_e32 v4, 16, v3
	v_cvt_f16_f32_e32 v4, v4
	global_store_dword v[0:1], v4, off
.LBB30_1762:
	s_mov_b64 s[0:1], 0
.LBB30_1763:
	s_andn2_b64 vcc, exec, s[0:1]
	s_cbranch_vccnz .LBB30_1772
; %bb.1764:
	v_mov_b32_e32 v4, 6
	v_cmp_lt_i16_sdwa s[2:3], s33, v4 src0_sel:BYTE_0 src1_sel:DWORD
	s_mov_b64 s[0:1], -1
	s_and_b64 vcc, exec, s[2:3]
	s_cbranch_vccnz .LBB30_1770
; %bb.1765:
	v_cmp_gt_i16_sdwa s[2:3], s33, v4 src0_sel:BYTE_0 src1_sel:DWORD
	s_and_b64 vcc, exec, s[2:3]
	s_cbranch_vccz .LBB30_1767
; %bb.1766:
	v_lshlrev_b32_e32 v4, 16, v3
	v_cvt_f64_f32_e32 v[8:9], v4
	global_store_dwordx2 v[0:1], v[8:9], off
	s_mov_b64 s[0:1], 0
.LBB30_1767:
	s_andn2_b64 vcc, exec, s[0:1]
	s_cbranch_vccnz .LBB30_1769
; %bb.1768:
	v_lshlrev_b32_e32 v4, 16, v3
	global_store_dword v[0:1], v4, off
.LBB30_1769:
	s_mov_b64 s[0:1], 0
.LBB30_1770:
	s_andn2_b64 vcc, exec, s[0:1]
	s_cbranch_vccnz .LBB30_1772
; %bb.1771:
	v_lshlrev_b32_e32 v4, 16, v3
	v_cvt_f16_f32_e32 v4, v4
	global_store_short v[0:1], v4, off
.LBB30_1772:
	s_mov_b64 s[0:1], 0
.LBB30_1773:
	s_andn2_b64 vcc, exec, s[0:1]
	s_cbranch_vccnz .LBB30_1789
; %bb.1774:
	v_mov_b32_e32 v4, 2
	v_cmp_lt_i16_sdwa s[2:3], s33, v4 src0_sel:BYTE_0 src1_sel:DWORD
	s_mov_b64 s[0:1], -1
	s_and_b64 vcc, exec, s[2:3]
	s_cbranch_vccnz .LBB30_1784
; %bb.1775:
	v_mov_b32_e32 v4, 3
	v_cmp_lt_i16_sdwa s[2:3], s33, v4 src0_sel:BYTE_0 src1_sel:DWORD
	s_and_b64 vcc, exec, s[2:3]
	s_cbranch_vccnz .LBB30_1781
; %bb.1776:
	v_cmp_gt_i16_sdwa s[2:3], s33, v4 src0_sel:BYTE_0 src1_sel:DWORD
	s_and_b64 vcc, exec, s[2:3]
	s_cbranch_vccz .LBB30_1778
; %bb.1777:
	v_lshlrev_b32_e32 v4, 16, v3
	v_trunc_f32_e32 v4, v4
	s_mov_b32 s0, 0x2f800000
	v_mul_f32_e64 v8, |v4|, s0
	v_floor_f32_e32 v8, v8
	s_mov_b32 s0, 0xcf800000
	v_cvt_u32_f32_e32 v9, v8
	v_fma_f32 v8, v8, s0, |v4|
	v_cvt_u32_f32_e32 v8, v8
	v_ashrrev_i32_e32 v4, 31, v4
	v_xor_b32_e32 v9, v9, v4
	s_mov_b64 s[0:1], 0
	v_xor_b32_e32 v8, v8, v4
	v_sub_co_u32_e32 v8, vcc, v8, v4
	v_subb_co_u32_e32 v9, vcc, v9, v4, vcc
	global_store_dwordx2 v[0:1], v[8:9], off
.LBB30_1778:
	s_andn2_b64 vcc, exec, s[0:1]
	s_cbranch_vccnz .LBB30_1780
; %bb.1779:
	v_lshlrev_b32_e32 v4, 16, v3
	v_cvt_i32_f32_e32 v4, v4
	global_store_dword v[0:1], v4, off
.LBB30_1780:
	s_mov_b64 s[0:1], 0
.LBB30_1781:
	s_andn2_b64 vcc, exec, s[0:1]
	s_cbranch_vccnz .LBB30_1783
; %bb.1782:
	v_lshlrev_b32_e32 v4, 16, v3
	v_cvt_i32_f32_e32 v4, v4
	global_store_short v[0:1], v4, off
.LBB30_1783:
	s_mov_b64 s[0:1], 0
.LBB30_1784:
	s_andn2_b64 vcc, exec, s[0:1]
	s_cbranch_vccnz .LBB30_1789
; %bb.1785:
	v_mov_b32_e32 v4, 0
	v_cmp_gt_i16_sdwa s[2:3], s33, v4 src0_sel:BYTE_0 src1_sel:DWORD
	s_mov_b64 s[0:1], -1
	s_and_b64 vcc, exec, s[2:3]
	v_lshlrev_b32_e32 v3, 16, v3
	s_cbranch_vccz .LBB30_1787
; %bb.1786:
	v_cvt_i32_f32_e32 v4, v3
	s_mov_b64 s[0:1], 0
	global_store_byte v[0:1], v4, off
.LBB30_1787:
	s_andn2_b64 vcc, exec, s[0:1]
	s_cbranch_vccnz .LBB30_1789
; %bb.1788:
	v_trunc_f32_e32 v3, v3
	s_mov_b32 s0, 0x2f800000
	v_mul_f32_e64 v4, |v3|, s0
	v_floor_f32_e32 v4, v4
	s_mov_b32 s0, 0xcf800000
	v_fma_f32 v4, v4, s0, |v3|
	v_cvt_u32_f32_e32 v4, v4
	v_ashrrev_i32_e32 v3, 31, v3
	v_xor_b32_e32 v4, v4, v3
	v_sub_u32_e32 v3, v4, v3
	global_store_byte v[0:1], v3, off
.LBB30_1789:
	s_mov_b64 s[4:5], -1
.LBB30_1790:
	s_andn2_b64 vcc, exec, s[4:5]
	s_cbranch_vccnz .LBB30_1994
; %bb.1791:
	v_lshlrev_b32_e32 v0, 16, v5
	v_cmp_nle_f32_e32 vcc, v7, v0
	v_cmp_nge_f32_e64 s[0:1], s20, v0
	s_or_b64 vcc, s[0:1], vcc
	v_add_u32_e32 v2, s18, v2
	v_cndmask_b32_e32 v3, 0, v5, vcc
	v_ashrrev_i32_e32 v1, 31, v2
	v_mov_b32_e32 v4, s9
	v_add_co_u32_e32 v0, vcc, s8, v2
	v_addc_co_u32_e32 v1, vcc, v4, v1, vcc
	v_mov_b32_e32 v4, 11
	v_cmp_lt_i16_sdwa s[0:1], s33, v4 src0_sel:BYTE_0 src1_sel:DWORD
	s_and_b64 vcc, exec, s[0:1]
	s_cbranch_vccnz .LBB30_1798
; %bb.1792:
	v_mov_b32_e32 v4, 25
	v_cmp_gt_i16_sdwa s[0:1], s33, v4 src0_sel:BYTE_0 src1_sel:DWORD
	s_mov_b64 s[10:11], -1
	s_mov_b64 s[2:3], 0
	s_and_b64 vcc, exec, s[0:1]
	s_mov_b64 s[4:5], 0
	s_mov_b64 s[0:1], 0
	s_cbranch_vccz .LBB30_1834
; %bb.1793:
	v_mov_b32_e32 v4, 28
	v_cmp_gt_i16_sdwa s[0:1], s33, v4 src0_sel:BYTE_0 src1_sel:DWORD
	s_and_b64 vcc, exec, s[0:1]
	s_cbranch_vccz .LBB30_1799
; %bb.1794:
	v_mov_b32_e32 v4, 43
	v_cmp_gt_i16_sdwa s[0:1], s33, v4 src0_sel:BYTE_0 src1_sel:DWORD
	s_and_b64 vcc, exec, s[0:1]
	;; [unrolled: 5-line block ×3, first 2 shown]
	s_cbranch_vccz .LBB30_1806
; %bb.1796:
	v_mov_b32_e32 v4, 46
	v_cmp_eq_u16_sdwa s[4:5], s33, v4 src0_sel:BYTE_0 src1_sel:DWORD
	s_mov_b64 s[0:1], -1
	s_mov_b64 s[10:11], 0
	s_and_b64 vcc, exec, s[4:5]
	s_mov_b64 s[4:5], 0
	s_cbranch_vccz .LBB30_1807
; %bb.1797:
	v_and_b32_e32 v4, 0xffff, v3
	global_store_dword v[0:1], v4, off
	s_mov_b64 s[0:1], 0
	s_mov_b64 s[4:5], -1
	s_branch .LBB30_1807
.LBB30_1798:
	s_mov_b64 s[0:1], -1
	s_mov_b64 s[4:5], 0
	s_branch .LBB30_1878
.LBB30_1799:
	s_mov_b64 s[0:1], 0
	s_branch .LBB30_1817
.LBB30_1800:
	s_or_saveexec_b64 s[16:17], s[16:17]
                                        ; implicit-def: $sgpr19
	s_xor_b64 exec, exec, s[16:17]
	s_cbranch_execz .LBB30_1701
.LBB30_1801:
	s_mov_b32 s19, 0x46000000
	v_add_f32_e64 v8, |v9|, s19
	v_and_b32_e32 v8, 0xff, v8
	v_cmp_ne_u32_e32 vcc, 0, v8
	s_andn2_b64 s[10:11], s[10:11], exec
	s_and_b64 s[22:23], vcc, exec
	s_mov_b32 s19, 0
	s_or_b64 s[10:11], s[10:11], s[22:23]
	s_or_b64 exec, exec, s[16:17]
	v_mov_b32_e32 v10, s19
	s_and_saveexec_b64 s[16:17], s[10:11]
	s_cbranch_execnz .LBB30_1702
	s_branch .LBB30_1703
.LBB30_1802:
	s_mov_b64 s[0:1], 0
	s_branch .LBB30_1813
.LBB30_1803:
	s_trap 2
	s_or_b64 s[14:15], s[14:15], exec
	s_cbranch_execz .LBB30_1749
	s_branch .LBB30_1750
.LBB30_1804:
	s_or_saveexec_b64 s[10:11], s[10:11]
                                        ; implicit-def: $sgpr16
	s_xor_b64 exec, exec, s[10:11]
	s_cbranch_execz .LBB30_1714
.LBB30_1805:
	s_mov_b32 s16, 0x42800000
	v_add_f32_e64 v8, |v9|, s16
	v_and_b32_e32 v8, 0xff, v8
	v_cmp_ne_u32_e32 vcc, 0, v8
	s_andn2_b64 s[4:5], s[4:5], exec
	s_and_b64 s[22:23], vcc, exec
	s_mov_b32 s16, 0
	s_or_b64 s[4:5], s[4:5], s[22:23]
	s_or_b64 exec, exec, s[10:11]
	v_mov_b32_e32 v10, s16
	s_and_saveexec_b64 s[10:11], s[4:5]
	s_cbranch_execnz .LBB30_1715
	s_branch .LBB30_1716
.LBB30_1806:
	s_mov_b64 s[0:1], 0
.LBB30_1807:
	s_and_b64 vcc, exec, s[10:11]
	s_cbranch_vccz .LBB30_1812
; %bb.1808:
	v_mov_b32_e32 v4, 44
	v_cmp_eq_u16_sdwa s[10:11], s33, v4 src0_sel:BYTE_0 src1_sel:DWORD
	s_mov_b64 s[0:1], -1
	s_and_b64 vcc, exec, s[10:11]
	s_cbranch_vccz .LBB30_1812
; %bb.1809:
	v_and_b32_e32 v5, 0xffff, v3
	v_bfe_u32 v4, v5, 7, 8
	s_movk_i32 s0, 0xff
	v_cmp_ne_u32_e32 vcc, s0, v4
	v_mov_b32_e32 v8, 0xff
	s_and_saveexec_b64 s[4:5], vcc
; %bb.1810:
	v_lshlrev_b32_e32 v9, 16, v5
	s_mov_b32 s0, 0x3f0000
	v_lshrrev_b32_e32 v8, 7, v5
	v_and_b32_e32 v5, 64, v5
	v_and_or_b32 v4, v9, s0, v4
	v_cmp_ne_u32_e32 vcc, 0, v5
	v_cmp_ne_u32_e64 s[0:1], 0, v4
	s_and_b64 s[0:1], vcc, s[0:1]
	v_cndmask_b32_e64 v4, 0, 1, s[0:1]
	v_add_u32_e32 v8, v8, v4
; %bb.1811:
	s_or_b64 exec, exec, s[4:5]
	s_mov_b64 s[0:1], 0
	s_mov_b64 s[4:5], -1
	global_store_byte v[0:1], v8, off
.LBB30_1812:
	s_mov_b64 s[10:11], 0
.LBB30_1813:
	s_and_b64 vcc, exec, s[10:11]
	s_cbranch_vccz .LBB30_1816
; %bb.1814:
	v_mov_b32_e32 v4, 29
	v_cmp_eq_u16_sdwa s[10:11], s33, v4 src0_sel:BYTE_0 src1_sel:DWORD
	s_mov_b64 s[0:1], -1
	s_and_b64 vcc, exec, s[10:11]
	s_cbranch_vccz .LBB30_1816
; %bb.1815:
	v_lshlrev_b32_e32 v4, 16, v3
	v_trunc_f32_e32 v4, v4
	v_mul_f32_e32 v5, 0x2f800000, v4
	v_floor_f32_e32 v8, v5
	v_fmac_f32_e32 v4, 0xcf800000, v8
	v_cvt_u32_f32_e32 v5, v8
	v_cvt_u32_f32_e32 v4, v4
	s_mov_b64 s[0:1], 0
	s_mov_b64 s[4:5], -1
	s_mov_b64 s[10:11], 0
	global_store_dwordx2 v[0:1], v[4:5], off
	s_branch .LBB30_1817
.LBB30_1816:
	s_mov_b64 s[10:11], 0
.LBB30_1817:
	s_and_b64 vcc, exec, s[10:11]
	s_cbranch_vccz .LBB30_1833
; %bb.1818:
	v_mov_b32_e32 v4, 27
	v_cmp_lt_i16_sdwa s[10:11], s33, v4 src0_sel:BYTE_0 src1_sel:DWORD
	s_mov_b64 s[4:5], -1
	s_and_b64 vcc, exec, s[10:11]
	s_cbranch_vccnz .LBB30_1824
; %bb.1819:
	v_cmp_gt_i16_sdwa s[10:11], s33, v4 src0_sel:BYTE_0 src1_sel:DWORD
	s_and_b64 vcc, exec, s[10:11]
	s_cbranch_vccz .LBB30_1821
; %bb.1820:
	v_lshlrev_b32_e32 v4, 16, v3
	v_cvt_u32_f32_e32 v4, v4
	s_mov_b64 s[4:5], 0
	global_store_dword v[0:1], v4, off
.LBB30_1821:
	s_andn2_b64 vcc, exec, s[4:5]
	s_cbranch_vccnz .LBB30_1823
; %bb.1822:
	v_lshlrev_b32_e32 v4, 16, v3
	v_cvt_u32_f32_e32 v4, v4
	global_store_short v[0:1], v4, off
.LBB30_1823:
	s_mov_b64 s[4:5], 0
.LBB30_1824:
	s_andn2_b64 vcc, exec, s[4:5]
	s_cbranch_vccnz .LBB30_1832
; %bb.1825:
	v_lshlrev_b32_e32 v8, 16, v3
	v_and_b32_e32 v5, 0x7fffffff, v8
	s_mov_b32 s4, 0x43800000
	v_cmp_gt_u32_e32 vcc, s4, v5
	v_mov_b32_e32 v9, 0x80
	s_and_saveexec_b64 s[4:5], vcc
	s_cbranch_execz .LBB30_1831
; %bb.1826:
	s_mov_b32 s10, 0x3bffffff
	v_and_b32_e32 v4, 0xffff, v3
	v_cmp_lt_u32_e32 vcc, s10, v5
	s_mov_b64 s[10:11], 0
                                        ; implicit-def: $vgpr5
	s_and_saveexec_b64 s[16:17], vcc
	s_xor_b64 s[16:17], exec, s[16:17]
	s_cbranch_execz .LBB30_2040
; %bb.1827:
	v_bfe_u32 v5, v4, 4, 1
	s_mov_b32 s19, 0x487ffff
	v_add3_u32 v5, v8, v5, s19
	s_mov_b64 s[10:11], exec
	v_lshrrev_b32_e32 v5, 20, v5
                                        ; implicit-def: $vgpr8
	s_or_saveexec_b64 s[16:17], s[16:17]
                                        ; implicit-def: $sgpr19
	s_xor_b64 exec, exec, s[16:17]
	s_cbranch_execnz .LBB30_2041
.LBB30_1828:
	s_or_b64 exec, exec, s[16:17]
	v_mov_b32_e32 v9, s19
	s_and_saveexec_b64 s[16:17], s[10:11]
.LBB30_1829:
	v_lshrrev_b32_e32 v4, 8, v4
	s_movk_i32 s10, 0x80
	v_and_or_b32 v9, v4, s10, v5
.LBB30_1830:
	s_or_b64 exec, exec, s[16:17]
.LBB30_1831:
	s_or_b64 exec, exec, s[4:5]
	global_store_byte v[0:1], v9, off
.LBB30_1832:
	s_mov_b64 s[4:5], -1
.LBB30_1833:
	s_mov_b64 s[10:11], 0
.LBB30_1834:
	s_and_b64 vcc, exec, s[10:11]
	s_cbranch_vccz .LBB30_1874
; %bb.1835:
	v_mov_b32_e32 v4, 22
	v_cmp_gt_i16_sdwa s[10:11], s33, v4 src0_sel:BYTE_0 src1_sel:DWORD
	s_mov_b64 s[2:3], -1
	s_and_b64 vcc, exec, s[10:11]
	s_cbranch_vccz .LBB30_1867
; %bb.1836:
	v_mov_b32_e32 v4, 24
	v_cmp_lt_i16_sdwa s[4:5], s33, v4 src0_sel:BYTE_0 src1_sel:DWORD
	s_and_b64 vcc, exec, s[4:5]
	s_cbranch_vccnz .LBB30_1856
; %bb.1837:
	v_cmp_gt_i16_sdwa s[4:5], s33, v4 src0_sel:BYTE_0 src1_sel:DWORD
	s_and_b64 vcc, exec, s[4:5]
	s_cbranch_vccz .LBB30_1845
; %bb.1838:
	v_lshlrev_b32_e32 v8, 16, v3
	v_and_b32_e32 v5, 0x7fffffff, v8
	s_mov_b32 s2, 0x47800000
	v_cmp_gt_u32_e32 vcc, s2, v5
	v_mov_b32_e32 v9, 0x80
	s_and_saveexec_b64 s[2:3], vcc
	s_cbranch_execz .LBB30_1844
; %bb.1839:
	s_mov_b32 s4, 0x37ffffff
	v_and_b32_e32 v4, 0xffff, v3
	v_cmp_lt_u32_e32 vcc, s4, v5
	s_mov_b64 s[4:5], 0
                                        ; implicit-def: $vgpr5
	s_and_saveexec_b64 s[10:11], vcc
	s_xor_b64 s[10:11], exec, s[10:11]
	s_cbranch_execz .LBB30_2043
; %bb.1840:
	v_bfe_u32 v5, v4, 5, 1
	s_mov_b32 s16, 0x88fffff
	v_add3_u32 v5, v8, v5, s16
	s_mov_b64 s[4:5], exec
	v_lshrrev_b32_e32 v5, 21, v5
                                        ; implicit-def: $vgpr8
	s_or_saveexec_b64 s[10:11], s[10:11]
                                        ; implicit-def: $sgpr16
	s_xor_b64 exec, exec, s[10:11]
	s_cbranch_execnz .LBB30_2044
.LBB30_1841:
	s_or_b64 exec, exec, s[10:11]
	v_mov_b32_e32 v9, s16
	s_and_saveexec_b64 s[10:11], s[4:5]
.LBB30_1842:
	v_lshrrev_b32_e32 v4, 8, v4
	s_movk_i32 s4, 0x80
	v_and_or_b32 v9, v4, s4, v5
.LBB30_1843:
	s_or_b64 exec, exec, s[10:11]
.LBB30_1844:
	s_or_b64 exec, exec, s[2:3]
	s_mov_b64 s[2:3], 0
	global_store_byte v[0:1], v9, off
.LBB30_1845:
	s_and_b64 vcc, exec, s[2:3]
	s_cbranch_vccz .LBB30_1855
; %bb.1846:
	v_lshlrev_b32_e32 v8, 16, v3
	v_and_b32_e32 v9, 0x7fffffff, v8
	s_mov_b32 s2, 0x43f00000
	v_and_b32_e32 v4, 0xffff, v3
	v_cmp_gt_u32_e32 vcc, s2, v9
                                        ; implicit-def: $vgpr5
	s_and_saveexec_b64 s[2:3], vcc
	s_xor_b64 s[2:3], exec, s[2:3]
	s_cbranch_execz .LBB30_1852
; %bb.1847:
	s_mov_b32 s4, 0x3c7fffff
	v_cmp_lt_u32_e32 vcc, s4, v9
                                        ; implicit-def: $vgpr5
	s_and_saveexec_b64 s[4:5], vcc
	s_xor_b64 s[4:5], exec, s[4:5]
; %bb.1848:
	v_bfe_u32 v5, v4, 4, 1
	s_mov_b32 s10, 0x407ffff
	v_add3_u32 v5, v8, v5, s10
	v_lshrrev_b32_e32 v8, 20, v5
	v_and_b32_e32 v5, 0xff00000, v5
	s_mov_b32 s10, 0x7f00000
	v_mov_b32_e32 v9, 0x7e
	v_cmp_ne_u32_e32 vcc, s10, v5
	v_cndmask_b32_e32 v5, v9, v8, vcc
                                        ; implicit-def: $vgpr8
; %bb.1849:
	s_andn2_saveexec_b64 s[4:5], s[4:5]
; %bb.1850:
	s_mov_b32 s10, 0x46800000
	v_add_f32_e64 v5, |v8|, s10
; %bb.1851:
	s_or_b64 exec, exec, s[4:5]
                                        ; implicit-def: $vgpr9
.LBB30_1852:
	s_andn2_saveexec_b64 s[2:3], s[2:3]
; %bb.1853:
	s_mov_b32 s4, 0x7f800000
	v_mov_b32_e32 v5, 0x7e
	v_mov_b32_e32 v8, 0x7f
	v_cmp_lt_u32_e32 vcc, s4, v9
	v_cndmask_b32_e32 v5, v5, v8, vcc
; %bb.1854:
	s_or_b64 exec, exec, s[2:3]
	v_lshrrev_b32_e32 v4, 8, v4
	s_movk_i32 s2, 0x80
	v_and_or_b32 v4, v4, s2, v5
	global_store_byte v[0:1], v4, off
.LBB30_1855:
	s_mov_b64 s[2:3], 0
.LBB30_1856:
	s_andn2_b64 vcc, exec, s[2:3]
	s_cbranch_vccnz .LBB30_1866
; %bb.1857:
	v_lshlrev_b32_e32 v8, 16, v3
	v_and_b32_e32 v9, 0x7fffffff, v8
	s_mov_b32 s2, 0x47800000
	v_and_b32_e32 v4, 0xffff, v3
	v_cmp_gt_u32_e32 vcc, s2, v9
                                        ; implicit-def: $vgpr5
	s_and_saveexec_b64 s[2:3], vcc
	s_xor_b64 s[2:3], exec, s[2:3]
	s_cbranch_execz .LBB30_1863
; %bb.1858:
	s_mov_b32 s4, 0x387fffff
	v_cmp_lt_u32_e32 vcc, s4, v9
                                        ; implicit-def: $vgpr5
	s_and_saveexec_b64 s[4:5], vcc
	s_xor_b64 s[4:5], exec, s[4:5]
; %bb.1859:
	v_bfe_u32 v5, v4, 5, 1
	s_mov_b32 s10, 0x80fffff
	v_add3_u32 v5, v8, v5, s10
	v_lshrrev_b32_e32 v5, 21, v5
                                        ; implicit-def: $vgpr8
; %bb.1860:
	s_andn2_saveexec_b64 s[4:5], s[4:5]
; %bb.1861:
	s_mov_b32 s10, 0x43000000
	v_add_f32_e64 v5, |v8|, s10
; %bb.1862:
	s_or_b64 exec, exec, s[4:5]
                                        ; implicit-def: $vgpr9
.LBB30_1863:
	s_andn2_saveexec_b64 s[2:3], s[2:3]
; %bb.1864:
	s_mov_b32 s4, 0x7f800000
	v_mov_b32_e32 v5, 0x7c
	v_mov_b32_e32 v8, 0x7f
	v_cmp_lt_u32_e32 vcc, s4, v9
	v_cndmask_b32_e32 v5, v5, v8, vcc
; %bb.1865:
	s_or_b64 exec, exec, s[2:3]
	v_lshrrev_b32_e32 v4, 8, v4
	s_movk_i32 s2, 0x80
	v_and_or_b32 v4, v4, s2, v5
	global_store_byte v[0:1], v4, off
.LBB30_1866:
	s_mov_b64 s[2:3], 0
	s_mov_b64 s[4:5], -1
.LBB30_1867:
	s_andn2_b64 vcc, exec, s[2:3]
	s_mov_b64 s[2:3], 0
	s_cbranch_vccnz .LBB30_1874
; %bb.1868:
	v_mov_b32_e32 v4, 14
	v_cmp_gt_i16_sdwa s[2:3], s33, v4 src0_sel:BYTE_0 src1_sel:DWORD
	s_mov_b64 s[10:11], -1
	s_and_b64 vcc, exec, s[2:3]
	s_cbranch_vccz .LBB30_1872
; %bb.1869:
	v_mov_b32_e32 v4, 15
	v_cmp_eq_u16_sdwa s[2:3], s33, v4 src0_sel:BYTE_0 src1_sel:DWORD
	s_mov_b64 s[0:1], -1
	s_and_b64 vcc, exec, s[2:3]
	s_cbranch_vccz .LBB30_1871
; %bb.1870:
	global_store_short v[0:1], v3, off
	s_mov_b64 s[0:1], 0
	s_mov_b64 s[4:5], -1
.LBB30_1871:
	s_mov_b64 s[10:11], 0
.LBB30_1872:
	s_mov_b64 s[2:3], 0
	s_and_b64 vcc, exec, s[10:11]
	s_cbranch_vccz .LBB30_1874
; %bb.1873:
	v_mov_b32_e32 v4, 11
	v_cmp_ne_u16_sdwa s[0:1], s33, v4 src0_sel:BYTE_0 src1_sel:DWORD
	s_mov_b64 s[2:3], -1
.LBB30_1874:
	s_and_b64 vcc, exec, s[0:1]
	s_cbranch_vccnz .LBB30_2042
; %bb.1875:
	s_andn2_b64 vcc, exec, s[2:3]
	s_cbranch_vccnz .LBB30_1877
.LBB30_1876:
	v_and_b32_e32 v4, 0x7fff, v3
	v_cmp_ne_u16_e32 vcc, 0, v4
	v_cndmask_b32_e64 v4, 0, 1, vcc
	s_mov_b64 s[4:5], -1
	global_store_byte v[0:1], v4, off
.LBB30_1877:
	s_mov_b64 s[0:1], 0
.LBB30_1878:
	s_and_b64 vcc, exec, s[0:1]
	s_cbranch_vccz .LBB30_1917
; %bb.1879:
	v_mov_b32_e32 v4, 5
	v_cmp_lt_i16_sdwa s[2:3], s33, v4 src0_sel:BYTE_0 src1_sel:DWORD
	s_mov_b64 s[0:1], -1
	s_and_b64 vcc, exec, s[2:3]
	s_cbranch_vccnz .LBB30_1900
; %bb.1880:
	v_mov_b32_e32 v4, 8
	v_cmp_lt_i16_sdwa s[2:3], s33, v4 src0_sel:BYTE_0 src1_sel:DWORD
	s_and_b64 vcc, exec, s[2:3]
	s_cbranch_vccnz .LBB30_1890
; %bb.1881:
	v_mov_b32_e32 v4, 9
	v_cmp_lt_i16_sdwa s[2:3], s33, v4 src0_sel:BYTE_0 src1_sel:DWORD
	s_and_b64 vcc, exec, s[2:3]
	s_cbranch_vccnz .LBB30_1887
; %bb.1882:
	v_cmp_gt_i16_sdwa s[2:3], s33, v4 src0_sel:BYTE_0 src1_sel:DWORD
	s_and_b64 vcc, exec, s[2:3]
	s_cbranch_vccz .LBB30_1884
; %bb.1883:
	v_lshlrev_b32_e32 v4, 16, v3
	v_mov_b32_e32 v10, 0
	v_cvt_f64_f32_e32 v[8:9], v4
	v_mov_b32_e32 v11, v10
	global_store_dwordx4 v[0:1], v[8:11], off
	s_mov_b64 s[0:1], 0
.LBB30_1884:
	s_andn2_b64 vcc, exec, s[0:1]
	s_cbranch_vccnz .LBB30_1886
; %bb.1885:
	v_lshlrev_b32_e32 v4, 16, v3
	v_mov_b32_e32 v5, 0
	global_store_dwordx2 v[0:1], v[4:5], off
.LBB30_1886:
	s_mov_b64 s[0:1], 0
.LBB30_1887:
	s_andn2_b64 vcc, exec, s[0:1]
	s_cbranch_vccnz .LBB30_1889
; %bb.1888:
	v_lshlrev_b32_e32 v4, 16, v3
	v_cvt_f16_f32_e32 v4, v4
	global_store_dword v[0:1], v4, off
.LBB30_1889:
	s_mov_b64 s[0:1], 0
.LBB30_1890:
	s_andn2_b64 vcc, exec, s[0:1]
	s_cbranch_vccnz .LBB30_1899
; %bb.1891:
	v_mov_b32_e32 v4, 6
	v_cmp_lt_i16_sdwa s[2:3], s33, v4 src0_sel:BYTE_0 src1_sel:DWORD
	s_mov_b64 s[0:1], -1
	s_and_b64 vcc, exec, s[2:3]
	s_cbranch_vccnz .LBB30_1897
; %bb.1892:
	v_cmp_gt_i16_sdwa s[2:3], s33, v4 src0_sel:BYTE_0 src1_sel:DWORD
	s_and_b64 vcc, exec, s[2:3]
	s_cbranch_vccz .LBB30_1894
; %bb.1893:
	v_lshlrev_b32_e32 v4, 16, v3
	v_cvt_f64_f32_e32 v[4:5], v4
	global_store_dwordx2 v[0:1], v[4:5], off
	s_mov_b64 s[0:1], 0
.LBB30_1894:
	s_andn2_b64 vcc, exec, s[0:1]
	s_cbranch_vccnz .LBB30_1896
; %bb.1895:
	v_lshlrev_b32_e32 v4, 16, v3
	global_store_dword v[0:1], v4, off
.LBB30_1896:
	s_mov_b64 s[0:1], 0
.LBB30_1897:
	s_andn2_b64 vcc, exec, s[0:1]
	s_cbranch_vccnz .LBB30_1899
; %bb.1898:
	v_lshlrev_b32_e32 v4, 16, v3
	v_cvt_f16_f32_e32 v4, v4
	global_store_short v[0:1], v4, off
.LBB30_1899:
	s_mov_b64 s[0:1], 0
.LBB30_1900:
	s_andn2_b64 vcc, exec, s[0:1]
	s_cbranch_vccnz .LBB30_1916
; %bb.1901:
	v_mov_b32_e32 v4, 2
	v_cmp_lt_i16_sdwa s[2:3], s33, v4 src0_sel:BYTE_0 src1_sel:DWORD
	s_mov_b64 s[0:1], -1
	s_and_b64 vcc, exec, s[2:3]
	s_cbranch_vccnz .LBB30_1911
; %bb.1902:
	v_mov_b32_e32 v4, 3
	v_cmp_lt_i16_sdwa s[2:3], s33, v4 src0_sel:BYTE_0 src1_sel:DWORD
	s_and_b64 vcc, exec, s[2:3]
	s_cbranch_vccnz .LBB30_1908
; %bb.1903:
	v_cmp_gt_i16_sdwa s[2:3], s33, v4 src0_sel:BYTE_0 src1_sel:DWORD
	s_and_b64 vcc, exec, s[2:3]
	s_cbranch_vccz .LBB30_1905
; %bb.1904:
	v_lshlrev_b32_e32 v4, 16, v3
	v_trunc_f32_e32 v4, v4
	s_mov_b32 s0, 0x2f800000
	v_mul_f32_e64 v5, |v4|, s0
	v_floor_f32_e32 v5, v5
	s_mov_b32 s0, 0xcf800000
	v_cvt_u32_f32_e32 v8, v5
	v_fma_f32 v5, v5, s0, |v4|
	v_cvt_u32_f32_e32 v5, v5
	v_ashrrev_i32_e32 v9, 31, v4
	v_xor_b32_e32 v8, v8, v9
	s_mov_b64 s[0:1], 0
	v_xor_b32_e32 v4, v5, v9
	v_sub_co_u32_e32 v4, vcc, v4, v9
	v_subb_co_u32_e32 v5, vcc, v8, v9, vcc
	global_store_dwordx2 v[0:1], v[4:5], off
.LBB30_1905:
	s_andn2_b64 vcc, exec, s[0:1]
	s_cbranch_vccnz .LBB30_1907
; %bb.1906:
	v_lshlrev_b32_e32 v4, 16, v3
	v_cvt_i32_f32_e32 v4, v4
	global_store_dword v[0:1], v4, off
.LBB30_1907:
	s_mov_b64 s[0:1], 0
.LBB30_1908:
	s_andn2_b64 vcc, exec, s[0:1]
	s_cbranch_vccnz .LBB30_1910
; %bb.1909:
	v_lshlrev_b32_e32 v4, 16, v3
	v_cvt_i32_f32_e32 v4, v4
	global_store_short v[0:1], v4, off
.LBB30_1910:
	s_mov_b64 s[0:1], 0
.LBB30_1911:
	s_andn2_b64 vcc, exec, s[0:1]
	s_cbranch_vccnz .LBB30_1916
; %bb.1912:
	v_mov_b32_e32 v4, 0
	v_cmp_gt_i16_sdwa s[2:3], s33, v4 src0_sel:BYTE_0 src1_sel:DWORD
	s_mov_b64 s[0:1], -1
	s_and_b64 vcc, exec, s[2:3]
	v_lshlrev_b32_e32 v3, 16, v3
	s_cbranch_vccz .LBB30_1914
; %bb.1913:
	v_cvt_i32_f32_e32 v4, v3
	s_mov_b64 s[0:1], 0
	global_store_byte v[0:1], v4, off
.LBB30_1914:
	s_andn2_b64 vcc, exec, s[0:1]
	s_cbranch_vccnz .LBB30_1916
; %bb.1915:
	v_trunc_f32_e32 v3, v3
	s_mov_b32 s0, 0x2f800000
	v_mul_f32_e64 v4, |v3|, s0
	v_floor_f32_e32 v4, v4
	s_mov_b32 s0, 0xcf800000
	v_fma_f32 v4, v4, s0, |v3|
	v_cvt_u32_f32_e32 v4, v4
	v_ashrrev_i32_e32 v3, 31, v3
	v_xor_b32_e32 v4, v4, v3
	v_sub_u32_e32 v3, v4, v3
	global_store_byte v[0:1], v3, off
.LBB30_1916:
	s_mov_b64 s[4:5], -1
.LBB30_1917:
	s_andn2_b64 vcc, exec, s[4:5]
	s_cbranch_vccnz .LBB30_1994
; %bb.1918:
	v_lshlrev_b32_e32 v0, 16, v6
	v_cmp_nle_f32_e32 vcc, v7, v0
	v_cmp_nge_f32_e64 s[0:1], s20, v0
	s_or_b64 vcc, s[0:1], vcc
	v_add_u32_e32 v0, s18, v2
	v_cndmask_b32_e32 v4, 0, v6, vcc
	v_ashrrev_i32_e32 v1, 31, v0
	v_mov_b32_e32 v2, s9
	v_add_co_u32_e32 v0, vcc, s8, v0
	v_addc_co_u32_e32 v1, vcc, v2, v1, vcc
	v_mov_b32_e32 v2, 0xff
	v_and_b32_e32 v3, s33, v2
	v_cmp_gt_i16_e32 vcc, 11, v3
	s_cbranch_vccnz .LBB30_2039
; %bb.1919:
	v_cmp_lt_i16_e32 vcc, 25, v3
	s_mov_b64 s[4:5], -1
	s_mov_b64 s[2:3], 0
	s_mov_b64 s[0:1], 0
	s_cbranch_vccz .LBB30_1952
; %bb.1920:
	v_cmp_lt_i16_e32 vcc, 28, v3
	s_cbranch_vccz .LBB30_1936
; %bb.1921:
	v_cmp_lt_i16_e32 vcc, 43, v3
	;; [unrolled: 3-line block ×3, first 2 shown]
	s_cbranch_vccz .LBB30_1926
; %bb.1923:
	v_cmp_eq_u16_e32 vcc, 46, v3
	s_mov_b64 s[0:1], -1
	s_cbranch_vccz .LBB30_1925
; %bb.1924:
	v_and_b32_e32 v2, 0xffff, v4
	global_store_dword v[0:1], v2, off
	s_mov_b64 s[0:1], 0
.LBB30_1925:
	s_mov_b64 s[4:5], 0
.LBB30_1926:
	s_and_b64 vcc, exec, s[4:5]
	s_cbranch_vccz .LBB30_1931
; %bb.1927:
	v_cmp_eq_u16_e32 vcc, 44, v3
	s_mov_b64 s[0:1], -1
	s_cbranch_vccz .LBB30_1931
; %bb.1928:
	v_and_b32_e32 v5, 0xffff, v4
	v_bfe_u32 v2, v5, 7, 8
	s_movk_i32 s0, 0xff
	v_cmp_ne_u32_e32 vcc, s0, v2
	v_mov_b32_e32 v6, 0xff
	s_and_saveexec_b64 s[4:5], vcc
; %bb.1929:
	v_lshlrev_b32_e32 v7, 16, v5
	s_mov_b32 s0, 0x3f0000
	v_lshrrev_b32_e32 v6, 7, v5
	v_and_b32_e32 v5, 64, v5
	v_and_or_b32 v2, v7, s0, v2
	v_cmp_ne_u32_e32 vcc, 0, v5
	v_cmp_ne_u32_e64 s[0:1], 0, v2
	s_and_b64 s[0:1], vcc, s[0:1]
	v_cndmask_b32_e64 v2, 0, 1, s[0:1]
	v_add_u32_e32 v6, v6, v2
; %bb.1930:
	s_or_b64 exec, exec, s[4:5]
	s_mov_b64 s[0:1], 0
	global_store_byte v[0:1], v6, off
.LBB30_1931:
	s_mov_b64 s[4:5], 0
.LBB30_1932:
	s_and_b64 vcc, exec, s[4:5]
	s_cbranch_vccz .LBB30_1935
; %bb.1933:
	v_cmp_eq_u16_e32 vcc, 29, v3
	s_mov_b64 s[0:1], -1
	s_cbranch_vccz .LBB30_1935
; %bb.1934:
	v_lshlrev_b32_e32 v2, 16, v4
	v_trunc_f32_e32 v2, v2
	v_mul_f32_e32 v5, 0x2f800000, v2
	v_floor_f32_e32 v5, v5
	v_fmac_f32_e32 v2, 0xcf800000, v5
	v_cvt_u32_f32_e32 v7, v5
	v_cvt_u32_f32_e32 v6, v2
	s_mov_b64 s[0:1], 0
	global_store_dwordx2 v[0:1], v[6:7], off
.LBB30_1935:
	s_mov_b64 s[4:5], 0
.LBB30_1936:
	s_and_b64 vcc, exec, s[4:5]
	s_cbranch_vccz .LBB30_1951
; %bb.1937:
	v_cmp_gt_i16_e32 vcc, 27, v3
	s_mov_b64 s[4:5], -1
	s_cbranch_vccnz .LBB30_1943
; %bb.1938:
	v_cmp_lt_i16_e32 vcc, 27, v3
	s_cbranch_vccz .LBB30_1940
; %bb.1939:
	v_lshlrev_b32_e32 v2, 16, v4
	v_cvt_u32_f32_e32 v2, v2
	s_mov_b64 s[4:5], 0
	global_store_dword v[0:1], v2, off
.LBB30_1940:
	s_andn2_b64 vcc, exec, s[4:5]
	s_cbranch_vccnz .LBB30_1942
; %bb.1941:
	v_lshlrev_b32_e32 v2, 16, v4
	v_cvt_u32_f32_e32 v2, v2
	global_store_short v[0:1], v2, off
.LBB30_1942:
	s_mov_b64 s[4:5], 0
.LBB30_1943:
	s_andn2_b64 vcc, exec, s[4:5]
	s_cbranch_vccnz .LBB30_1951
; %bb.1944:
	v_lshlrev_b32_e32 v6, 16, v4
	v_and_b32_e32 v5, 0x7fffffff, v6
	s_mov_b32 s4, 0x43800000
	v_cmp_gt_u32_e32 vcc, s4, v5
	v_mov_b32_e32 v7, 0x80
	s_and_saveexec_b64 s[4:5], vcc
	s_cbranch_execz .LBB30_1950
; %bb.1945:
	s_mov_b32 s8, 0x3bffffff
	v_and_b32_e32 v2, 0xffff, v4
	v_cmp_lt_u32_e32 vcc, s8, v5
	s_mov_b64 s[8:9], 0
                                        ; implicit-def: $vgpr5
	s_and_saveexec_b64 s[10:11], vcc
	s_xor_b64 s[10:11], exec, s[10:11]
	s_cbranch_execz .LBB30_2045
; %bb.1946:
	v_bfe_u32 v5, v2, 4, 1
	s_mov_b32 s16, 0x487ffff
	v_add3_u32 v5, v6, v5, s16
	s_mov_b64 s[8:9], exec
	v_lshrrev_b32_e32 v5, 20, v5
                                        ; implicit-def: $vgpr6
	s_or_saveexec_b64 s[10:11], s[10:11]
                                        ; implicit-def: $sgpr16
	s_xor_b64 exec, exec, s[10:11]
	s_cbranch_execnz .LBB30_2046
.LBB30_1947:
	s_or_b64 exec, exec, s[10:11]
	v_mov_b32_e32 v7, s16
	s_and_saveexec_b64 s[10:11], s[8:9]
.LBB30_1948:
	v_lshrrev_b32_e32 v2, 8, v2
	s_movk_i32 s8, 0x80
	v_and_or_b32 v7, v2, s8, v5
.LBB30_1949:
	s_or_b64 exec, exec, s[10:11]
.LBB30_1950:
	s_or_b64 exec, exec, s[4:5]
	global_store_byte v[0:1], v7, off
.LBB30_1951:
	s_mov_b64 s[4:5], 0
.LBB30_1952:
	s_and_b64 vcc, exec, s[4:5]
	s_cbranch_vccz .LBB30_1992
; %bb.1953:
	v_cmp_lt_i16_e32 vcc, 22, v3
	s_mov_b64 s[2:3], -1
	s_cbranch_vccz .LBB30_1985
; %bb.1954:
	v_cmp_gt_i16_e32 vcc, 24, v3
	s_cbranch_vccnz .LBB30_1974
; %bb.1955:
	v_cmp_lt_i16_e32 vcc, 24, v3
	s_cbranch_vccz .LBB30_1963
; %bb.1956:
	v_lshlrev_b32_e32 v6, 16, v4
	v_and_b32_e32 v5, 0x7fffffff, v6
	s_mov_b32 s2, 0x47800000
	v_cmp_gt_u32_e32 vcc, s2, v5
	v_mov_b32_e32 v7, 0x80
	s_and_saveexec_b64 s[2:3], vcc
	s_cbranch_execz .LBB30_1962
; %bb.1957:
	s_mov_b32 s4, 0x37ffffff
	v_and_b32_e32 v2, 0xffff, v4
	v_cmp_lt_u32_e32 vcc, s4, v5
	s_mov_b64 s[4:5], 0
                                        ; implicit-def: $vgpr5
	s_and_saveexec_b64 s[8:9], vcc
	s_xor_b64 s[8:9], exec, s[8:9]
	s_cbranch_execz .LBB30_2048
; %bb.1958:
	v_bfe_u32 v5, v2, 5, 1
	s_mov_b32 s10, 0x88fffff
	v_add3_u32 v5, v6, v5, s10
	s_mov_b64 s[4:5], exec
	v_lshrrev_b32_e32 v5, 21, v5
                                        ; implicit-def: $vgpr6
	s_or_saveexec_b64 s[8:9], s[8:9]
                                        ; implicit-def: $sgpr10
	s_xor_b64 exec, exec, s[8:9]
	s_cbranch_execnz .LBB30_2049
.LBB30_1959:
	s_or_b64 exec, exec, s[8:9]
	v_mov_b32_e32 v7, s10
	s_and_saveexec_b64 s[8:9], s[4:5]
.LBB30_1960:
	v_lshrrev_b32_e32 v2, 8, v2
	s_movk_i32 s4, 0x80
	v_and_or_b32 v7, v2, s4, v5
.LBB30_1961:
	s_or_b64 exec, exec, s[8:9]
.LBB30_1962:
	s_or_b64 exec, exec, s[2:3]
	s_mov_b64 s[2:3], 0
	global_store_byte v[0:1], v7, off
.LBB30_1963:
	s_and_b64 vcc, exec, s[2:3]
	s_cbranch_vccz .LBB30_1973
; %bb.1964:
	v_lshlrev_b32_e32 v6, 16, v4
	v_and_b32_e32 v7, 0x7fffffff, v6
	s_mov_b32 s2, 0x43f00000
	v_and_b32_e32 v2, 0xffff, v4
	v_cmp_gt_u32_e32 vcc, s2, v7
                                        ; implicit-def: $vgpr5
	s_and_saveexec_b64 s[2:3], vcc
	s_xor_b64 s[2:3], exec, s[2:3]
	s_cbranch_execz .LBB30_1970
; %bb.1965:
	s_mov_b32 s4, 0x3c7fffff
	v_cmp_lt_u32_e32 vcc, s4, v7
                                        ; implicit-def: $vgpr5
	s_and_saveexec_b64 s[4:5], vcc
	s_xor_b64 s[4:5], exec, s[4:5]
; %bb.1966:
	v_bfe_u32 v5, v2, 4, 1
	s_mov_b32 s8, 0x407ffff
	v_add3_u32 v5, v6, v5, s8
	v_lshrrev_b32_e32 v6, 20, v5
	v_and_b32_e32 v5, 0xff00000, v5
	s_mov_b32 s8, 0x7f00000
	v_mov_b32_e32 v7, 0x7e
	v_cmp_ne_u32_e32 vcc, s8, v5
	v_cndmask_b32_e32 v5, v7, v6, vcc
                                        ; implicit-def: $vgpr6
; %bb.1967:
	s_andn2_saveexec_b64 s[4:5], s[4:5]
; %bb.1968:
	s_mov_b32 s8, 0x46800000
	v_add_f32_e64 v5, |v6|, s8
; %bb.1969:
	s_or_b64 exec, exec, s[4:5]
                                        ; implicit-def: $vgpr7
.LBB30_1970:
	s_andn2_saveexec_b64 s[2:3], s[2:3]
; %bb.1971:
	s_mov_b32 s4, 0x7f800000
	v_mov_b32_e32 v5, 0x7e
	v_mov_b32_e32 v6, 0x7f
	v_cmp_lt_u32_e32 vcc, s4, v7
	v_cndmask_b32_e32 v5, v5, v6, vcc
; %bb.1972:
	s_or_b64 exec, exec, s[2:3]
	v_lshrrev_b32_e32 v2, 8, v2
	s_movk_i32 s2, 0x80
	v_and_or_b32 v2, v2, s2, v5
	global_store_byte v[0:1], v2, off
.LBB30_1973:
	s_mov_b64 s[2:3], 0
.LBB30_1974:
	s_andn2_b64 vcc, exec, s[2:3]
	s_cbranch_vccnz .LBB30_1984
; %bb.1975:
	v_lshlrev_b32_e32 v6, 16, v4
	v_and_b32_e32 v7, 0x7fffffff, v6
	s_mov_b32 s2, 0x47800000
	v_and_b32_e32 v2, 0xffff, v4
	v_cmp_gt_u32_e32 vcc, s2, v7
                                        ; implicit-def: $vgpr5
	s_and_saveexec_b64 s[2:3], vcc
	s_xor_b64 s[2:3], exec, s[2:3]
	s_cbranch_execz .LBB30_1981
; %bb.1976:
	s_mov_b32 s4, 0x387fffff
	v_cmp_lt_u32_e32 vcc, s4, v7
                                        ; implicit-def: $vgpr5
	s_and_saveexec_b64 s[4:5], vcc
	s_xor_b64 s[4:5], exec, s[4:5]
; %bb.1977:
	v_bfe_u32 v5, v2, 5, 1
	s_mov_b32 s8, 0x80fffff
	v_add3_u32 v5, v6, v5, s8
	v_lshrrev_b32_e32 v5, 21, v5
                                        ; implicit-def: $vgpr6
; %bb.1978:
	s_andn2_saveexec_b64 s[4:5], s[4:5]
; %bb.1979:
	s_mov_b32 s8, 0x43000000
	v_add_f32_e64 v5, |v6|, s8
; %bb.1980:
	s_or_b64 exec, exec, s[4:5]
                                        ; implicit-def: $vgpr7
.LBB30_1981:
	s_andn2_saveexec_b64 s[2:3], s[2:3]
; %bb.1982:
	s_mov_b32 s4, 0x7f800000
	v_mov_b32_e32 v5, 0x7c
	v_mov_b32_e32 v6, 0x7f
	v_cmp_lt_u32_e32 vcc, s4, v7
	v_cndmask_b32_e32 v5, v5, v6, vcc
; %bb.1983:
	s_or_b64 exec, exec, s[2:3]
	v_lshrrev_b32_e32 v2, 8, v2
	s_movk_i32 s2, 0x80
	v_and_or_b32 v2, v2, s2, v5
	global_store_byte v[0:1], v2, off
.LBB30_1984:
	s_mov_b64 s[2:3], 0
.LBB30_1985:
	s_andn2_b64 vcc, exec, s[2:3]
	s_mov_b64 s[2:3], 0
	s_cbranch_vccnz .LBB30_1992
; %bb.1986:
	v_cmp_lt_i16_e32 vcc, 14, v3
	s_mov_b64 s[4:5], -1
	s_cbranch_vccz .LBB30_1990
; %bb.1987:
	v_cmp_eq_u16_e32 vcc, 15, v3
	s_mov_b64 s[0:1], -1
	s_cbranch_vccz .LBB30_1989
; %bb.1988:
	global_store_short v[0:1], v4, off
	s_mov_b64 s[0:1], 0
.LBB30_1989:
	s_mov_b64 s[4:5], 0
.LBB30_1990:
	s_and_b64 vcc, exec, s[4:5]
	s_cbranch_vccz .LBB30_1992
; %bb.1991:
	v_cmp_ne_u16_e64 s[0:1], 11, v3
	s_mov_b64 s[2:3], -1
.LBB30_1992:
	s_and_b64 vcc, exec, s[0:1]
	s_cbranch_vccnz .LBB30_2047
.LBB30_1993:
	s_mov_b64 s[0:1], 0
	s_branch .LBB30_1995
.LBB30_1994:
	s_mov_b64 s[0:1], 0
	s_mov_b64 s[2:3], 0
                                        ; implicit-def: $vgpr3
                                        ; implicit-def: $vgpr0_vgpr1
                                        ; implicit-def: $vgpr4
.LBB30_1995:
	s_and_b64 s[4:5], s[2:3], exec
	s_andn2_b64 s[2:3], s[12:13], exec
	s_and_b64 s[8:9], s[14:15], exec
	s_and_b64 s[0:1], s[0:1], exec
	s_or_b64 s[12:13], s[2:3], s[8:9]
.LBB30_1996:
	s_or_b64 exec, exec, s[6:7]
	s_and_saveexec_b64 s[2:3], s[12:13]
	s_cbranch_execz .LBB30_1999
; %bb.1997:
	; divergent unreachable
	s_or_b64 exec, exec, s[2:3]
	s_and_saveexec_b64 s[2:3], s[4:5]
	s_xor_b64 s[2:3], exec, s[2:3]
	s_cbranch_execnz .LBB30_2000
.LBB30_1998:
	s_or_b64 exec, exec, s[2:3]
	s_and_saveexec_b64 s[2:3], s[0:1]
	s_cbranch_execnz .LBB30_2001
	s_branch .LBB30_2038
.LBB30_1999:
	s_or_b64 exec, exec, s[2:3]
	s_and_saveexec_b64 s[2:3], s[4:5]
	s_xor_b64 s[2:3], exec, s[2:3]
	s_cbranch_execz .LBB30_1998
.LBB30_2000:
	s_waitcnt vmcnt(0)
	v_and_b32_e32 v2, 0x7fff, v4
	v_cmp_ne_u16_e32 vcc, 0, v2
	v_cndmask_b32_e64 v2, 0, 1, vcc
	global_store_byte v[0:1], v2, off
	s_or_b64 exec, exec, s[2:3]
	s_and_saveexec_b64 s[2:3], s[0:1]
	s_cbranch_execz .LBB30_2038
.LBB30_2001:
	s_waitcnt vmcnt(0)
	v_cmp_gt_i16_e32 vcc, 5, v3
	s_mov_b64 s[0:1], -1
	s_cbranch_vccnz .LBB30_2022
; %bb.2002:
	v_cmp_gt_i16_e32 vcc, 8, v3
	s_cbranch_vccnz .LBB30_2012
; %bb.2003:
	v_cmp_gt_i16_e32 vcc, 9, v3
	s_cbranch_vccnz .LBB30_2009
; %bb.2004:
	v_cmp_lt_i16_e32 vcc, 9, v3
	s_cbranch_vccz .LBB30_2006
; %bb.2005:
	v_lshlrev_b32_e32 v2, 16, v4
	v_mov_b32_e32 v8, 0
	v_cvt_f64_f32_e32 v[6:7], v2
	v_mov_b32_e32 v9, v8
	global_store_dwordx4 v[0:1], v[6:9], off
	s_mov_b64 s[0:1], 0
.LBB30_2006:
	s_andn2_b64 vcc, exec, s[0:1]
	s_cbranch_vccnz .LBB30_2008
; %bb.2007:
	v_lshlrev_b32_e32 v6, 16, v4
	v_mov_b32_e32 v7, 0
	global_store_dwordx2 v[0:1], v[6:7], off
.LBB30_2008:
	s_mov_b64 s[0:1], 0
.LBB30_2009:
	s_andn2_b64 vcc, exec, s[0:1]
	s_cbranch_vccnz .LBB30_2011
; %bb.2010:
	v_lshlrev_b32_e32 v2, 16, v4
	v_cvt_f16_f32_e32 v2, v2
	global_store_dword v[0:1], v2, off
.LBB30_2011:
	s_mov_b64 s[0:1], 0
.LBB30_2012:
	s_andn2_b64 vcc, exec, s[0:1]
	s_cbranch_vccnz .LBB30_2021
; %bb.2013:
	v_cmp_gt_i16_e32 vcc, 6, v3
	s_mov_b64 s[0:1], -1
	s_cbranch_vccnz .LBB30_2019
; %bb.2014:
	v_cmp_lt_i16_e32 vcc, 6, v3
	s_cbranch_vccz .LBB30_2016
; %bb.2015:
	v_lshlrev_b32_e32 v2, 16, v4
	v_cvt_f64_f32_e32 v[6:7], v2
	global_store_dwordx2 v[0:1], v[6:7], off
	s_mov_b64 s[0:1], 0
.LBB30_2016:
	s_andn2_b64 vcc, exec, s[0:1]
	s_cbranch_vccnz .LBB30_2018
; %bb.2017:
	v_lshlrev_b32_e32 v2, 16, v4
	global_store_dword v[0:1], v2, off
.LBB30_2018:
	s_mov_b64 s[0:1], 0
.LBB30_2019:
	s_andn2_b64 vcc, exec, s[0:1]
	s_cbranch_vccnz .LBB30_2021
; %bb.2020:
	v_lshlrev_b32_e32 v2, 16, v4
	v_cvt_f16_f32_e32 v2, v2
	global_store_short v[0:1], v2, off
.LBB30_2021:
	s_mov_b64 s[0:1], 0
.LBB30_2022:
	s_andn2_b64 vcc, exec, s[0:1]
	s_cbranch_vccnz .LBB30_2038
; %bb.2023:
	v_cmp_gt_i16_e32 vcc, 2, v3
	s_mov_b64 s[0:1], -1
	s_cbranch_vccnz .LBB30_2033
; %bb.2024:
	v_cmp_gt_i16_e32 vcc, 3, v3
	s_cbranch_vccnz .LBB30_2030
; %bb.2025:
	v_cmp_lt_i16_e32 vcc, 3, v3
	s_cbranch_vccz .LBB30_2027
; %bb.2026:
	v_lshlrev_b32_e32 v2, 16, v4
	v_trunc_f32_e32 v2, v2
	s_mov_b32 s0, 0x2f800000
	v_mul_f32_e64 v5, |v2|, s0
	v_floor_f32_e32 v5, v5
	s_mov_b32 s0, 0xcf800000
	v_cvt_u32_f32_e32 v6, v5
	v_fma_f32 v5, v5, s0, |v2|
	v_cvt_u32_f32_e32 v5, v5
	v_ashrrev_i32_e32 v2, 31, v2
	v_xor_b32_e32 v7, v6, v2
	s_mov_b64 s[0:1], 0
	v_xor_b32_e32 v5, v5, v2
	v_sub_co_u32_e32 v6, vcc, v5, v2
	v_subb_co_u32_e32 v7, vcc, v7, v2, vcc
	global_store_dwordx2 v[0:1], v[6:7], off
.LBB30_2027:
	s_andn2_b64 vcc, exec, s[0:1]
	s_cbranch_vccnz .LBB30_2029
; %bb.2028:
	v_lshlrev_b32_e32 v2, 16, v4
	v_cvt_i32_f32_e32 v2, v2
	global_store_dword v[0:1], v2, off
.LBB30_2029:
	s_mov_b64 s[0:1], 0
.LBB30_2030:
	s_andn2_b64 vcc, exec, s[0:1]
	s_cbranch_vccnz .LBB30_2032
; %bb.2031:
	v_lshlrev_b32_e32 v2, 16, v4
	v_cvt_i32_f32_e32 v2, v2
	global_store_short v[0:1], v2, off
.LBB30_2032:
	s_mov_b64 s[0:1], 0
.LBB30_2033:
	s_andn2_b64 vcc, exec, s[0:1]
	s_cbranch_vccnz .LBB30_2038
; %bb.2034:
	v_cmp_lt_i16_e32 vcc, 0, v3
	s_mov_b64 s[0:1], -1
	v_lshlrev_b32_e32 v2, 16, v4
	s_cbranch_vccz .LBB30_2036
; %bb.2035:
	v_cvt_i32_f32_e32 v3, v2
	s_mov_b64 s[0:1], 0
	global_store_byte v[0:1], v3, off
.LBB30_2036:
	s_andn2_b64 vcc, exec, s[0:1]
	s_cbranch_vccnz .LBB30_2038
; %bb.2037:
	v_trunc_f32_e32 v2, v2
	s_mov_b32 s0, 0x2f800000
	v_mul_f32_e64 v3, |v2|, s0
	v_floor_f32_e32 v3, v3
	s_mov_b32 s0, 0xcf800000
	v_fma_f32 v3, v3, s0, |v2|
	v_cvt_u32_f32_e32 v3, v3
	v_ashrrev_i32_e32 v2, 31, v2
	v_xor_b32_e32 v3, v3, v2
	v_sub_u32_e32 v2, v3, v2
	global_store_byte v[0:1], v2, off
	s_endpgm
.LBB30_2038:
	s_endpgm
.LBB30_2039:
	s_mov_b64 s[2:3], 0
	s_mov_b64 s[0:1], -1
	s_branch .LBB30_1995
.LBB30_2040:
	s_or_saveexec_b64 s[16:17], s[16:17]
                                        ; implicit-def: $sgpr19
	s_xor_b64 exec, exec, s[16:17]
	s_cbranch_execz .LBB30_1828
.LBB30_2041:
	s_mov_b32 s19, 0x46000000
	v_add_f32_e64 v5, |v8|, s19
	v_and_b32_e32 v5, 0xff, v5
	v_cmp_ne_u32_e32 vcc, 0, v5
	s_andn2_b64 s[10:11], s[10:11], exec
	s_and_b64 s[22:23], vcc, exec
	s_mov_b32 s19, 0
	s_or_b64 s[10:11], s[10:11], s[22:23]
	s_or_b64 exec, exec, s[16:17]
	v_mov_b32_e32 v9, s19
	s_and_saveexec_b64 s[16:17], s[10:11]
	s_cbranch_execnz .LBB30_1829
	s_branch .LBB30_1830
.LBB30_2042:
	s_trap 2
	s_or_b64 s[14:15], s[14:15], exec
	s_cbranch_execz .LBB30_1876
	s_branch .LBB30_1877
.LBB30_2043:
	s_or_saveexec_b64 s[10:11], s[10:11]
                                        ; implicit-def: $sgpr16
	s_xor_b64 exec, exec, s[10:11]
	s_cbranch_execz .LBB30_1841
.LBB30_2044:
	s_mov_b32 s16, 0x42800000
	v_add_f32_e64 v5, |v8|, s16
	v_and_b32_e32 v5, 0xff, v5
	v_cmp_ne_u32_e32 vcc, 0, v5
	s_andn2_b64 s[4:5], s[4:5], exec
	s_and_b64 s[22:23], vcc, exec
	s_mov_b32 s16, 0
	s_or_b64 s[4:5], s[4:5], s[22:23]
	s_or_b64 exec, exec, s[10:11]
	v_mov_b32_e32 v9, s16
	s_and_saveexec_b64 s[10:11], s[4:5]
	s_cbranch_execnz .LBB30_1842
	s_branch .LBB30_1843
.LBB30_2045:
	s_or_saveexec_b64 s[10:11], s[10:11]
                                        ; implicit-def: $sgpr16
	s_xor_b64 exec, exec, s[10:11]
	s_cbranch_execz .LBB30_1947
.LBB30_2046:
	s_mov_b32 s16, 0x46000000
	v_add_f32_e64 v5, |v6|, s16
	v_and_b32_e32 v5, 0xff, v5
	v_cmp_ne_u32_e32 vcc, 0, v5
	s_andn2_b64 s[8:9], s[8:9], exec
	s_and_b64 s[18:19], vcc, exec
	s_mov_b32 s16, 0
	s_or_b64 s[8:9], s[8:9], s[18:19]
	s_or_b64 exec, exec, s[10:11]
	v_mov_b32_e32 v7, s16
	s_and_saveexec_b64 s[10:11], s[8:9]
	s_cbranch_execnz .LBB30_1948
	s_branch .LBB30_1949
.LBB30_2047:
	s_mov_b64 s[2:3], 0
	s_or_b64 s[14:15], s[14:15], exec
	s_trap 2
	s_branch .LBB30_1993
.LBB30_2048:
	s_or_saveexec_b64 s[8:9], s[8:9]
                                        ; implicit-def: $sgpr10
	s_xor_b64 exec, exec, s[8:9]
	s_cbranch_execz .LBB30_1959
.LBB30_2049:
	s_mov_b32 s10, 0x42800000
	v_add_f32_e64 v5, |v6|, s10
	v_and_b32_e32 v5, 0xff, v5
	v_cmp_ne_u32_e32 vcc, 0, v5
	s_andn2_b64 s[4:5], s[4:5], exec
	s_and_b64 s[16:17], vcc, exec
	s_mov_b32 s10, 0
	s_or_b64 s[4:5], s[4:5], s[16:17]
	s_or_b64 exec, exec, s[8:9]
	v_mov_b32_e32 v7, s10
	s_and_saveexec_b64 s[8:9], s[4:5]
	s_cbranch_execnz .LBB30_1960
	s_branch .LBB30_1961
	.section	.rodata,"a",@progbits
	.p2align	6, 0x0
	.amdhsa_kernel _ZN2at6native32elementwise_kernel_manual_unrollILi128ELi4EZNS0_15gpu_kernel_implIZZZNS0_12_GLOBAL__N_117hardshrink_kernelERNS_18TensorIteratorBaseERKN3c106ScalarEENKUlvE_clEvENKUlvE2_clEvEUlNS6_8BFloat16EE_EEvS5_RKT_EUlibE_EEviT1_
		.amdhsa_group_segment_fixed_size 0
		.amdhsa_private_segment_fixed_size 0
		.amdhsa_kernarg_size 40
		.amdhsa_user_sgpr_count 6
		.amdhsa_user_sgpr_private_segment_buffer 1
		.amdhsa_user_sgpr_dispatch_ptr 0
		.amdhsa_user_sgpr_queue_ptr 0
		.amdhsa_user_sgpr_kernarg_segment_ptr 1
		.amdhsa_user_sgpr_dispatch_id 0
		.amdhsa_user_sgpr_flat_scratch_init 0
		.amdhsa_user_sgpr_kernarg_preload_length 0
		.amdhsa_user_sgpr_kernarg_preload_offset 0
		.amdhsa_user_sgpr_private_segment_size 0
		.amdhsa_uses_dynamic_stack 0
		.amdhsa_system_sgpr_private_segment_wavefront_offset 0
		.amdhsa_system_sgpr_workgroup_id_x 1
		.amdhsa_system_sgpr_workgroup_id_y 0
		.amdhsa_system_sgpr_workgroup_id_z 0
		.amdhsa_system_sgpr_workgroup_info 0
		.amdhsa_system_vgpr_workitem_id 0
		.amdhsa_next_free_vgpr 12
		.amdhsa_next_free_sgpr 46
		.amdhsa_accum_offset 12
		.amdhsa_reserve_vcc 1
		.amdhsa_reserve_flat_scratch 0
		.amdhsa_float_round_mode_32 0
		.amdhsa_float_round_mode_16_64 0
		.amdhsa_float_denorm_mode_32 3
		.amdhsa_float_denorm_mode_16_64 3
		.amdhsa_dx10_clamp 1
		.amdhsa_ieee_mode 1
		.amdhsa_fp16_overflow 0
		.amdhsa_tg_split 0
		.amdhsa_exception_fp_ieee_invalid_op 0
		.amdhsa_exception_fp_denorm_src 0
		.amdhsa_exception_fp_ieee_div_zero 0
		.amdhsa_exception_fp_ieee_overflow 0
		.amdhsa_exception_fp_ieee_underflow 0
		.amdhsa_exception_fp_ieee_inexact 0
		.amdhsa_exception_int_div_zero 0
	.end_amdhsa_kernel
	.section	.text._ZN2at6native32elementwise_kernel_manual_unrollILi128ELi4EZNS0_15gpu_kernel_implIZZZNS0_12_GLOBAL__N_117hardshrink_kernelERNS_18TensorIteratorBaseERKN3c106ScalarEENKUlvE_clEvENKUlvE2_clEvEUlNS6_8BFloat16EE_EEvS5_RKT_EUlibE_EEviT1_,"axG",@progbits,_ZN2at6native32elementwise_kernel_manual_unrollILi128ELi4EZNS0_15gpu_kernel_implIZZZNS0_12_GLOBAL__N_117hardshrink_kernelERNS_18TensorIteratorBaseERKN3c106ScalarEENKUlvE_clEvENKUlvE2_clEvEUlNS6_8BFloat16EE_EEvS5_RKT_EUlibE_EEviT1_,comdat
.Lfunc_end30:
	.size	_ZN2at6native32elementwise_kernel_manual_unrollILi128ELi4EZNS0_15gpu_kernel_implIZZZNS0_12_GLOBAL__N_117hardshrink_kernelERNS_18TensorIteratorBaseERKN3c106ScalarEENKUlvE_clEvENKUlvE2_clEvEUlNS6_8BFloat16EE_EEvS5_RKT_EUlibE_EEviT1_, .Lfunc_end30-_ZN2at6native32elementwise_kernel_manual_unrollILi128ELi4EZNS0_15gpu_kernel_implIZZZNS0_12_GLOBAL__N_117hardshrink_kernelERNS_18TensorIteratorBaseERKN3c106ScalarEENKUlvE_clEvENKUlvE2_clEvEUlNS6_8BFloat16EE_EEvS5_RKT_EUlibE_EEviT1_
                                        ; -- End function
	.section	.AMDGPU.csdata,"",@progbits
; Kernel info:
; codeLenInByte = 41256
; NumSgprs: 50
; NumVgprs: 12
; NumAgprs: 0
; TotalNumVgprs: 12
; ScratchSize: 0
; MemoryBound: 0
; FloatMode: 240
; IeeeMode: 1
; LDSByteSize: 0 bytes/workgroup (compile time only)
; SGPRBlocks: 6
; VGPRBlocks: 1
; NumSGPRsForWavesPerEU: 50
; NumVGPRsForWavesPerEU: 12
; AccumOffset: 12
; Occupancy: 8
; WaveLimiterHint : 0
; COMPUTE_PGM_RSRC2:SCRATCH_EN: 0
; COMPUTE_PGM_RSRC2:USER_SGPR: 6
; COMPUTE_PGM_RSRC2:TRAP_HANDLER: 0
; COMPUTE_PGM_RSRC2:TGID_X_EN: 1
; COMPUTE_PGM_RSRC2:TGID_Y_EN: 0
; COMPUTE_PGM_RSRC2:TGID_Z_EN: 0
; COMPUTE_PGM_RSRC2:TIDIG_COMP_CNT: 0
; COMPUTE_PGM_RSRC3_GFX90A:ACCUM_OFFSET: 2
; COMPUTE_PGM_RSRC3_GFX90A:TG_SPLIT: 0
	.section	.text._ZN2at6native32elementwise_kernel_manual_unrollILi128ELi4EZNS0_15gpu_kernel_implIZZZNS0_12_GLOBAL__N_117hardshrink_kernelERNS_18TensorIteratorBaseERKN3c106ScalarEENKUlvE_clEvENKUlvE2_clEvEUlNS6_8BFloat16EE_EEvS5_RKT_EUlibE0_EEviT1_,"axG",@progbits,_ZN2at6native32elementwise_kernel_manual_unrollILi128ELi4EZNS0_15gpu_kernel_implIZZZNS0_12_GLOBAL__N_117hardshrink_kernelERNS_18TensorIteratorBaseERKN3c106ScalarEENKUlvE_clEvENKUlvE2_clEvEUlNS6_8BFloat16EE_EEvS5_RKT_EUlibE0_EEviT1_,comdat
	.globl	_ZN2at6native32elementwise_kernel_manual_unrollILi128ELi4EZNS0_15gpu_kernel_implIZZZNS0_12_GLOBAL__N_117hardshrink_kernelERNS_18TensorIteratorBaseERKN3c106ScalarEENKUlvE_clEvENKUlvE2_clEvEUlNS6_8BFloat16EE_EEvS5_RKT_EUlibE0_EEviT1_ ; -- Begin function _ZN2at6native32elementwise_kernel_manual_unrollILi128ELi4EZNS0_15gpu_kernel_implIZZZNS0_12_GLOBAL__N_117hardshrink_kernelERNS_18TensorIteratorBaseERKN3c106ScalarEENKUlvE_clEvENKUlvE2_clEvEUlNS6_8BFloat16EE_EEvS5_RKT_EUlibE0_EEviT1_
	.p2align	8
	.type	_ZN2at6native32elementwise_kernel_manual_unrollILi128ELi4EZNS0_15gpu_kernel_implIZZZNS0_12_GLOBAL__N_117hardshrink_kernelERNS_18TensorIteratorBaseERKN3c106ScalarEENKUlvE_clEvENKUlvE2_clEvEUlNS6_8BFloat16EE_EEvS5_RKT_EUlibE0_EEviT1_,@function
_ZN2at6native32elementwise_kernel_manual_unrollILi128ELi4EZNS0_15gpu_kernel_implIZZZNS0_12_GLOBAL__N_117hardshrink_kernelERNS_18TensorIteratorBaseERKN3c106ScalarEENKUlvE_clEvENKUlvE2_clEvEUlNS6_8BFloat16EE_EEvS5_RKT_EUlibE0_EEviT1_: ; @_ZN2at6native32elementwise_kernel_manual_unrollILi128ELi4EZNS0_15gpu_kernel_implIZZZNS0_12_GLOBAL__N_117hardshrink_kernelERNS_18TensorIteratorBaseERKN3c106ScalarEENKUlvE_clEvENKUlvE2_clEvEUlNS6_8BFloat16EE_EEvS5_RKT_EUlibE0_EEviT1_
; %bb.0:
	s_load_dword s72, s[4:5], 0x0
	s_load_dword s33, s[4:5], 0x8
	s_or_b32 s34, s4, 8
	v_lshl_or_b32 v8, s6, 9, v0
	v_or_b32_e32 v9, 0x180, v8
	s_mov_b32 s35, s5
	s_waitcnt lgkmcnt(0)
	s_add_i32 s74, s33, -1
	s_cmp_gt_u32 s74, 1
	v_cmp_le_i32_e32 vcc, s72, v9
	s_cselect_b64 s[40:41], -1, 0
	s_mov_b64 s[6:7], 0
	s_mov_b64 s[28:29], 0
	s_and_saveexec_b64 s[0:1], vcc
	s_xor_b64 s[42:43], exec, s[0:1]
	s_cbranch_execz .LBB31_1090
; %bb.1:
	s_cmp_lg_u32 s33, 0
	s_cselect_b64 s[50:51], -1, 0
	s_add_u32 s48, s34, 0xc4
	s_load_dwordx4 s[28:31], s[34:35], 0x4
	s_load_dword s0, s[4:5], 0x160
	s_load_dwordx4 s[24:27], s[34:35], 0x148
	s_load_dword s1, s[34:35], 0x158
	s_load_dwordx2 s[46:47], s[34:35], 0x14
	s_load_dwordx4 s[36:39], s[34:35], 0xc4
	s_addc_u32 s49, s35, 0
	s_min_u32 s73, s74, 15
	s_cmp_gt_u32 s33, 1
	s_cselect_b64 s[44:45], -1, 0
	s_waitcnt lgkmcnt(0)
	s_lshl_b32 s76, s1, 16
	s_lshr_b32 s75, s0, 16
	s_lshr_b32 s77, s0, 24
	s_xor_b32 s0, s76, 0x80000000
	s_bfe_u32 s1, s0, 0x10010
	s_add_i32 s0, s0, s1
	s_addk_i32 s0, 0x7fff
	s_and_b32 s0, s0, 0xffff0000
	v_mov_b32_e32 v0, 0x7fc00000
	v_mov_b32_e32 v1, s0
	v_cmp_o_f32_e64 vcc, s76, s76
	v_cndmask_b32_e32 v4, v0, v1, vcc
	v_cmp_gt_i32_e32 vcc, s72, v8
	s_mov_b64 s[2:3], -1
	s_mov_b64 s[60:61], 0
	s_mov_b64 s[54:55], 0
	;; [unrolled: 1-line block ×3, first 2 shown]
	s_and_saveexec_b64 s[56:57], vcc
	s_cbranch_execz .LBB31_267
; %bb.2:
	s_andn2_b64 vcc, exec, s[40:41]
	s_cbranch_vccnz .LBB31_8
; %bb.3:
	s_mov_b32 s52, 0
	s_andn2_b64 vcc, exec, s[50:51]
	v_mov_b32_e32 v2, 0
	v_mov_b32_e32 v0, 0
	s_cbranch_vccnz .LBB31_14
; %bb.4:
	s_add_i32 s62, s73, 1
	s_cmp_eq_u32 s74, 2
	s_cbranch_scc1 .LBB31_9
; %bb.5:
	s_and_b32 s52, s62, 28
	s_mov_b32 s53, 0
	v_mov_b32_e32 v0, 0
	s_mov_b64 s[54:55], s[34:35]
	s_mov_b64 s[58:59], s[48:49]
	v_mov_b32_e32 v3, v8
	v_mov_b32_e32 v2, 0
.LBB31_6:                               ; =>This Inner Loop Header: Depth=1
	s_load_dwordx8 s[16:23], s[54:55], 0x4
	s_load_dwordx4 s[0:3], s[54:55], 0x24
	s_load_dwordx8 s[8:15], s[58:59], 0x0
	s_add_u32 s54, s54, 48
	s_addc_u32 s55, s55, 0
	s_waitcnt lgkmcnt(0)
	v_mul_hi_u32 v1, s17, v3
	v_add_u32_e32 v1, v3, v1
	v_lshrrev_b32_e32 v1, s18, v1
	v_mul_lo_u32 v5, v1, s16
	v_mul_hi_u32 v6, s20, v1
	v_sub_u32_e32 v3, v3, v5
	v_add_u32_e32 v5, v1, v6
	v_lshrrev_b32_e32 v5, s21, v5
	v_mul_lo_u32 v7, v5, s19
	v_mul_hi_u32 v9, s23, v5
	v_sub_u32_e32 v1, v1, v7
	v_add_u32_e32 v7, v5, v9
	v_mul_lo_u32 v6, v3, s9
	v_mul_lo_u32 v3, v3, s8
	;; [unrolled: 1-line block ×4, first 2 shown]
	v_lshrrev_b32_e32 v7, s0, v7
	v_add3_u32 v0, v3, v0, v1
	v_mul_hi_u32 v3, s2, v7
	v_add_u32_e32 v3, v7, v3
	v_lshrrev_b32_e32 v3, s3, v3
	s_add_i32 s53, s53, 4
	v_add3_u32 v1, v6, v2, v9
	v_mul_lo_u32 v2, v7, s22
	v_mul_lo_u32 v6, v3, s1
	s_add_u32 s58, s58, 32
	v_sub_u32_e32 v2, v5, v2
	v_sub_u32_e32 v6, v7, v6
	s_addc_u32 s59, s59, 0
	v_mul_lo_u32 v5, v2, s12
	v_mul_lo_u32 v2, v2, s13
	;; [unrolled: 1-line block ×4, first 2 shown]
	s_cmp_lg_u32 s52, s53
	v_add3_u32 v2, v2, v1, v6
	v_add3_u32 v0, v5, v0, v7
	s_cbranch_scc1 .LBB31_6
; %bb.7:
	v_mov_b32_e32 v1, v2
	s_branch .LBB31_10
.LBB31_8:
                                        ; implicit-def: $vgpr2
                                        ; implicit-def: $vgpr0
	s_branch .LBB31_15
.LBB31_9:
	s_mov_b32 s53, s52
	v_pk_mov_b32 v[0:1], s[52:53], s[52:53] op_sel:[0,1]
                                        ; implicit-def: $vgpr2
	v_mov_b32_e32 v3, v8
.LBB31_10:
	s_and_b32 s8, s62, 3
	s_cmp_eq_u32 s8, 0
	s_cbranch_scc1 .LBB31_14
; %bb.11:
	s_lshl_b32 s0, s52, 3
	s_add_u32 s0, s0, s34
	s_addc_u32 s1, s35, 0
	s_add_u32 s0, s0, 0xc4
	s_addc_u32 s1, s1, 0
	s_mul_i32 s2, s52, 12
	s_add_u32 s2, s34, s2
	s_addc_u32 s3, s35, 0
.LBB31_12:                              ; =>This Inner Loop Header: Depth=1
	s_load_dwordx2 s[10:11], s[2:3], 0x4
	s_load_dword s9, s[2:3], 0xc
	s_load_dwordx2 s[12:13], s[0:1], 0x0
	v_mov_b32_e32 v2, v1
	s_add_u32 s2, s2, 12
	s_waitcnt lgkmcnt(0)
	v_mul_hi_u32 v1, s11, v3
	v_add_u32_e32 v1, v3, v1
	v_lshrrev_b32_e32 v1, s9, v1
	s_addc_u32 s3, s3, 0
	v_mul_lo_u32 v5, v1, s10
	s_add_u32 s0, s0, 8
	v_sub_u32_e32 v5, v3, v5
	v_mov_b32_e32 v3, v1
	s_addc_u32 s1, s1, 0
	s_add_i32 s8, s8, -1
	v_mad_u64_u32 v[6:7], s[10:11], v5, s13, v[2:3]
	v_mad_u64_u32 v[0:1], s[10:11], v5, s12, v[0:1]
	s_cmp_lg_u32 s8, 0
	v_mov_b32_e32 v1, v6
	s_cbranch_scc1 .LBB31_12
; %bb.13:
	v_mov_b32_e32 v2, v1
.LBB31_14:
	s_cbranch_execnz .LBB31_17
.LBB31_15:
	v_mul_hi_u32 v0, s29, v8
	v_add_u32_e32 v0, v8, v0
	v_lshrrev_b32_e32 v1, s30, v0
	v_mul_lo_u32 v0, v1, s28
	v_sub_u32_e32 v0, v8, v0
	v_mul_lo_u32 v2, v0, s37
	s_andn2_b64 vcc, exec, s[44:45]
	v_mul_lo_u32 v0, v0, s36
	s_cbranch_vccnz .LBB31_17
; %bb.16:
	v_mul_hi_u32 v3, s46, v1
	v_add_u32_e32 v3, v1, v3
	v_lshrrev_b32_e32 v3, s47, v3
	v_mul_lo_u32 v3, v3, s31
	v_sub_u32_e32 v3, v1, v3
	v_mad_u64_u32 v[0:1], s[0:1], v3, s38, v[0:1]
	v_mad_u64_u32 v[2:3], s[0:1], v3, s39, v[2:3]
.LBB31_17:
	v_mov_b32_e32 v1, s27
	v_add_co_u32_e32 v2, vcc, s26, v2
	v_addc_co_u32_e32 v3, vcc, 0, v1, vcc
	v_cmp_lt_i16_e64 s[0:1], s77, 11
	s_and_b64 vcc, exec, s[0:1]
	s_cbranch_vccnz .LBB31_24
; %bb.18:
	v_cmp_gt_i16_e64 s[0:1], s77, 25
	s_and_b64 vcc, exec, s[0:1]
	s_cbranch_vccz .LBB31_33
; %bb.19:
	v_cmp_gt_i16_e64 s[0:1], s77, 28
	s_and_b64 vcc, exec, s[0:1]
	s_cbranch_vccz .LBB31_36
; %bb.20:
	v_cmp_gt_i16_e64 s[0:1], s77, 43
	s_and_b64 vcc, exec, s[0:1]
	s_cbranch_vccz .LBB31_38
; %bb.21:
	v_cmp_gt_i16_e64 s[0:1], s77, 45
	s_and_b64 vcc, exec, s[0:1]
	s_cbranch_vccz .LBB31_40
; %bb.22:
	v_cmp_eq_u16_e64 s[0:1], s77, 46
	s_mov_b64 s[8:9], 0
	s_and_b64 vcc, exec, s[0:1]
	s_cbranch_vccz .LBB31_42
; %bb.23:
	global_load_dword v1, v[2:3], off
	s_mov_b64 s[0:1], -1
	s_mov_b64 s[2:3], 0
	s_branch .LBB31_44
.LBB31_24:
	s_mov_b64 s[2:3], 0
                                        ; implicit-def: $vgpr1
	s_mov_b64 s[0:1], 0
	s_cbranch_execnz .LBB31_217
.LBB31_25:
	s_andn2_b64 vcc, exec, s[0:1]
	s_cbranch_vccnz .LBB31_264
.LBB31_26:
	s_waitcnt vmcnt(0)
	v_lshlrev_b32_e32 v2, 16, v1
	v_cmp_nle_f32_e32 vcc, v4, v2
	v_cmp_nge_f32_e64 s[0:1], s76, v2
	s_or_b64 vcc, s[0:1], vcc
	v_cndmask_b32_e32 v2, 0, v1, vcc
	v_mov_b32_e32 v1, s25
	v_add_co_u32_e32 v0, vcc, s24, v0
	v_mov_b32_e32 v3, 11
	v_addc_co_u32_e32 v1, vcc, 0, v1, vcc
	v_cmp_lt_i16_sdwa s[0:1], s75, v3 src0_sel:BYTE_0 src1_sel:DWORD
	s_and_b64 vcc, exec, s[0:1]
	s_cbranch_vccnz .LBB31_34
; %bb.27:
	v_mov_b32_e32 v3, 25
	v_cmp_gt_i16_sdwa s[0:1], s75, v3 src0_sel:BYTE_0 src1_sel:DWORD
	s_and_b64 vcc, exec, s[0:1]
	s_cbranch_vccz .LBB31_37
; %bb.28:
	v_mov_b32_e32 v3, 28
	v_cmp_gt_i16_sdwa s[0:1], s75, v3 src0_sel:BYTE_0 src1_sel:DWORD
	s_and_b64 vcc, exec, s[0:1]
	s_cbranch_vccz .LBB31_39
	;; [unrolled: 5-line block ×4, first 2 shown]
; %bb.31:
	v_mov_b32_e32 v3, 46
	v_cmp_eq_u16_sdwa s[8:9], s75, v3 src0_sel:BYTE_0 src1_sel:DWORD
	s_mov_b64 s[10:11], 0
	s_mov_b64 s[0:1], -1
	s_and_b64 vcc, exec, s[8:9]
	s_mov_b64 s[8:9], 0
	s_cbranch_vccz .LBB31_48
; %bb.32:
	v_and_b32_e32 v3, 0xffff, v2
	global_store_dword v[0:1], v3, off
	s_mov_b64 s[8:9], -1
	s_mov_b64 s[0:1], 0
	s_branch .LBB31_48
.LBB31_33:
	s_mov_b64 s[2:3], 0
	s_mov_b64 s[0:1], 0
                                        ; implicit-def: $vgpr1
	s_cbranch_execnz .LBB31_182
	s_branch .LBB31_216
.LBB31_34:
	s_mov_b64 s[0:1], 0
	s_mov_b64 s[8:9], 0
	s_cbranch_execnz .LBB31_117
.LBB31_35:
	s_andn2_b64 vcc, exec, s[8:9]
	s_cbranch_vccnz .LBB31_265
	s_branch .LBB31_155
.LBB31_36:
	s_mov_b64 s[8:9], -1
	s_mov_b64 s[2:3], 0
	s_mov_b64 s[0:1], 0
                                        ; implicit-def: $vgpr1
	s_branch .LBB31_163
.LBB31_37:
	s_mov_b64 s[10:11], -1
	s_mov_b64 s[0:1], 0
	s_mov_b64 s[8:9], 0
	s_branch .LBB31_75
.LBB31_38:
	s_mov_b64 s[8:9], -1
	s_mov_b64 s[2:3], 0
	s_mov_b64 s[0:1], 0
                                        ; implicit-def: $vgpr1
	s_branch .LBB31_158
.LBB31_39:
	s_mov_b64 s[10:11], -1
	s_mov_b64 s[0:1], 0
	s_mov_b64 s[8:9], 0
	s_branch .LBB31_58
.LBB31_40:
	s_mov_b64 s[8:9], -1
	s_mov_b64 s[2:3], 0
	s_branch .LBB31_43
.LBB31_41:
	s_mov_b64 s[10:11], -1
	s_mov_b64 s[0:1], 0
	s_mov_b64 s[8:9], 0
	s_branch .LBB31_54
.LBB31_42:
	s_mov_b64 s[2:3], -1
.LBB31_43:
	s_mov_b64 s[0:1], 0
                                        ; implicit-def: $vgpr1
.LBB31_44:
	s_and_b64 vcc, exec, s[8:9]
	s_cbranch_vccz .LBB31_157
; %bb.45:
	v_cmp_eq_u16_e64 s[2:3], s77, 44
	s_and_b64 vcc, exec, s[2:3]
	s_cbranch_vccz .LBB31_156
; %bb.46:
	global_load_ubyte v1, v[2:3], off
	s_movk_i32 s2, 0xff
	v_mov_b32_e32 v5, 0x7f800001
	v_mov_b32_e32 v6, 0x400000
	;; [unrolled: 1-line block ×3, first 2 shown]
	s_mov_b64 s[0:1], -1
	s_waitcnt vmcnt(0)
	v_lshlrev_b32_e32 v9, 23, v1
	v_cmp_ne_u32_e32 vcc, s2, v1
	v_cndmask_b32_e32 v5, v5, v9, vcc
	v_cmp_ne_u32_e32 vcc, 0, v1
	v_cndmask_b32_e32 v1, v6, v5, vcc
	v_add_u32_e32 v5, 0x7fff, v1
	v_lshrrev_b32_e32 v5, 16, v5
	v_cmp_o_f32_e32 vcc, v1, v1
	v_cndmask_b32_e32 v1, v7, v5, vcc
	s_mov_b64 s[2:3], 0
	s_branch .LBB31_157
.LBB31_47:
	s_mov_b64 s[10:11], -1
	s_mov_b64 s[0:1], 0
	s_mov_b64 s[8:9], 0
.LBB31_48:
	s_and_b64 vcc, exec, s[10:11]
	s_cbranch_vccz .LBB31_53
; %bb.49:
	v_mov_b32_e32 v3, 44
	v_cmp_eq_u16_sdwa s[10:11], s75, v3 src0_sel:BYTE_0 src1_sel:DWORD
	s_mov_b64 s[0:1], -1
	s_and_b64 vcc, exec, s[10:11]
	s_cbranch_vccz .LBB31_53
; %bb.50:
	v_and_b32_e32 v5, 0xffff, v2
	v_bfe_u32 v3, v5, 7, 8
	s_movk_i32 s0, 0xff
	v_cmp_ne_u32_e32 vcc, s0, v3
	v_mov_b32_e32 v6, 0xff
	s_and_saveexec_b64 s[8:9], vcc
; %bb.51:
	v_lshlrev_b32_e32 v7, 16, v5
	s_mov_b32 s0, 0x3f0000
	v_lshrrev_b32_e32 v6, 7, v5
	v_and_b32_e32 v5, 64, v5
	v_and_or_b32 v3, v7, s0, v3
	v_cmp_ne_u32_e32 vcc, 0, v5
	v_cmp_ne_u32_e64 s[0:1], 0, v3
	s_and_b64 s[0:1], vcc, s[0:1]
	v_cndmask_b32_e64 v3, 0, 1, s[0:1]
	v_add_u32_e32 v6, v6, v3
; %bb.52:
	s_or_b64 exec, exec, s[8:9]
	s_mov_b64 s[8:9], -1
	s_mov_b64 s[0:1], 0
	global_store_byte v[0:1], v6, off
.LBB31_53:
	s_mov_b64 s[10:11], 0
.LBB31_54:
	s_and_b64 vcc, exec, s[10:11]
	s_cbranch_vccz .LBB31_57
; %bb.55:
	v_mov_b32_e32 v3, 29
	v_cmp_eq_u16_sdwa s[10:11], s75, v3 src0_sel:BYTE_0 src1_sel:DWORD
	s_mov_b64 s[0:1], -1
	s_and_b64 vcc, exec, s[10:11]
	s_cbranch_vccz .LBB31_57
; %bb.56:
	v_lshlrev_b32_e32 v3, 16, v2
	v_trunc_f32_e32 v3, v3
	v_mul_f32_e32 v5, 0x2f800000, v3
	v_floor_f32_e32 v5, v5
	v_fmac_f32_e32 v3, 0xcf800000, v5
	v_cvt_u32_f32_e32 v7, v5
	v_cvt_u32_f32_e32 v6, v3
	s_mov_b64 s[8:9], -1
	s_mov_b64 s[0:1], 0
	s_mov_b64 s[10:11], 0
	global_store_dwordx2 v[0:1], v[6:7], off
	s_branch .LBB31_58
.LBB31_57:
	s_mov_b64 s[10:11], 0
.LBB31_58:
	s_and_b64 vcc, exec, s[10:11]
	s_cbranch_vccz .LBB31_74
; %bb.59:
	v_mov_b32_e32 v3, 27
	v_cmp_lt_i16_sdwa s[10:11], s75, v3 src0_sel:BYTE_0 src1_sel:DWORD
	s_mov_b64 s[8:9], -1
	s_and_b64 vcc, exec, s[10:11]
	s_cbranch_vccnz .LBB31_65
; %bb.60:
	v_cmp_gt_i16_sdwa s[10:11], s75, v3 src0_sel:BYTE_0 src1_sel:DWORD
	s_and_b64 vcc, exec, s[10:11]
	s_cbranch_vccz .LBB31_62
; %bb.61:
	v_lshlrev_b32_e32 v3, 16, v2
	v_cvt_u32_f32_e32 v3, v3
	s_mov_b64 s[8:9], 0
	global_store_dword v[0:1], v3, off
.LBB31_62:
	s_andn2_b64 vcc, exec, s[8:9]
	s_cbranch_vccnz .LBB31_64
; %bb.63:
	v_lshlrev_b32_e32 v3, 16, v2
	v_cvt_u32_f32_e32 v3, v3
	global_store_short v[0:1], v3, off
.LBB31_64:
	s_mov_b64 s[8:9], 0
.LBB31_65:
	s_andn2_b64 vcc, exec, s[8:9]
	s_cbranch_vccnz .LBB31_73
; %bb.66:
	v_lshlrev_b32_e32 v6, 16, v2
	v_and_b32_e32 v5, 0x7fffffff, v6
	s_mov_b32 s8, 0x43800000
	v_cmp_gt_u32_e32 vcc, s8, v5
	v_mov_b32_e32 v7, 0x80
	s_and_saveexec_b64 s[8:9], vcc
	s_cbranch_execz .LBB31_72
; %bb.67:
	s_mov_b32 s10, 0x3bffffff
	v_and_b32_e32 v3, 0xffff, v2
	v_cmp_lt_u32_e32 vcc, s10, v5
	s_mov_b64 s[10:11], 0
                                        ; implicit-def: $vgpr5
	s_and_saveexec_b64 s[12:13], vcc
	s_xor_b64 s[12:13], exec, s[12:13]
	s_cbranch_execz .LBB31_309
; %bb.68:
	v_bfe_u32 v5, v3, 4, 1
	s_mov_b32 s14, 0x487ffff
	v_add3_u32 v5, v6, v5, s14
	s_mov_b64 s[10:11], exec
	v_lshrrev_b32_e32 v5, 20, v5
                                        ; implicit-def: $vgpr6
	s_or_saveexec_b64 s[12:13], s[12:13]
                                        ; implicit-def: $sgpr14
	s_xor_b64 exec, exec, s[12:13]
	s_cbranch_execnz .LBB31_310
.LBB31_69:
	s_or_b64 exec, exec, s[12:13]
	v_mov_b32_e32 v7, s14
	s_and_saveexec_b64 s[12:13], s[10:11]
.LBB31_70:
	v_lshrrev_b32_e32 v3, 8, v3
	s_movk_i32 s10, 0x80
	v_and_or_b32 v7, v3, s10, v5
.LBB31_71:
	s_or_b64 exec, exec, s[12:13]
.LBB31_72:
	s_or_b64 exec, exec, s[8:9]
	global_store_byte v[0:1], v7, off
.LBB31_73:
	s_mov_b64 s[8:9], -1
.LBB31_74:
	s_mov_b64 s[10:11], 0
.LBB31_75:
	s_and_b64 vcc, exec, s[10:11]
	s_cbranch_vccz .LBB31_116
; %bb.76:
	v_mov_b32_e32 v3, 22
	v_cmp_gt_i16_sdwa s[12:13], s75, v3 src0_sel:BYTE_0 src1_sel:DWORD
	s_mov_b64 s[10:11], -1
	s_and_b64 vcc, exec, s[12:13]
	s_cbranch_vccz .LBB31_108
; %bb.77:
	v_mov_b32_e32 v3, 24
	v_cmp_lt_i16_sdwa s[10:11], s75, v3 src0_sel:BYTE_0 src1_sel:DWORD
	s_mov_b64 s[8:9], -1
	s_and_b64 vcc, exec, s[10:11]
	s_cbranch_vccnz .LBB31_97
; %bb.78:
	v_cmp_gt_i16_sdwa s[10:11], s75, v3 src0_sel:BYTE_0 src1_sel:DWORD
	s_and_b64 vcc, exec, s[10:11]
	s_cbranch_vccz .LBB31_86
; %bb.79:
	v_lshlrev_b32_e32 v6, 16, v2
	v_and_b32_e32 v5, 0x7fffffff, v6
	s_mov_b32 s8, 0x47800000
	v_cmp_gt_u32_e32 vcc, s8, v5
	v_mov_b32_e32 v7, 0x80
	s_and_saveexec_b64 s[8:9], vcc
	s_cbranch_execz .LBB31_85
; %bb.80:
	s_mov_b32 s10, 0x37ffffff
	v_and_b32_e32 v3, 0xffff, v2
	v_cmp_lt_u32_e32 vcc, s10, v5
	s_mov_b64 s[10:11], 0
                                        ; implicit-def: $vgpr5
	s_and_saveexec_b64 s[12:13], vcc
	s_xor_b64 s[12:13], exec, s[12:13]
	s_cbranch_execz .LBB31_313
; %bb.81:
	v_bfe_u32 v5, v3, 5, 1
	s_mov_b32 s14, 0x88fffff
	v_add3_u32 v5, v6, v5, s14
	s_mov_b64 s[10:11], exec
	v_lshrrev_b32_e32 v5, 21, v5
                                        ; implicit-def: $vgpr6
	s_or_saveexec_b64 s[12:13], s[12:13]
                                        ; implicit-def: $sgpr14
	s_xor_b64 exec, exec, s[12:13]
	s_cbranch_execnz .LBB31_314
.LBB31_82:
	s_or_b64 exec, exec, s[12:13]
	v_mov_b32_e32 v7, s14
	s_and_saveexec_b64 s[12:13], s[10:11]
.LBB31_83:
	v_lshrrev_b32_e32 v3, 8, v3
	s_movk_i32 s10, 0x80
	v_and_or_b32 v7, v3, s10, v5
.LBB31_84:
	s_or_b64 exec, exec, s[12:13]
.LBB31_85:
	s_or_b64 exec, exec, s[8:9]
	s_mov_b64 s[8:9], 0
	global_store_byte v[0:1], v7, off
.LBB31_86:
	s_and_b64 vcc, exec, s[8:9]
	s_cbranch_vccz .LBB31_96
; %bb.87:
	v_lshlrev_b32_e32 v6, 16, v2
	v_and_b32_e32 v7, 0x7fffffff, v6
	s_mov_b32 s8, 0x43f00000
	v_and_b32_e32 v3, 0xffff, v2
	v_cmp_gt_u32_e32 vcc, s8, v7
                                        ; implicit-def: $vgpr5
	s_and_saveexec_b64 s[8:9], vcc
	s_xor_b64 s[8:9], exec, s[8:9]
	s_cbranch_execz .LBB31_93
; %bb.88:
	s_mov_b32 s10, 0x3c7fffff
	v_cmp_lt_u32_e32 vcc, s10, v7
                                        ; implicit-def: $vgpr5
	s_and_saveexec_b64 s[10:11], vcc
	s_xor_b64 s[10:11], exec, s[10:11]
; %bb.89:
	v_bfe_u32 v5, v3, 4, 1
	s_mov_b32 s12, 0x407ffff
	v_add3_u32 v5, v6, v5, s12
	v_lshrrev_b32_e32 v6, 20, v5
	v_and_b32_e32 v5, 0xff00000, v5
	s_mov_b32 s12, 0x7f00000
	v_mov_b32_e32 v7, 0x7e
	v_cmp_ne_u32_e32 vcc, s12, v5
	v_cndmask_b32_e32 v5, v7, v6, vcc
                                        ; implicit-def: $vgpr6
; %bb.90:
	s_andn2_saveexec_b64 s[10:11], s[10:11]
; %bb.91:
	s_mov_b32 s12, 0x46800000
	v_add_f32_e64 v5, |v6|, s12
; %bb.92:
	s_or_b64 exec, exec, s[10:11]
                                        ; implicit-def: $vgpr7
.LBB31_93:
	s_andn2_saveexec_b64 s[8:9], s[8:9]
; %bb.94:
	s_mov_b32 s10, 0x7f800000
	v_mov_b32_e32 v5, 0x7e
	v_mov_b32_e32 v6, 0x7f
	v_cmp_lt_u32_e32 vcc, s10, v7
	v_cndmask_b32_e32 v5, v5, v6, vcc
; %bb.95:
	s_or_b64 exec, exec, s[8:9]
	v_lshrrev_b32_e32 v3, 8, v3
	s_movk_i32 s8, 0x80
	v_and_or_b32 v3, v3, s8, v5
	global_store_byte v[0:1], v3, off
.LBB31_96:
	s_mov_b64 s[8:9], 0
.LBB31_97:
	s_andn2_b64 vcc, exec, s[8:9]
	s_cbranch_vccnz .LBB31_107
; %bb.98:
	v_lshlrev_b32_e32 v6, 16, v2
	v_and_b32_e32 v7, 0x7fffffff, v6
	s_mov_b32 s8, 0x47800000
	v_and_b32_e32 v3, 0xffff, v2
	v_cmp_gt_u32_e32 vcc, s8, v7
                                        ; implicit-def: $vgpr5
	s_and_saveexec_b64 s[8:9], vcc
	s_xor_b64 s[8:9], exec, s[8:9]
	s_cbranch_execz .LBB31_104
; %bb.99:
	s_mov_b32 s10, 0x387fffff
	v_cmp_lt_u32_e32 vcc, s10, v7
                                        ; implicit-def: $vgpr5
	s_and_saveexec_b64 s[10:11], vcc
	s_xor_b64 s[10:11], exec, s[10:11]
; %bb.100:
	v_bfe_u32 v5, v3, 5, 1
	s_mov_b32 s12, 0x80fffff
	v_add3_u32 v5, v6, v5, s12
	v_lshrrev_b32_e32 v5, 21, v5
                                        ; implicit-def: $vgpr6
; %bb.101:
	s_andn2_saveexec_b64 s[10:11], s[10:11]
; %bb.102:
	s_mov_b32 s12, 0x43000000
	v_add_f32_e64 v5, |v6|, s12
; %bb.103:
	s_or_b64 exec, exec, s[10:11]
                                        ; implicit-def: $vgpr7
.LBB31_104:
	s_andn2_saveexec_b64 s[8:9], s[8:9]
; %bb.105:
	s_mov_b32 s10, 0x7f800000
	v_mov_b32_e32 v5, 0x7c
	v_mov_b32_e32 v6, 0x7f
	v_cmp_lt_u32_e32 vcc, s10, v7
	v_cndmask_b32_e32 v5, v5, v6, vcc
; %bb.106:
	s_or_b64 exec, exec, s[8:9]
	v_lshrrev_b32_e32 v3, 8, v3
	s_movk_i32 s8, 0x80
	v_and_or_b32 v3, v3, s8, v5
	global_store_byte v[0:1], v3, off
.LBB31_107:
	s_mov_b64 s[10:11], 0
	s_mov_b64 s[8:9], -1
.LBB31_108:
	s_andn2_b64 vcc, exec, s[10:11]
	s_cbranch_vccnz .LBB31_116
; %bb.109:
	v_mov_b32_e32 v3, 14
	v_cmp_gt_i16_sdwa s[12:13], s75, v3 src0_sel:BYTE_0 src1_sel:DWORD
	s_mov_b64 s[10:11], -1
	s_and_b64 vcc, exec, s[12:13]
	s_cbranch_vccz .LBB31_113
; %bb.110:
	v_mov_b32_e32 v3, 15
	v_cmp_eq_u16_sdwa s[10:11], s75, v3 src0_sel:BYTE_0 src1_sel:DWORD
	s_mov_b64 s[0:1], -1
	s_and_b64 vcc, exec, s[10:11]
	s_cbranch_vccz .LBB31_112
; %bb.111:
	global_store_short v[0:1], v2, off
	s_mov_b64 s[8:9], -1
	s_mov_b64 s[0:1], 0
.LBB31_112:
	s_mov_b64 s[10:11], 0
.LBB31_113:
	s_and_b64 vcc, exec, s[10:11]
	s_cbranch_vccz .LBB31_116
; %bb.114:
	v_mov_b32_e32 v3, 11
	v_cmp_eq_u16_sdwa s[10:11], s75, v3 src0_sel:BYTE_0 src1_sel:DWORD
	s_mov_b64 s[0:1], -1
	s_and_b64 vcc, exec, s[10:11]
	s_cbranch_vccz .LBB31_116
; %bb.115:
	v_and_b32_e32 v3, 0x7fff, v2
	v_cmp_ne_u16_e32 vcc, 0, v3
	v_cndmask_b32_e64 v3, 0, 1, vcc
	s_mov_b64 s[8:9], -1
	s_mov_b64 s[0:1], 0
	global_store_byte v[0:1], v3, off
.LBB31_116:
	s_branch .LBB31_35
.LBB31_117:
	v_mov_b32_e32 v3, 5
	v_cmp_lt_i16_sdwa s[10:11], s75, v3 src0_sel:BYTE_0 src1_sel:DWORD
	s_mov_b64 s[8:9], -1
	s_and_b64 vcc, exec, s[10:11]
	s_cbranch_vccnz .LBB31_138
; %bb.118:
	v_mov_b32_e32 v3, 8
	v_cmp_lt_i16_sdwa s[10:11], s75, v3 src0_sel:BYTE_0 src1_sel:DWORD
	s_and_b64 vcc, exec, s[10:11]
	s_cbranch_vccnz .LBB31_128
; %bb.119:
	v_mov_b32_e32 v3, 9
	v_cmp_lt_i16_sdwa s[10:11], s75, v3 src0_sel:BYTE_0 src1_sel:DWORD
	s_and_b64 vcc, exec, s[10:11]
	s_cbranch_vccnz .LBB31_125
; %bb.120:
	v_cmp_gt_i16_sdwa s[10:11], s75, v3 src0_sel:BYTE_0 src1_sel:DWORD
	s_and_b64 vcc, exec, s[10:11]
	s_cbranch_vccz .LBB31_122
; %bb.121:
	v_lshlrev_b32_e32 v3, 16, v2
	v_mov_b32_e32 v12, 0
	v_cvt_f64_f32_e32 v[10:11], v3
	v_mov_b32_e32 v13, v12
	global_store_dwordx4 v[0:1], v[10:13], off
	s_mov_b64 s[8:9], 0
.LBB31_122:
	s_andn2_b64 vcc, exec, s[8:9]
	s_cbranch_vccnz .LBB31_124
; %bb.123:
	v_lshlrev_b32_e32 v6, 16, v2
	v_mov_b32_e32 v7, 0
	global_store_dwordx2 v[0:1], v[6:7], off
.LBB31_124:
	s_mov_b64 s[8:9], 0
.LBB31_125:
	s_andn2_b64 vcc, exec, s[8:9]
	s_cbranch_vccnz .LBB31_127
; %bb.126:
	v_lshlrev_b32_e32 v3, 16, v2
	v_cvt_f16_f32_e32 v3, v3
	global_store_dword v[0:1], v3, off
.LBB31_127:
	s_mov_b64 s[8:9], 0
.LBB31_128:
	s_andn2_b64 vcc, exec, s[8:9]
	s_cbranch_vccnz .LBB31_137
; %bb.129:
	v_mov_b32_e32 v3, 6
	v_cmp_lt_i16_sdwa s[10:11], s75, v3 src0_sel:BYTE_0 src1_sel:DWORD
	s_mov_b64 s[8:9], -1
	s_and_b64 vcc, exec, s[10:11]
	s_cbranch_vccnz .LBB31_135
; %bb.130:
	v_cmp_gt_i16_sdwa s[10:11], s75, v3 src0_sel:BYTE_0 src1_sel:DWORD
	s_and_b64 vcc, exec, s[10:11]
	s_cbranch_vccz .LBB31_132
; %bb.131:
	v_lshlrev_b32_e32 v3, 16, v2
	v_cvt_f64_f32_e32 v[6:7], v3
	global_store_dwordx2 v[0:1], v[6:7], off
	s_mov_b64 s[8:9], 0
.LBB31_132:
	s_andn2_b64 vcc, exec, s[8:9]
	s_cbranch_vccnz .LBB31_134
; %bb.133:
	v_lshlrev_b32_e32 v3, 16, v2
	global_store_dword v[0:1], v3, off
.LBB31_134:
	s_mov_b64 s[8:9], 0
.LBB31_135:
	s_andn2_b64 vcc, exec, s[8:9]
	s_cbranch_vccnz .LBB31_137
; %bb.136:
	v_lshlrev_b32_e32 v3, 16, v2
	v_cvt_f16_f32_e32 v3, v3
	global_store_short v[0:1], v3, off
.LBB31_137:
	s_mov_b64 s[8:9], 0
.LBB31_138:
	s_andn2_b64 vcc, exec, s[8:9]
	s_cbranch_vccnz .LBB31_154
; %bb.139:
	v_mov_b32_e32 v3, 2
	v_cmp_lt_i16_sdwa s[10:11], s75, v3 src0_sel:BYTE_0 src1_sel:DWORD
	s_mov_b64 s[8:9], -1
	s_and_b64 vcc, exec, s[10:11]
	s_cbranch_vccnz .LBB31_149
; %bb.140:
	v_mov_b32_e32 v3, 3
	v_cmp_lt_i16_sdwa s[10:11], s75, v3 src0_sel:BYTE_0 src1_sel:DWORD
	s_and_b64 vcc, exec, s[10:11]
	s_cbranch_vccnz .LBB31_146
; %bb.141:
	v_cmp_gt_i16_sdwa s[10:11], s75, v3 src0_sel:BYTE_0 src1_sel:DWORD
	s_and_b64 vcc, exec, s[10:11]
	s_cbranch_vccz .LBB31_143
; %bb.142:
	v_lshlrev_b32_e32 v3, 16, v2
	v_trunc_f32_e32 v3, v3
	s_mov_b32 s8, 0x2f800000
	v_mul_f32_e64 v5, |v3|, s8
	v_floor_f32_e32 v5, v5
	s_mov_b32 s8, 0xcf800000
	v_cvt_u32_f32_e32 v6, v5
	v_fma_f32 v5, v5, s8, |v3|
	v_cvt_u32_f32_e32 v5, v5
	v_ashrrev_i32_e32 v3, 31, v3
	v_xor_b32_e32 v7, v6, v3
	s_mov_b64 s[8:9], 0
	v_xor_b32_e32 v5, v5, v3
	v_sub_co_u32_e32 v6, vcc, v5, v3
	v_subb_co_u32_e32 v7, vcc, v7, v3, vcc
	global_store_dwordx2 v[0:1], v[6:7], off
.LBB31_143:
	s_andn2_b64 vcc, exec, s[8:9]
	s_cbranch_vccnz .LBB31_145
; %bb.144:
	v_lshlrev_b32_e32 v3, 16, v2
	v_cvt_i32_f32_e32 v3, v3
	global_store_dword v[0:1], v3, off
.LBB31_145:
	s_mov_b64 s[8:9], 0
.LBB31_146:
	s_andn2_b64 vcc, exec, s[8:9]
	s_cbranch_vccnz .LBB31_148
; %bb.147:
	v_lshlrev_b32_e32 v3, 16, v2
	v_cvt_i32_f32_e32 v3, v3
	global_store_short v[0:1], v3, off
.LBB31_148:
	s_mov_b64 s[8:9], 0
.LBB31_149:
	s_andn2_b64 vcc, exec, s[8:9]
	s_cbranch_vccnz .LBB31_154
; %bb.150:
	v_mov_b32_e32 v3, 0
	v_cmp_gt_i16_sdwa s[10:11], s75, v3 src0_sel:BYTE_0 src1_sel:DWORD
	s_mov_b64 s[8:9], -1
	s_and_b64 vcc, exec, s[10:11]
	s_cbranch_vccz .LBB31_152
; %bb.151:
	v_lshlrev_b32_e32 v3, 16, v2
	v_cvt_i32_f32_e32 v3, v3
	s_mov_b64 s[8:9], 0
	global_store_byte v[0:1], v3, off
.LBB31_152:
	s_andn2_b64 vcc, exec, s[8:9]
	s_cbranch_vccnz .LBB31_154
; %bb.153:
	v_lshlrev_b32_e32 v2, 16, v2
	v_trunc_f32_e32 v2, v2
	s_mov_b32 s8, 0x2f800000
	v_mul_f32_e64 v3, |v2|, s8
	v_floor_f32_e32 v3, v3
	s_mov_b32 s8, 0xcf800000
	v_fma_f32 v3, v3, s8, |v2|
	v_cvt_u32_f32_e32 v3, v3
	v_ashrrev_i32_e32 v2, 31, v2
	v_xor_b32_e32 v3, v3, v2
	v_sub_u32_e32 v2, v3, v2
	global_store_byte v[0:1], v2, off
.LBB31_154:
.LBB31_155:
	v_add_u32_e32 v8, 0x80, v8
	s_mov_b64 s[8:9], -1
	s_branch .LBB31_266
.LBB31_156:
	s_mov_b64 s[2:3], -1
                                        ; implicit-def: $vgpr1
.LBB31_157:
	s_mov_b64 s[8:9], 0
.LBB31_158:
	s_and_b64 vcc, exec, s[8:9]
	s_cbranch_vccz .LBB31_162
; %bb.159:
	v_cmp_eq_u16_e64 s[2:3], s77, 29
	s_and_b64 vcc, exec, s[2:3]
	s_cbranch_vccz .LBB31_161
; %bb.160:
	global_load_dwordx2 v[6:7], v[2:3], off
	s_movk_i32 s2, 0x7fff
	s_mov_b64 s[0:1], -1
	s_mov_b64 s[8:9], 0
	s_waitcnt vmcnt(0)
	v_ffbh_u32_e32 v1, v7
	v_min_u32_e32 v1, 32, v1
	v_lshlrev_b64 v[6:7], v1, v[6:7]
	v_min_u32_e32 v5, 1, v6
	v_or_b32_e32 v5, v7, v5
	v_cvt_f32_u32_e32 v5, v5
	v_sub_u32_e32 v1, 32, v1
	v_ldexp_f32 v1, v5, v1
	v_bfe_u32 v5, v1, 16, 1
	v_add3_u32 v1, v1, v5, s2
	v_lshrrev_b32_e32 v1, 16, v1
	s_mov_b64 s[2:3], 0
	s_branch .LBB31_163
.LBB31_161:
	s_mov_b64 s[2:3], -1
                                        ; implicit-def: $vgpr1
.LBB31_162:
	s_mov_b64 s[8:9], 0
.LBB31_163:
	s_and_b64 vcc, exec, s[8:9]
	s_cbranch_vccz .LBB31_181
; %bb.164:
	v_cmp_lt_i16_e64 s[0:1], s77, 27
	s_and_b64 vcc, exec, s[0:1]
	s_cbranch_vccnz .LBB31_167
; %bb.165:
	v_cmp_gt_i16_e64 s[0:1], s77, 27
	s_and_b64 vcc, exec, s[0:1]
	s_cbranch_vccz .LBB31_168
; %bb.166:
	global_load_dword v1, v[2:3], off
	s_movk_i32 s0, 0x7fff
	s_waitcnt vmcnt(0)
	v_cvt_f32_u32_e32 v1, v1
	v_bfe_u32 v5, v1, 16, 1
	v_add3_u32 v1, v1, v5, s0
	v_lshrrev_b32_e32 v1, 16, v1
	s_mov_b64 s[0:1], 0
	s_branch .LBB31_169
.LBB31_167:
	s_mov_b64 s[0:1], -1
                                        ; implicit-def: $vgpr1
	s_branch .LBB31_172
.LBB31_168:
	s_mov_b64 s[0:1], -1
                                        ; implicit-def: $vgpr1
.LBB31_169:
	s_andn2_b64 vcc, exec, s[0:1]
	s_cbranch_vccnz .LBB31_171
; %bb.170:
	global_load_ushort v1, v[2:3], off
	s_movk_i32 s0, 0x7fff
	s_waitcnt vmcnt(0)
	v_cvt_f32_u32_e32 v1, v1
	v_bfe_u32 v5, v1, 16, 1
	v_add3_u32 v1, v1, v5, s0
	v_lshrrev_b32_e32 v1, 16, v1
.LBB31_171:
	s_mov_b64 s[0:1], 0
.LBB31_172:
	s_andn2_b64 vcc, exec, s[0:1]
	s_cbranch_vccnz .LBB31_180
; %bb.173:
	global_load_ubyte v1, v[2:3], off
	s_movk_i32 s0, 0x7f
                                        ; implicit-def: $sgpr12
	s_waitcnt vmcnt(0)
	v_cmp_lt_i16_e32 vcc, s0, v1
	s_mov_b64 s[0:1], 0
	s_and_saveexec_b64 s[8:9], vcc
	s_xor_b64 s[8:9], exec, s[8:9]
	s_cbranch_execz .LBB31_193
; %bb.174:
	s_movk_i32 s0, 0x80
	v_cmp_eq_u16_e32 vcc, s0, v1
	s_mov_b64 s[0:1], -1
                                        ; implicit-def: $sgpr12
	s_and_saveexec_b64 s[10:11], vcc
; %bb.175:
	s_mov_b32 s12, 0x7f800001
	s_xor_b64 s[0:1], exec, -1
; %bb.176:
	s_or_b64 exec, exec, s[10:11]
	s_and_b64 s[0:1], s[0:1], exec
	s_or_saveexec_b64 s[8:9], s[8:9]
	v_mov_b32_e32 v5, s12
	s_xor_b64 exec, exec, s[8:9]
	s_cbranch_execnz .LBB31_194
.LBB31_177:
	s_or_b64 exec, exec, s[8:9]
	s_and_saveexec_b64 s[8:9], s[0:1]
	s_cbranch_execz .LBB31_179
.LBB31_178:
	v_lshlrev_b32_e32 v5, 24, v1
	v_and_b32_e32 v1, 0xffff, v1
	v_and_b32_e32 v6, 7, v1
	v_ffbh_u32_e32 v9, v6
	v_min_u32_e32 v9, 32, v9
	v_subrev_u32_e32 v10, 28, v9
	v_bfe_u32 v7, v1, 3, 4
	v_lshlrev_b32_e32 v1, v10, v1
	v_sub_u32_e32 v9, 29, v9
	v_and_b32_e32 v1, 7, v1
	v_cmp_eq_u32_e32 vcc, 0, v7
	v_cndmask_b32_e32 v7, v7, v9, vcc
	v_cndmask_b32_e32 v1, v6, v1, vcc
	v_mov_b32_e32 v6, 0x3b800000
	v_lshlrev_b32_e32 v1, 20, v1
	v_and_b32_e32 v5, 0x80000000, v5
	v_lshl_add_u32 v6, v7, 23, v6
	v_or3_b32 v5, v5, v6, v1
.LBB31_179:
	s_or_b64 exec, exec, s[8:9]
	v_bfe_u32 v1, v5, 16, 1
	s_movk_i32 s0, 0x7fff
	v_add3_u32 v1, v5, v1, s0
	v_lshrrev_b32_e32 v1, 16, v1
	v_mov_b32_e32 v6, 0x7fc0
	v_cmp_o_f32_e32 vcc, v5, v5
	v_cndmask_b32_e32 v1, v6, v1, vcc
.LBB31_180:
	s_mov_b64 s[0:1], -1
.LBB31_181:
	s_branch .LBB31_216
.LBB31_182:
	v_cmp_gt_i16_e64 s[8:9], s77, 22
	s_and_b64 vcc, exec, s[8:9]
	s_cbranch_vccz .LBB31_192
; %bb.183:
	v_cmp_lt_i16_e64 s[0:1], s77, 24
	s_and_b64 vcc, exec, s[0:1]
	s_cbranch_vccnz .LBB31_195
; %bb.184:
	v_cmp_gt_i16_e64 s[0:1], s77, 24
	s_and_b64 vcc, exec, s[0:1]
	s_cbranch_vccz .LBB31_196
; %bb.185:
	global_load_ubyte v1, v[2:3], off
	s_movk_i32 s0, 0x7f
                                        ; implicit-def: $sgpr12
	s_waitcnt vmcnt(0)
	v_cmp_lt_i16_e32 vcc, s0, v1
	s_mov_b64 s[0:1], 0
	s_and_saveexec_b64 s[8:9], vcc
	s_xor_b64 s[8:9], exec, s[8:9]
	s_cbranch_execz .LBB31_208
; %bb.186:
	s_movk_i32 s0, 0x80
	v_cmp_eq_u16_e32 vcc, s0, v1
	s_mov_b64 s[0:1], -1
                                        ; implicit-def: $sgpr12
	s_and_saveexec_b64 s[10:11], vcc
; %bb.187:
	s_mov_b32 s12, 0x7f800001
	s_xor_b64 s[0:1], exec, -1
; %bb.188:
	s_or_b64 exec, exec, s[10:11]
	s_and_b64 s[0:1], s[0:1], exec
	s_or_saveexec_b64 s[8:9], s[8:9]
	v_mov_b32_e32 v5, s12
	s_xor_b64 exec, exec, s[8:9]
	s_cbranch_execnz .LBB31_209
.LBB31_189:
	s_or_b64 exec, exec, s[8:9]
	s_and_saveexec_b64 s[8:9], s[0:1]
	s_cbranch_execz .LBB31_191
.LBB31_190:
	v_lshlrev_b32_e32 v5, 24, v1
	v_and_b32_e32 v1, 0xffff, v1
	v_and_b32_e32 v6, 3, v1
	v_ffbh_u32_e32 v9, v6
	v_min_u32_e32 v9, 32, v9
	v_subrev_u32_e32 v10, 29, v9
	v_bfe_u32 v7, v1, 2, 5
	v_lshlrev_b32_e32 v1, v10, v1
	v_sub_u32_e32 v9, 30, v9
	v_and_b32_e32 v1, 3, v1
	v_cmp_eq_u32_e32 vcc, 0, v7
	v_cndmask_b32_e32 v7, v7, v9, vcc
	v_cndmask_b32_e32 v1, v6, v1, vcc
	v_mov_b32_e32 v6, 0x37800000
	v_lshlrev_b32_e32 v1, 21, v1
	v_and_b32_e32 v5, 0x80000000, v5
	v_lshl_add_u32 v6, v7, 23, v6
	v_or3_b32 v5, v5, v6, v1
.LBB31_191:
	s_or_b64 exec, exec, s[8:9]
	v_bfe_u32 v1, v5, 16, 1
	s_movk_i32 s0, 0x7fff
	v_add3_u32 v1, v5, v1, s0
	v_lshrrev_b32_e32 v1, 16, v1
	v_mov_b32_e32 v6, 0x7fc0
	v_cmp_o_f32_e32 vcc, v5, v5
	v_cndmask_b32_e32 v1, v6, v1, vcc
	s_mov_b64 s[0:1], 0
	s_branch .LBB31_197
.LBB31_192:
	s_mov_b64 s[8:9], -1
                                        ; implicit-def: $vgpr1
	s_branch .LBB31_203
.LBB31_193:
	s_or_saveexec_b64 s[8:9], s[8:9]
	v_mov_b32_e32 v5, s12
	s_xor_b64 exec, exec, s[8:9]
	s_cbranch_execz .LBB31_177
.LBB31_194:
	v_cmp_ne_u16_e32 vcc, 0, v1
	s_andn2_b64 s[0:1], s[0:1], exec
	s_and_b64 s[10:11], vcc, exec
	v_mov_b32_e32 v5, 0
	s_or_b64 s[0:1], s[0:1], s[10:11]
	s_or_b64 exec, exec, s[8:9]
	s_and_saveexec_b64 s[8:9], s[0:1]
	s_cbranch_execnz .LBB31_178
	s_branch .LBB31_179
.LBB31_195:
	s_mov_b64 s[0:1], -1
                                        ; implicit-def: $vgpr1
	s_branch .LBB31_200
.LBB31_196:
	s_mov_b64 s[0:1], -1
                                        ; implicit-def: $vgpr1
.LBB31_197:
	s_and_b64 vcc, exec, s[0:1]
	s_cbranch_vccz .LBB31_199
; %bb.198:
	global_load_ubyte v1, v[2:3], off
	s_mov_b32 s0, 0x7f800000
	s_brev_b32 s1, 1
	s_movk_i32 s8, 0x7fff
	v_mov_b32_e32 v5, 0x7fc0
	s_waitcnt vmcnt(0)
	v_lshlrev_b32_e32 v1, 24, v1
	v_and_b32_e32 v6, 0x7f000000, v1
	v_ffbh_u32_e32 v7, v6
	v_min_u32_e32 v7, 32, v7
	v_sub_u32_e64 v7, v7, 4 clamp
	v_lshlrev_b32_e32 v10, v7, v6
	v_lshlrev_b32_e32 v7, 23, v7
	v_lshrrev_b32_e32 v10, 4, v10
	v_add_u32_e32 v9, 0x1000000, v6
	v_sub_u32_e32 v7, v10, v7
	v_ashrrev_i32_e32 v9, 8, v9
	v_add_u32_e32 v7, 0x3c000000, v7
	v_and_or_b32 v7, v9, s0, v7
	v_cmp_ne_u32_e32 vcc, 0, v6
	v_cndmask_b32_e32 v6, 0, v7, vcc
	v_and_or_b32 v1, v1, s1, v6
	v_bfe_u32 v6, v6, 16, 1
	v_add3_u32 v6, v1, v6, s8
	v_lshrrev_b32_e32 v6, 16, v6
	v_cmp_o_f32_e32 vcc, v1, v1
	v_cndmask_b32_e32 v1, v5, v6, vcc
.LBB31_199:
	s_mov_b64 s[0:1], 0
.LBB31_200:
	s_andn2_b64 vcc, exec, s[0:1]
	s_cbranch_vccnz .LBB31_202
; %bb.201:
	global_load_ubyte v1, v[2:3], off
	s_movk_i32 s0, 0x7f00
	s_brev_b32 s1, 16
	s_brev_b32 s8, 1
	s_movk_i32 s9, 0x7fff
	v_mov_b32_e32 v5, 0x7fc0
	s_waitcnt vmcnt(0)
	v_lshlrev_b16_e32 v6, 8, v1
	v_lshlrev_b32_e32 v1, 25, v1
	v_lshrrev_b32_e32 v7, 4, v1
	v_and_or_b32 v9, v6, s0, 0.5
	v_or_b32_e32 v7, 0x70000000, v7
	v_add_f32_e32 v9, -0.5, v9
	v_mul_f32_e32 v7, 0x7800000, v7
	v_cmp_gt_u32_e32 vcc, s1, v1
	v_bfe_i32 v6, v6, 0, 16
	v_cndmask_b32_e32 v1, v7, v9, vcc
	v_and_or_b32 v6, v6, s8, v1
	v_bfe_u32 v1, v1, 16, 1
	v_add3_u32 v1, v6, v1, s9
	v_lshrrev_b32_e32 v1, 16, v1
	v_cmp_o_f32_e32 vcc, v6, v6
	v_cndmask_b32_e32 v1, v5, v1, vcc
.LBB31_202:
	s_mov_b64 s[8:9], 0
	s_mov_b64 s[0:1], -1
.LBB31_203:
	s_andn2_b64 vcc, exec, s[8:9]
	s_cbranch_vccnz .LBB31_216
; %bb.204:
	v_cmp_gt_i16_e64 s[8:9], s77, 14
	s_and_b64 vcc, exec, s[8:9]
	s_cbranch_vccz .LBB31_207
; %bb.205:
	v_cmp_eq_u16_e64 s[2:3], s77, 15
	s_and_b64 vcc, exec, s[2:3]
	s_cbranch_vccz .LBB31_210
; %bb.206:
	global_load_ushort v1, v[2:3], off
	s_mov_b64 s[0:1], -1
	s_mov_b64 s[2:3], 0
	s_branch .LBB31_211
.LBB31_207:
	s_mov_b64 s[8:9], -1
                                        ; implicit-def: $vgpr1
	s_branch .LBB31_212
.LBB31_208:
	s_or_saveexec_b64 s[8:9], s[8:9]
	v_mov_b32_e32 v5, s12
	s_xor_b64 exec, exec, s[8:9]
	s_cbranch_execz .LBB31_189
.LBB31_209:
	v_cmp_ne_u16_e32 vcc, 0, v1
	s_andn2_b64 s[0:1], s[0:1], exec
	s_and_b64 s[10:11], vcc, exec
	v_mov_b32_e32 v5, 0
	s_or_b64 s[0:1], s[0:1], s[10:11]
	s_or_b64 exec, exec, s[8:9]
	s_and_saveexec_b64 s[8:9], s[0:1]
	s_cbranch_execnz .LBB31_190
	s_branch .LBB31_191
.LBB31_210:
	s_mov_b64 s[2:3], -1
                                        ; implicit-def: $vgpr1
.LBB31_211:
	s_mov_b64 s[8:9], 0
.LBB31_212:
	s_and_b64 vcc, exec, s[8:9]
	s_cbranch_vccz .LBB31_216
; %bb.213:
	v_cmp_eq_u16_e64 s[2:3], s77, 11
	s_and_b64 vcc, exec, s[2:3]
	s_cbranch_vccz .LBB31_215
; %bb.214:
	global_load_ubyte v1, v[2:3], off
	s_mov_b64 s[0:1], -1
	s_mov_b64 s[2:3], 0
	s_waitcnt vmcnt(0)
	v_cmp_ne_u16_e32 vcc, 0, v1
	v_cndmask_b32_e64 v1, 0, 1.0, vcc
	v_lshrrev_b32_e32 v1, 16, v1
	s_branch .LBB31_216
.LBB31_215:
	s_mov_b64 s[2:3], -1
                                        ; implicit-def: $vgpr1
.LBB31_216:
	s_branch .LBB31_25
.LBB31_217:
	v_cmp_lt_i16_e64 s[0:1], s77, 5
	s_and_b64 vcc, exec, s[0:1]
	s_cbranch_vccnz .LBB31_222
; %bb.218:
	v_cmp_lt_i16_e64 s[0:1], s77, 8
	s_and_b64 vcc, exec, s[0:1]
	s_cbranch_vccnz .LBB31_223
; %bb.219:
	;; [unrolled: 4-line block ×3, first 2 shown]
	v_cmp_gt_i16_e64 s[0:1], s77, 9
	s_and_b64 vcc, exec, s[0:1]
	s_cbranch_vccz .LBB31_225
; %bb.221:
	global_load_dwordx2 v[6:7], v[2:3], off
	s_movk_i32 s0, 0x7fff
	s_waitcnt vmcnt(1)
	v_mov_b32_e32 v1, 0x7fc0
	s_waitcnt vmcnt(0)
	v_cvt_f32_f64_e32 v5, v[6:7]
	v_bfe_u32 v6, v5, 16, 1
	v_add3_u32 v6, v5, v6, s0
	v_lshrrev_b32_e32 v6, 16, v6
	v_cmp_o_f32_e32 vcc, v5, v5
	v_cndmask_b32_e32 v1, v1, v6, vcc
	s_mov_b64 s[0:1], 0
	s_branch .LBB31_226
.LBB31_222:
                                        ; implicit-def: $vgpr1
	s_branch .LBB31_244
.LBB31_223:
	s_mov_b64 s[0:1], -1
                                        ; implicit-def: $vgpr1
	s_branch .LBB31_232
.LBB31_224:
	s_mov_b64 s[0:1], -1
                                        ; implicit-def: $vgpr1
	s_branch .LBB31_229
.LBB31_225:
	s_mov_b64 s[0:1], -1
                                        ; implicit-def: $vgpr1
.LBB31_226:
	s_andn2_b64 vcc, exec, s[0:1]
	s_cbranch_vccnz .LBB31_228
; %bb.227:
	global_load_dword v1, v[2:3], off
	s_movk_i32 s0, 0x7fff
	v_mov_b32_e32 v5, 0x7fc0
	s_waitcnt vmcnt(0)
	v_bfe_u32 v6, v1, 16, 1
	v_add3_u32 v6, v1, v6, s0
	v_lshrrev_b32_e32 v6, 16, v6
	v_cmp_o_f32_e32 vcc, v1, v1
	v_cndmask_b32_e32 v1, v5, v6, vcc
.LBB31_228:
	s_mov_b64 s[0:1], 0
.LBB31_229:
	s_andn2_b64 vcc, exec, s[0:1]
	s_cbranch_vccnz .LBB31_231
; %bb.230:
	global_load_dword v1, v[2:3], off
	s_movk_i32 s0, 0x7fff
	v_mov_b32_e32 v6, 0x7fc0
	s_waitcnt vmcnt(0)
	v_cvt_f32_f16_e32 v5, v1
	v_cmp_o_f16_e32 vcc, v1, v1
	v_bfe_u32 v7, v5, 16, 1
	v_add3_u32 v5, v5, v7, s0
	v_lshrrev_b32_e32 v5, 16, v5
	v_cndmask_b32_e32 v1, v6, v5, vcc
.LBB31_231:
	s_mov_b64 s[0:1], 0
.LBB31_232:
	s_andn2_b64 vcc, exec, s[0:1]
	s_cbranch_vccnz .LBB31_243
; %bb.233:
	v_cmp_lt_i16_e64 s[0:1], s77, 6
	s_and_b64 vcc, exec, s[0:1]
	s_cbranch_vccnz .LBB31_236
; %bb.234:
	v_cmp_gt_i16_e64 s[0:1], s77, 6
	s_and_b64 vcc, exec, s[0:1]
	s_cbranch_vccz .LBB31_237
; %bb.235:
	global_load_dwordx2 v[6:7], v[2:3], off
	s_movk_i32 s0, 0x7fff
	s_waitcnt vmcnt(1)
	v_mov_b32_e32 v1, 0x7fc0
	s_waitcnt vmcnt(0)
	v_cvt_f32_f64_e32 v5, v[6:7]
	v_bfe_u32 v6, v5, 16, 1
	v_add3_u32 v6, v5, v6, s0
	v_lshrrev_b32_e32 v6, 16, v6
	v_cmp_o_f32_e32 vcc, v5, v5
	v_cndmask_b32_e32 v1, v1, v6, vcc
	s_mov_b64 s[0:1], 0
	s_branch .LBB31_238
.LBB31_236:
	s_mov_b64 s[0:1], -1
                                        ; implicit-def: $vgpr1
	s_branch .LBB31_241
.LBB31_237:
	s_mov_b64 s[0:1], -1
                                        ; implicit-def: $vgpr1
.LBB31_238:
	s_andn2_b64 vcc, exec, s[0:1]
	s_cbranch_vccnz .LBB31_240
; %bb.239:
	global_load_dword v1, v[2:3], off
	s_movk_i32 s0, 0x7fff
	v_mov_b32_e32 v5, 0x7fc0
	s_waitcnt vmcnt(0)
	v_bfe_u32 v6, v1, 16, 1
	v_add3_u32 v6, v1, v6, s0
	v_lshrrev_b32_e32 v6, 16, v6
	v_cmp_o_f32_e32 vcc, v1, v1
	v_cndmask_b32_e32 v1, v5, v6, vcc
.LBB31_240:
	s_mov_b64 s[0:1], 0
.LBB31_241:
	s_andn2_b64 vcc, exec, s[0:1]
	s_cbranch_vccnz .LBB31_243
; %bb.242:
	global_load_ushort v1, v[2:3], off
	s_movk_i32 s0, 0x7fff
	v_mov_b32_e32 v6, 0x7fc0
	s_waitcnt vmcnt(0)
	v_cvt_f32_f16_e32 v5, v1
	v_cmp_o_f16_e32 vcc, v1, v1
	v_bfe_u32 v7, v5, 16, 1
	v_add3_u32 v5, v5, v7, s0
	v_lshrrev_b32_e32 v5, 16, v5
	v_cndmask_b32_e32 v1, v6, v5, vcc
.LBB31_243:
	s_cbranch_execnz .LBB31_263
.LBB31_244:
	v_cmp_lt_i16_e64 s[0:1], s77, 2
	s_and_b64 vcc, exec, s[0:1]
	s_cbranch_vccnz .LBB31_248
; %bb.245:
	v_cmp_lt_i16_e64 s[0:1], s77, 3
	s_and_b64 vcc, exec, s[0:1]
	s_cbranch_vccnz .LBB31_249
; %bb.246:
	v_cmp_gt_i16_e64 s[0:1], s77, 3
	s_and_b64 vcc, exec, s[0:1]
	s_cbranch_vccz .LBB31_250
; %bb.247:
	global_load_dwordx2 v[6:7], v[2:3], off
	s_movk_i32 s0, 0x7fff
	s_waitcnt vmcnt(0)
	v_xor_b32_e32 v5, v6, v7
	v_ffbh_i32_e32 v1, v7
	v_ashrrev_i32_e32 v5, 31, v5
	v_add_u32_e32 v1, -1, v1
	v_add_u32_e32 v5, 32, v5
	v_min_u32_e32 v1, v1, v5
	v_lshlrev_b64 v[6:7], v1, v[6:7]
	v_min_u32_e32 v5, 1, v6
	v_or_b32_e32 v5, v7, v5
	v_cvt_f32_i32_e32 v5, v5
	v_sub_u32_e32 v1, 32, v1
	v_ldexp_f32 v1, v5, v1
	v_bfe_u32 v5, v1, 16, 1
	v_add3_u32 v1, v1, v5, s0
	v_lshrrev_b32_e32 v1, 16, v1
	s_mov_b64 s[0:1], 0
	s_branch .LBB31_251
.LBB31_248:
	s_mov_b64 s[0:1], -1
                                        ; implicit-def: $vgpr1
	s_branch .LBB31_257
.LBB31_249:
	s_mov_b64 s[0:1], -1
                                        ; implicit-def: $vgpr1
	s_branch .LBB31_254
.LBB31_250:
	s_mov_b64 s[0:1], -1
                                        ; implicit-def: $vgpr1
.LBB31_251:
	s_andn2_b64 vcc, exec, s[0:1]
	s_cbranch_vccnz .LBB31_253
; %bb.252:
	global_load_dword v1, v[2:3], off
	s_movk_i32 s0, 0x7fff
	s_waitcnt vmcnt(0)
	v_cvt_f32_i32_e32 v1, v1
	v_bfe_u32 v5, v1, 16, 1
	v_add3_u32 v1, v1, v5, s0
	v_lshrrev_b32_e32 v1, 16, v1
.LBB31_253:
	s_mov_b64 s[0:1], 0
.LBB31_254:
	s_andn2_b64 vcc, exec, s[0:1]
	s_cbranch_vccnz .LBB31_256
; %bb.255:
	global_load_sshort v1, v[2:3], off
	s_movk_i32 s0, 0x7fff
	s_waitcnt vmcnt(0)
	v_cvt_f32_i32_e32 v1, v1
	v_bfe_u32 v5, v1, 16, 1
	v_add3_u32 v1, v1, v5, s0
	v_lshrrev_b32_e32 v1, 16, v1
.LBB31_256:
	s_mov_b64 s[0:1], 0
.LBB31_257:
	s_andn2_b64 vcc, exec, s[0:1]
	s_cbranch_vccnz .LBB31_263
; %bb.258:
	v_cmp_gt_i16_e64 s[0:1], s77, 0
	s_and_b64 vcc, exec, s[0:1]
	s_cbranch_vccz .LBB31_260
; %bb.259:
	global_load_sbyte v1, v[2:3], off
	s_movk_i32 s0, 0x7fff
	s_waitcnt vmcnt(0)
	v_cvt_f32_i32_e32 v1, v1
	v_bfe_u32 v5, v1, 16, 1
	v_add3_u32 v1, v1, v5, s0
	v_lshrrev_b32_e32 v1, 16, v1
	s_mov_b64 s[0:1], 0
	s_branch .LBB31_261
.LBB31_260:
	s_mov_b64 s[0:1], -1
                                        ; implicit-def: $vgpr1
.LBB31_261:
	s_andn2_b64 vcc, exec, s[0:1]
	s_cbranch_vccnz .LBB31_263
; %bb.262:
	global_load_ubyte v1, v[2:3], off
	s_movk_i32 s0, 0x7fff
	s_waitcnt vmcnt(0)
	v_cvt_f32_ubyte0_e32 v1, v1
	v_bfe_u32 v2, v1, 16, 1
	v_add3_u32 v1, v1, v2, s0
	v_lshrrev_b32_e32 v1, 16, v1
.LBB31_263:
	s_branch .LBB31_26
.LBB31_264:
	s_mov_b64 s[0:1], 0
.LBB31_265:
	s_mov_b64 s[8:9], 0
                                        ; implicit-def: $vgpr8
.LBB31_266:
	s_and_b64 s[52:53], s[0:1], exec
	s_and_b64 s[54:55], s[2:3], exec
	s_orn2_b64 s[2:3], s[8:9], exec
.LBB31_267:
	s_or_b64 exec, exec, s[56:57]
	s_mov_b64 s[10:11], 0
	s_mov_b64 s[0:1], 0
                                        ; implicit-def: $vgpr2_vgpr3
                                        ; implicit-def: $vgpr0
                                        ; implicit-def: $vgpr6
	s_and_saveexec_b64 s[56:57], s[2:3]
	s_cbranch_execz .LBB31_275
; %bb.268:
	v_cmp_gt_i32_e32 vcc, s72, v8
	s_mov_b64 s[0:1], -1
	s_mov_b64 s[58:59], s[54:55]
	s_mov_b64 s[60:61], s[52:53]
	s_and_saveexec_b64 s[62:63], vcc
	s_cbranch_execz .LBB31_544
; %bb.269:
	s_andn2_b64 vcc, exec, s[40:41]
	s_cbranch_vccnz .LBB31_278
; %bb.270:
	s_mov_b32 s58, 0
	s_andn2_b64 vcc, exec, s[50:51]
	v_mov_b32_e32 v2, 0
	v_mov_b32_e32 v0, 0
	s_cbranch_vccnz .LBB31_284
; %bb.271:
	s_add_i32 s66, s73, 1
	s_cmp_eq_u32 s74, 2
	s_cbranch_scc1 .LBB31_279
; %bb.272:
	s_and_b32 s58, s66, 28
	s_mov_b32 s59, 0
	v_mov_b32_e32 v0, 0
	s_mov_b64 s[60:61], s[34:35]
	s_mov_b64 s[64:65], s[48:49]
	v_mov_b32_e32 v3, v8
	v_mov_b32_e32 v2, 0
.LBB31_273:                             ; =>This Inner Loop Header: Depth=1
	s_load_dwordx8 s[16:23], s[60:61], 0x4
	s_load_dwordx4 s[0:3], s[60:61], 0x24
	s_load_dwordx8 s[8:15], s[64:65], 0x0
	s_add_u32 s60, s60, 48
	s_addc_u32 s61, s61, 0
	s_waitcnt vmcnt(0) lgkmcnt(0)
	v_mul_hi_u32 v1, s17, v3
	v_add_u32_e32 v1, v3, v1
	v_lshrrev_b32_e32 v1, s18, v1
	v_mul_lo_u32 v5, v1, s16
	v_mul_hi_u32 v6, s20, v1
	v_sub_u32_e32 v3, v3, v5
	v_add_u32_e32 v5, v1, v6
	v_lshrrev_b32_e32 v5, s21, v5
	v_mul_lo_u32 v7, v5, s19
	v_mul_hi_u32 v9, s23, v5
	v_sub_u32_e32 v1, v1, v7
	v_add_u32_e32 v7, v5, v9
	v_mul_lo_u32 v6, v3, s9
	v_mul_lo_u32 v3, v3, s8
	;; [unrolled: 1-line block ×4, first 2 shown]
	v_lshrrev_b32_e32 v7, s0, v7
	v_add3_u32 v0, v3, v0, v1
	v_mul_hi_u32 v3, s2, v7
	v_add_u32_e32 v3, v7, v3
	v_lshrrev_b32_e32 v3, s3, v3
	s_add_i32 s59, s59, 4
	v_add3_u32 v1, v6, v2, v9
	v_mul_lo_u32 v2, v7, s22
	v_mul_lo_u32 v6, v3, s1
	s_add_u32 s64, s64, 32
	v_sub_u32_e32 v2, v5, v2
	v_sub_u32_e32 v6, v7, v6
	s_addc_u32 s65, s65, 0
	v_mul_lo_u32 v5, v2, s12
	v_mul_lo_u32 v2, v2, s13
	;; [unrolled: 1-line block ×4, first 2 shown]
	s_cmp_eq_u32 s58, s59
	v_add3_u32 v2, v2, v1, v6
	v_add3_u32 v0, v5, v0, v7
	s_cbranch_scc0 .LBB31_273
; %bb.274:
	v_mov_b32_e32 v1, v2
	s_branch .LBB31_280
.LBB31_275:
	s_or_b64 exec, exec, s[56:57]
	s_mov_b64 s[2:3], 0
	s_and_saveexec_b64 s[8:9], s[54:55]
	s_cbranch_execnz .LBB31_922
.LBB31_276:
	s_or_b64 exec, exec, s[8:9]
	s_and_saveexec_b64 s[8:9], s[60:61]
	s_xor_b64 s[8:9], exec, s[8:9]
	s_cbranch_execz .LBB31_923
.LBB31_277:
	global_load_ubyte v1, v[2:3], off
	s_or_b64 s[0:1], s[0:1], exec
	s_waitcnt vmcnt(0)
	v_cmp_ne_u16_e32 vcc, 0, v1
	v_cndmask_b32_e64 v1, 0, 1.0, vcc
	v_lshrrev_b32_e32 v6, 16, v1
	s_or_b64 exec, exec, s[8:9]
	s_and_saveexec_b64 s[8:9], s[10:11]
	s_cbranch_execz .LBB31_969
	s_branch .LBB31_924
.LBB31_278:
                                        ; implicit-def: $vgpr2
                                        ; implicit-def: $vgpr0
	s_andn2_b64 vcc, exec, s[0:1]
	s_cbranch_vccz .LBB31_285
	s_branch .LBB31_287
.LBB31_279:
	s_mov_b32 s59, s58
	s_waitcnt vmcnt(0)
	v_pk_mov_b32 v[0:1], s[58:59], s[58:59] op_sel:[0,1]
                                        ; implicit-def: $vgpr2
	v_mov_b32_e32 v3, v8
.LBB31_280:
	s_and_b32 s8, s66, 3
	s_cmp_eq_u32 s8, 0
	s_cbranch_scc1 .LBB31_284
; %bb.281:
	s_lshl_b32 s0, s58, 3
	s_add_u32 s0, s0, s34
	s_addc_u32 s1, s35, 0
	s_add_u32 s0, s0, 0xc4
	s_addc_u32 s1, s1, 0
	s_mul_i32 s2, s58, 12
	s_add_u32 s2, s34, s2
	s_addc_u32 s3, s35, 0
.LBB31_282:                             ; =>This Inner Loop Header: Depth=1
	s_load_dwordx2 s[10:11], s[2:3], 0x4
	s_load_dword s9, s[2:3], 0xc
	s_load_dwordx2 s[12:13], s[0:1], 0x0
	v_mov_b32_e32 v2, v1
	s_add_u32 s2, s2, 12
	s_waitcnt lgkmcnt(0)
	v_mul_hi_u32 v1, s11, v3
	v_add_u32_e32 v1, v3, v1
	v_lshrrev_b32_e32 v1, s9, v1
	s_addc_u32 s3, s3, 0
	v_mul_lo_u32 v5, v1, s10
	s_add_u32 s0, s0, 8
	v_sub_u32_e32 v5, v3, v5
	v_mov_b32_e32 v3, v1
	s_addc_u32 s1, s1, 0
	s_add_i32 s8, s8, -1
	v_mad_u64_u32 v[6:7], s[10:11], v5, s13, v[2:3]
	v_mad_u64_u32 v[0:1], s[10:11], v5, s12, v[0:1]
	s_cmp_lg_u32 s8, 0
	v_mov_b32_e32 v1, v6
	s_cbranch_scc1 .LBB31_282
; %bb.283:
	v_mov_b32_e32 v2, v1
.LBB31_284:
	s_cbranch_execnz .LBB31_287
.LBB31_285:
	v_mul_hi_u32 v0, s29, v8
	v_add_u32_e32 v0, v8, v0
	s_waitcnt vmcnt(0)
	v_lshrrev_b32_e32 v1, s30, v0
	v_mul_lo_u32 v0, v1, s28
	v_sub_u32_e32 v0, v8, v0
	v_mul_lo_u32 v2, v0, s37
	s_andn2_b64 vcc, exec, s[44:45]
	v_mul_lo_u32 v0, v0, s36
	s_cbranch_vccnz .LBB31_287
; %bb.286:
	v_mul_hi_u32 v3, s46, v1
	v_add_u32_e32 v3, v1, v3
	v_lshrrev_b32_e32 v3, s47, v3
	v_mul_lo_u32 v3, v3, s31
	v_sub_u32_e32 v3, v1, v3
	v_mad_u64_u32 v[0:1], s[0:1], v3, s38, v[0:1]
	v_mad_u64_u32 v[2:3], s[0:1], v3, s39, v[2:3]
.LBB31_287:
	s_waitcnt vmcnt(0)
	v_mov_b32_e32 v1, s27
	v_add_co_u32_e32 v2, vcc, s26, v2
	v_addc_co_u32_e32 v3, vcc, 0, v1, vcc
	v_cmp_lt_i16_e64 s[0:1], s77, 11
	s_and_b64 vcc, exec, s[0:1]
	s_cbranch_vccnz .LBB31_294
; %bb.288:
	v_cmp_gt_i16_e64 s[0:1], s77, 25
	s_and_b64 vcc, exec, s[0:1]
	s_cbranch_vccz .LBB31_303
; %bb.289:
	v_cmp_gt_i16_e64 s[0:1], s77, 28
	s_and_b64 vcc, exec, s[0:1]
	s_cbranch_vccz .LBB31_305
	;; [unrolled: 4-line block ×4, first 2 shown]
; %bb.292:
	v_cmp_eq_u16_e64 s[0:1], s77, 46
	s_mov_b64 s[8:9], 0
	s_and_b64 vcc, exec, s[0:1]
	s_cbranch_vccz .LBB31_315
; %bb.293:
	global_load_dword v1, v[2:3], off
	s_mov_b64 s[0:1], -1
	s_mov_b64 s[2:3], 0
	s_branch .LBB31_316
.LBB31_294:
	s_mov_b64 s[0:1], 0
                                        ; implicit-def: $vgpr1
	s_mov_b64 s[2:3], s[54:55]
	s_cbranch_execnz .LBB31_493
.LBB31_295:
	s_andn2_b64 vcc, exec, s[0:1]
	s_cbranch_vccnz .LBB31_541
.LBB31_296:
	s_waitcnt vmcnt(0)
	v_lshlrev_b32_e32 v2, 16, v1
	v_cmp_nle_f32_e32 vcc, v4, v2
	v_cmp_nge_f32_e64 s[0:1], s76, v2
	s_or_b64 vcc, s[0:1], vcc
	v_cndmask_b32_e32 v2, 0, v1, vcc
	v_mov_b32_e32 v1, s25
	v_add_co_u32_e32 v0, vcc, s24, v0
	v_mov_b32_e32 v3, 11
	v_addc_co_u32_e32 v1, vcc, 0, v1, vcc
	v_cmp_lt_i16_sdwa s[0:1], s75, v3 src0_sel:BYTE_0 src1_sel:DWORD
	s_and_b64 vcc, exec, s[0:1]
	s_cbranch_vccnz .LBB31_304
; %bb.297:
	v_mov_b32_e32 v3, 25
	v_cmp_gt_i16_sdwa s[0:1], s75, v3 src0_sel:BYTE_0 src1_sel:DWORD
	s_and_b64 vcc, exec, s[0:1]
	s_cbranch_vccz .LBB31_306
; %bb.298:
	v_mov_b32_e32 v3, 28
	v_cmp_gt_i16_sdwa s[0:1], s75, v3 src0_sel:BYTE_0 src1_sel:DWORD
	s_and_b64 vcc, exec, s[0:1]
	s_cbranch_vccz .LBB31_308
	;; [unrolled: 5-line block ×4, first 2 shown]
; %bb.301:
	v_mov_b32_e32 v3, 46
	v_cmp_eq_u16_sdwa s[8:9], s75, v3 src0_sel:BYTE_0 src1_sel:DWORD
	s_mov_b64 s[10:11], 0
	s_mov_b64 s[0:1], -1
	s_and_b64 vcc, exec, s[8:9]
	s_mov_b64 s[8:9], 0
	s_cbranch_vccz .LBB31_320
; %bb.302:
	v_and_b32_e32 v3, 0xffff, v2
	global_store_dword v[0:1], v3, off
	s_mov_b64 s[8:9], -1
	s_mov_b64 s[0:1], 0
	s_branch .LBB31_320
.LBB31_303:
	s_mov_b64 s[8:9], -1
	s_mov_b64 s[0:1], 0
	s_mov_b64 s[2:3], s[54:55]
                                        ; implicit-def: $vgpr1
	s_branch .LBB31_457
.LBB31_304:
	s_mov_b64 s[10:11], -1
	s_mov_b64 s[8:9], 0
	s_mov_b64 s[0:1], s[52:53]
	s_branch .LBB31_389
.LBB31_305:
	s_mov_b64 s[8:9], -1
	s_mov_b64 s[0:1], 0
	s_mov_b64 s[2:3], s[54:55]
                                        ; implicit-def: $vgpr1
	s_branch .LBB31_438
.LBB31_306:
	s_mov_b64 s[10:11], -1
	s_mov_b64 s[8:9], 0
	s_mov_b64 s[0:1], s[52:53]
	s_branch .LBB31_347
.LBB31_307:
	s_mov_b64 s[8:9], -1
	s_mov_b64 s[0:1], 0
	s_mov_b64 s[2:3], s[54:55]
                                        ; implicit-def: $vgpr1
	s_branch .LBB31_433
.LBB31_308:
	s_mov_b64 s[10:11], -1
	s_mov_b64 s[8:9], 0
	s_mov_b64 s[0:1], s[52:53]
	s_branch .LBB31_330
.LBB31_309:
	s_or_saveexec_b64 s[12:13], s[12:13]
                                        ; implicit-def: $sgpr14
	s_xor_b64 exec, exec, s[12:13]
	s_cbranch_execz .LBB31_69
.LBB31_310:
	s_mov_b32 s14, 0x46000000
	v_add_f32_e64 v5, |v6|, s14
	v_and_b32_e32 v5, 0xff, v5
	v_cmp_ne_u32_e32 vcc, 0, v5
	s_andn2_b64 s[10:11], s[10:11], exec
	s_and_b64 s[16:17], vcc, exec
	s_mov_b32 s14, 0
	s_or_b64 s[10:11], s[10:11], s[16:17]
	s_or_b64 exec, exec, s[12:13]
	v_mov_b32_e32 v7, s14
	s_and_saveexec_b64 s[12:13], s[10:11]
	s_cbranch_execnz .LBB31_70
	s_branch .LBB31_71
.LBB31_311:
	s_mov_b64 s[8:9], -1
	s_mov_b64 s[0:1], 0
	s_mov_b64 s[2:3], s[54:55]
                                        ; implicit-def: $vgpr1
	s_branch .LBB31_316
.LBB31_312:
	s_mov_b64 s[10:11], -1
	s_mov_b64 s[8:9], 0
	s_mov_b64 s[0:1], s[52:53]
	s_branch .LBB31_326
.LBB31_313:
	s_or_saveexec_b64 s[12:13], s[12:13]
                                        ; implicit-def: $sgpr14
	s_xor_b64 exec, exec, s[12:13]
	s_cbranch_execz .LBB31_82
.LBB31_314:
	s_mov_b32 s14, 0x42800000
	v_add_f32_e64 v5, |v6|, s14
	v_and_b32_e32 v5, 0xff, v5
	v_cmp_ne_u32_e32 vcc, 0, v5
	s_andn2_b64 s[10:11], s[10:11], exec
	s_and_b64 s[16:17], vcc, exec
	s_mov_b32 s14, 0
	s_or_b64 s[10:11], s[10:11], s[16:17]
	s_or_b64 exec, exec, s[12:13]
	v_mov_b32_e32 v7, s14
	s_and_saveexec_b64 s[12:13], s[10:11]
	s_cbranch_execnz .LBB31_83
	s_branch .LBB31_84
.LBB31_315:
	s_mov_b64 s[2:3], -1
                                        ; implicit-def: $vgpr1
	s_mov_b64 s[0:1], 0
.LBB31_316:
	s_and_b64 vcc, exec, s[8:9]
	s_cbranch_vccz .LBB31_432
; %bb.317:
	v_cmp_eq_u16_e64 s[2:3], s77, 44
	s_and_b64 vcc, exec, s[2:3]
	s_cbranch_vccz .LBB31_431
; %bb.318:
	global_load_ubyte v1, v[2:3], off
	s_movk_i32 s2, 0xff
	v_mov_b32_e32 v5, 0x7f800001
	v_mov_b32_e32 v6, 0x400000
	;; [unrolled: 1-line block ×3, first 2 shown]
	s_mov_b64 s[0:1], -1
	s_waitcnt vmcnt(0)
	v_lshlrev_b32_e32 v9, 23, v1
	v_cmp_ne_u32_e32 vcc, s2, v1
	v_cndmask_b32_e32 v5, v5, v9, vcc
	v_cmp_ne_u32_e32 vcc, 0, v1
	v_cndmask_b32_e32 v1, v6, v5, vcc
	v_add_u32_e32 v5, 0x7fff, v1
	v_lshrrev_b32_e32 v5, 16, v5
	v_cmp_o_f32_e32 vcc, v1, v1
	v_cndmask_b32_e32 v1, v7, v5, vcc
	s_mov_b64 s[2:3], 0
	s_branch .LBB31_432
.LBB31_319:
	s_mov_b64 s[10:11], -1
	s_mov_b64 s[8:9], 0
	s_mov_b64 s[0:1], s[52:53]
.LBB31_320:
	s_and_b64 vcc, exec, s[10:11]
	s_cbranch_vccz .LBB31_325
; %bb.321:
	v_mov_b32_e32 v3, 44
	v_cmp_eq_u16_sdwa s[10:11], s75, v3 src0_sel:BYTE_0 src1_sel:DWORD
	s_mov_b64 s[0:1], -1
	s_and_b64 vcc, exec, s[10:11]
	s_cbranch_vccz .LBB31_325
; %bb.322:
	v_and_b32_e32 v5, 0xffff, v2
	v_bfe_u32 v3, v5, 7, 8
	s_movk_i32 s0, 0xff
	v_cmp_ne_u32_e32 vcc, s0, v3
	v_mov_b32_e32 v6, 0xff
	s_and_saveexec_b64 s[8:9], vcc
; %bb.323:
	v_lshlrev_b32_e32 v7, 16, v5
	s_mov_b32 s0, 0x3f0000
	v_lshrrev_b32_e32 v6, 7, v5
	v_and_b32_e32 v5, 64, v5
	v_and_or_b32 v3, v7, s0, v3
	v_cmp_ne_u32_e32 vcc, 0, v5
	v_cmp_ne_u32_e64 s[0:1], 0, v3
	s_and_b64 s[0:1], vcc, s[0:1]
	v_cndmask_b32_e64 v3, 0, 1, s[0:1]
	v_add_u32_e32 v6, v6, v3
; %bb.324:
	s_or_b64 exec, exec, s[8:9]
	s_mov_b64 s[8:9], -1
	s_mov_b64 s[0:1], 0
	global_store_byte v[0:1], v6, off
.LBB31_325:
	s_mov_b64 s[10:11], 0
.LBB31_326:
	s_and_b64 vcc, exec, s[10:11]
	s_cbranch_vccz .LBB31_329
; %bb.327:
	v_mov_b32_e32 v3, 29
	v_cmp_eq_u16_sdwa s[10:11], s75, v3 src0_sel:BYTE_0 src1_sel:DWORD
	s_mov_b64 s[0:1], -1
	s_and_b64 vcc, exec, s[10:11]
	s_cbranch_vccz .LBB31_329
; %bb.328:
	v_lshlrev_b32_e32 v3, 16, v2
	v_trunc_f32_e32 v3, v3
	v_mul_f32_e32 v5, 0x2f800000, v3
	v_floor_f32_e32 v5, v5
	v_fmac_f32_e32 v3, 0xcf800000, v5
	v_cvt_u32_f32_e32 v7, v5
	v_cvt_u32_f32_e32 v6, v3
	s_mov_b64 s[8:9], -1
	s_mov_b64 s[0:1], 0
	s_mov_b64 s[10:11], 0
	global_store_dwordx2 v[0:1], v[6:7], off
	s_branch .LBB31_330
.LBB31_329:
	s_mov_b64 s[10:11], 0
.LBB31_330:
	s_and_b64 vcc, exec, s[10:11]
	s_cbranch_vccz .LBB31_346
; %bb.331:
	v_mov_b32_e32 v3, 27
	v_cmp_lt_i16_sdwa s[10:11], s75, v3 src0_sel:BYTE_0 src1_sel:DWORD
	s_mov_b64 s[8:9], -1
	s_and_b64 vcc, exec, s[10:11]
	s_cbranch_vccnz .LBB31_337
; %bb.332:
	v_cmp_gt_i16_sdwa s[10:11], s75, v3 src0_sel:BYTE_0 src1_sel:DWORD
	s_and_b64 vcc, exec, s[10:11]
	s_cbranch_vccz .LBB31_334
; %bb.333:
	v_lshlrev_b32_e32 v3, 16, v2
	v_cvt_u32_f32_e32 v3, v3
	s_mov_b64 s[8:9], 0
	global_store_dword v[0:1], v3, off
.LBB31_334:
	s_andn2_b64 vcc, exec, s[8:9]
	s_cbranch_vccnz .LBB31_336
; %bb.335:
	v_lshlrev_b32_e32 v3, 16, v2
	v_cvt_u32_f32_e32 v3, v3
	global_store_short v[0:1], v3, off
.LBB31_336:
	s_mov_b64 s[8:9], 0
.LBB31_337:
	s_andn2_b64 vcc, exec, s[8:9]
	s_cbranch_vccnz .LBB31_345
; %bb.338:
	v_lshlrev_b32_e32 v6, 16, v2
	v_and_b32_e32 v5, 0x7fffffff, v6
	s_mov_b32 s8, 0x43800000
	v_cmp_gt_u32_e32 vcc, s8, v5
	v_mov_b32_e32 v7, 0x80
	s_and_saveexec_b64 s[8:9], vcc
	s_cbranch_execz .LBB31_344
; %bb.339:
	s_mov_b32 s10, 0x3bffffff
	v_and_b32_e32 v3, 0xffff, v2
	v_cmp_lt_u32_e32 vcc, s10, v5
	s_mov_b64 s[10:11], 0
                                        ; implicit-def: $vgpr5
	s_and_saveexec_b64 s[12:13], vcc
	s_xor_b64 s[12:13], exec, s[12:13]
	s_cbranch_execz .LBB31_573
; %bb.340:
	v_bfe_u32 v5, v3, 4, 1
	s_mov_b32 s14, 0x487ffff
	v_add3_u32 v5, v6, v5, s14
	s_mov_b64 s[10:11], exec
	v_lshrrev_b32_e32 v5, 20, v5
                                        ; implicit-def: $vgpr6
	s_or_saveexec_b64 s[12:13], s[12:13]
                                        ; implicit-def: $sgpr14
	s_xor_b64 exec, exec, s[12:13]
	s_cbranch_execnz .LBB31_574
.LBB31_341:
	s_or_b64 exec, exec, s[12:13]
	v_mov_b32_e32 v7, s14
	s_and_saveexec_b64 s[12:13], s[10:11]
.LBB31_342:
	v_lshrrev_b32_e32 v3, 8, v3
	s_movk_i32 s10, 0x80
	v_and_or_b32 v7, v3, s10, v5
.LBB31_343:
	s_or_b64 exec, exec, s[12:13]
.LBB31_344:
	s_or_b64 exec, exec, s[8:9]
	global_store_byte v[0:1], v7, off
.LBB31_345:
	s_mov_b64 s[8:9], -1
.LBB31_346:
	s_mov_b64 s[10:11], 0
.LBB31_347:
	s_and_b64 vcc, exec, s[10:11]
	s_cbranch_vccz .LBB31_388
; %bb.348:
	v_mov_b32_e32 v3, 22
	v_cmp_gt_i16_sdwa s[12:13], s75, v3 src0_sel:BYTE_0 src1_sel:DWORD
	s_mov_b64 s[10:11], -1
	s_and_b64 vcc, exec, s[12:13]
	s_cbranch_vccz .LBB31_380
; %bb.349:
	v_mov_b32_e32 v3, 24
	v_cmp_lt_i16_sdwa s[10:11], s75, v3 src0_sel:BYTE_0 src1_sel:DWORD
	s_mov_b64 s[8:9], -1
	s_and_b64 vcc, exec, s[10:11]
	s_cbranch_vccnz .LBB31_369
; %bb.350:
	v_cmp_gt_i16_sdwa s[10:11], s75, v3 src0_sel:BYTE_0 src1_sel:DWORD
	s_and_b64 vcc, exec, s[10:11]
	s_cbranch_vccz .LBB31_358
; %bb.351:
	v_lshlrev_b32_e32 v6, 16, v2
	v_and_b32_e32 v5, 0x7fffffff, v6
	s_mov_b32 s8, 0x47800000
	v_cmp_gt_u32_e32 vcc, s8, v5
	v_mov_b32_e32 v7, 0x80
	s_and_saveexec_b64 s[8:9], vcc
	s_cbranch_execz .LBB31_357
; %bb.352:
	s_mov_b32 s10, 0x37ffffff
	v_and_b32_e32 v3, 0xffff, v2
	v_cmp_lt_u32_e32 vcc, s10, v5
	s_mov_b64 s[10:11], 0
                                        ; implicit-def: $vgpr5
	s_and_saveexec_b64 s[12:13], vcc
	s_xor_b64 s[12:13], exec, s[12:13]
	s_cbranch_execz .LBB31_576
; %bb.353:
	v_bfe_u32 v5, v3, 5, 1
	s_mov_b32 s14, 0x88fffff
	v_add3_u32 v5, v6, v5, s14
	s_mov_b64 s[10:11], exec
	v_lshrrev_b32_e32 v5, 21, v5
                                        ; implicit-def: $vgpr6
	s_or_saveexec_b64 s[12:13], s[12:13]
                                        ; implicit-def: $sgpr14
	s_xor_b64 exec, exec, s[12:13]
	s_cbranch_execnz .LBB31_577
.LBB31_354:
	s_or_b64 exec, exec, s[12:13]
	v_mov_b32_e32 v7, s14
	s_and_saveexec_b64 s[12:13], s[10:11]
.LBB31_355:
	v_lshrrev_b32_e32 v3, 8, v3
	s_movk_i32 s10, 0x80
	v_and_or_b32 v7, v3, s10, v5
.LBB31_356:
	s_or_b64 exec, exec, s[12:13]
.LBB31_357:
	s_or_b64 exec, exec, s[8:9]
	s_mov_b64 s[8:9], 0
	global_store_byte v[0:1], v7, off
.LBB31_358:
	s_and_b64 vcc, exec, s[8:9]
	s_cbranch_vccz .LBB31_368
; %bb.359:
	v_lshlrev_b32_e32 v6, 16, v2
	v_and_b32_e32 v7, 0x7fffffff, v6
	s_mov_b32 s8, 0x43f00000
	v_and_b32_e32 v3, 0xffff, v2
	v_cmp_gt_u32_e32 vcc, s8, v7
                                        ; implicit-def: $vgpr5
	s_and_saveexec_b64 s[8:9], vcc
	s_xor_b64 s[8:9], exec, s[8:9]
	s_cbranch_execz .LBB31_365
; %bb.360:
	s_mov_b32 s10, 0x3c7fffff
	v_cmp_lt_u32_e32 vcc, s10, v7
                                        ; implicit-def: $vgpr5
	s_and_saveexec_b64 s[10:11], vcc
	s_xor_b64 s[10:11], exec, s[10:11]
; %bb.361:
	v_bfe_u32 v5, v3, 4, 1
	s_mov_b32 s12, 0x407ffff
	v_add3_u32 v5, v6, v5, s12
	v_lshrrev_b32_e32 v6, 20, v5
	v_and_b32_e32 v5, 0xff00000, v5
	s_mov_b32 s12, 0x7f00000
	v_mov_b32_e32 v7, 0x7e
	v_cmp_ne_u32_e32 vcc, s12, v5
	v_cndmask_b32_e32 v5, v7, v6, vcc
                                        ; implicit-def: $vgpr6
; %bb.362:
	s_andn2_saveexec_b64 s[10:11], s[10:11]
; %bb.363:
	s_mov_b32 s12, 0x46800000
	v_add_f32_e64 v5, |v6|, s12
; %bb.364:
	s_or_b64 exec, exec, s[10:11]
                                        ; implicit-def: $vgpr7
.LBB31_365:
	s_andn2_saveexec_b64 s[8:9], s[8:9]
; %bb.366:
	s_mov_b32 s10, 0x7f800000
	v_mov_b32_e32 v5, 0x7e
	v_mov_b32_e32 v6, 0x7f
	v_cmp_lt_u32_e32 vcc, s10, v7
	v_cndmask_b32_e32 v5, v5, v6, vcc
; %bb.367:
	s_or_b64 exec, exec, s[8:9]
	v_lshrrev_b32_e32 v3, 8, v3
	s_movk_i32 s8, 0x80
	v_and_or_b32 v3, v3, s8, v5
	global_store_byte v[0:1], v3, off
.LBB31_368:
	s_mov_b64 s[8:9], 0
.LBB31_369:
	s_andn2_b64 vcc, exec, s[8:9]
	s_cbranch_vccnz .LBB31_379
; %bb.370:
	v_lshlrev_b32_e32 v6, 16, v2
	v_and_b32_e32 v7, 0x7fffffff, v6
	s_mov_b32 s8, 0x47800000
	v_and_b32_e32 v3, 0xffff, v2
	v_cmp_gt_u32_e32 vcc, s8, v7
                                        ; implicit-def: $vgpr5
	s_and_saveexec_b64 s[8:9], vcc
	s_xor_b64 s[8:9], exec, s[8:9]
	s_cbranch_execz .LBB31_376
; %bb.371:
	s_mov_b32 s10, 0x387fffff
	v_cmp_lt_u32_e32 vcc, s10, v7
                                        ; implicit-def: $vgpr5
	s_and_saveexec_b64 s[10:11], vcc
	s_xor_b64 s[10:11], exec, s[10:11]
; %bb.372:
	v_bfe_u32 v5, v3, 5, 1
	s_mov_b32 s12, 0x80fffff
	v_add3_u32 v5, v6, v5, s12
	v_lshrrev_b32_e32 v5, 21, v5
                                        ; implicit-def: $vgpr6
; %bb.373:
	s_andn2_saveexec_b64 s[10:11], s[10:11]
; %bb.374:
	s_mov_b32 s12, 0x43000000
	v_add_f32_e64 v5, |v6|, s12
; %bb.375:
	s_or_b64 exec, exec, s[10:11]
                                        ; implicit-def: $vgpr7
.LBB31_376:
	s_andn2_saveexec_b64 s[8:9], s[8:9]
; %bb.377:
	s_mov_b32 s10, 0x7f800000
	v_mov_b32_e32 v5, 0x7c
	v_mov_b32_e32 v6, 0x7f
	v_cmp_lt_u32_e32 vcc, s10, v7
	v_cndmask_b32_e32 v5, v5, v6, vcc
; %bb.378:
	s_or_b64 exec, exec, s[8:9]
	v_lshrrev_b32_e32 v3, 8, v3
	s_movk_i32 s8, 0x80
	v_and_or_b32 v3, v3, s8, v5
	global_store_byte v[0:1], v3, off
.LBB31_379:
	s_mov_b64 s[10:11], 0
	s_mov_b64 s[8:9], -1
.LBB31_380:
	s_andn2_b64 vcc, exec, s[10:11]
	s_cbranch_vccnz .LBB31_388
; %bb.381:
	v_mov_b32_e32 v3, 14
	v_cmp_gt_i16_sdwa s[12:13], s75, v3 src0_sel:BYTE_0 src1_sel:DWORD
	s_mov_b64 s[10:11], -1
	s_and_b64 vcc, exec, s[12:13]
	s_cbranch_vccz .LBB31_385
; %bb.382:
	v_mov_b32_e32 v3, 15
	v_cmp_eq_u16_sdwa s[10:11], s75, v3 src0_sel:BYTE_0 src1_sel:DWORD
	s_mov_b64 s[0:1], -1
	s_and_b64 vcc, exec, s[10:11]
	s_cbranch_vccz .LBB31_384
; %bb.383:
	global_store_short v[0:1], v2, off
	s_mov_b64 s[8:9], -1
	s_mov_b64 s[0:1], 0
.LBB31_384:
	s_mov_b64 s[10:11], 0
.LBB31_385:
	s_and_b64 vcc, exec, s[10:11]
	s_cbranch_vccz .LBB31_388
; %bb.386:
	v_mov_b32_e32 v3, 11
	v_cmp_eq_u16_sdwa s[10:11], s75, v3 src0_sel:BYTE_0 src1_sel:DWORD
	s_mov_b64 s[0:1], -1
	s_and_b64 vcc, exec, s[10:11]
	s_cbranch_vccz .LBB31_388
; %bb.387:
	v_and_b32_e32 v3, 0x7fff, v2
	v_cmp_ne_u16_e32 vcc, 0, v3
	v_cndmask_b32_e64 v3, 0, 1, vcc
	s_mov_b64 s[8:9], -1
	s_mov_b64 s[0:1], 0
	global_store_byte v[0:1], v3, off
.LBB31_388:
	s_mov_b64 s[10:11], 0
.LBB31_389:
	s_and_b64 vcc, exec, s[10:11]
	s_cbranch_vccz .LBB31_428
; %bb.390:
	v_mov_b32_e32 v3, 5
	v_cmp_lt_i16_sdwa s[10:11], s75, v3 src0_sel:BYTE_0 src1_sel:DWORD
	s_mov_b64 s[8:9], -1
	s_and_b64 vcc, exec, s[10:11]
	s_cbranch_vccnz .LBB31_411
; %bb.391:
	v_mov_b32_e32 v3, 8
	v_cmp_lt_i16_sdwa s[10:11], s75, v3 src0_sel:BYTE_0 src1_sel:DWORD
	s_and_b64 vcc, exec, s[10:11]
	s_cbranch_vccnz .LBB31_401
; %bb.392:
	v_mov_b32_e32 v3, 9
	v_cmp_lt_i16_sdwa s[10:11], s75, v3 src0_sel:BYTE_0 src1_sel:DWORD
	s_and_b64 vcc, exec, s[10:11]
	s_cbranch_vccnz .LBB31_398
; %bb.393:
	v_cmp_gt_i16_sdwa s[10:11], s75, v3 src0_sel:BYTE_0 src1_sel:DWORD
	s_and_b64 vcc, exec, s[10:11]
	s_cbranch_vccz .LBB31_395
; %bb.394:
	v_lshlrev_b32_e32 v3, 16, v2
	v_mov_b32_e32 v12, 0
	v_cvt_f64_f32_e32 v[10:11], v3
	v_mov_b32_e32 v13, v12
	s_mov_b64 s[8:9], 0
	global_store_dwordx4 v[0:1], v[10:13], off
.LBB31_395:
	s_andn2_b64 vcc, exec, s[8:9]
	s_cbranch_vccnz .LBB31_397
; %bb.396:
	v_lshlrev_b32_e32 v6, 16, v2
	v_mov_b32_e32 v7, 0
	global_store_dwordx2 v[0:1], v[6:7], off
.LBB31_397:
	s_mov_b64 s[8:9], 0
.LBB31_398:
	s_andn2_b64 vcc, exec, s[8:9]
	s_cbranch_vccnz .LBB31_400
; %bb.399:
	v_lshlrev_b32_e32 v3, 16, v2
	v_cvt_f16_f32_e32 v3, v3
	global_store_dword v[0:1], v3, off
.LBB31_400:
	s_mov_b64 s[8:9], 0
.LBB31_401:
	s_andn2_b64 vcc, exec, s[8:9]
	s_cbranch_vccnz .LBB31_410
; %bb.402:
	v_mov_b32_e32 v3, 6
	v_cmp_lt_i16_sdwa s[10:11], s75, v3 src0_sel:BYTE_0 src1_sel:DWORD
	s_mov_b64 s[8:9], -1
	s_and_b64 vcc, exec, s[10:11]
	s_cbranch_vccnz .LBB31_408
; %bb.403:
	v_cmp_gt_i16_sdwa s[10:11], s75, v3 src0_sel:BYTE_0 src1_sel:DWORD
	s_and_b64 vcc, exec, s[10:11]
	s_cbranch_vccz .LBB31_405
; %bb.404:
	v_lshlrev_b32_e32 v3, 16, v2
	v_cvt_f64_f32_e32 v[6:7], v3
	s_mov_b64 s[8:9], 0
	global_store_dwordx2 v[0:1], v[6:7], off
.LBB31_405:
	s_andn2_b64 vcc, exec, s[8:9]
	s_cbranch_vccnz .LBB31_407
; %bb.406:
	v_lshlrev_b32_e32 v3, 16, v2
	global_store_dword v[0:1], v3, off
.LBB31_407:
	s_mov_b64 s[8:9], 0
.LBB31_408:
	s_andn2_b64 vcc, exec, s[8:9]
	s_cbranch_vccnz .LBB31_410
; %bb.409:
	v_lshlrev_b32_e32 v3, 16, v2
	v_cvt_f16_f32_e32 v3, v3
	global_store_short v[0:1], v3, off
.LBB31_410:
	s_mov_b64 s[8:9], 0
.LBB31_411:
	s_andn2_b64 vcc, exec, s[8:9]
	s_cbranch_vccnz .LBB31_427
; %bb.412:
	v_mov_b32_e32 v3, 2
	v_cmp_lt_i16_sdwa s[10:11], s75, v3 src0_sel:BYTE_0 src1_sel:DWORD
	s_mov_b64 s[8:9], -1
	s_and_b64 vcc, exec, s[10:11]
	s_cbranch_vccnz .LBB31_422
; %bb.413:
	v_mov_b32_e32 v3, 3
	v_cmp_lt_i16_sdwa s[10:11], s75, v3 src0_sel:BYTE_0 src1_sel:DWORD
	s_and_b64 vcc, exec, s[10:11]
	s_cbranch_vccnz .LBB31_419
; %bb.414:
	v_cmp_gt_i16_sdwa s[10:11], s75, v3 src0_sel:BYTE_0 src1_sel:DWORD
	s_and_b64 vcc, exec, s[10:11]
	s_cbranch_vccz .LBB31_416
; %bb.415:
	v_lshlrev_b32_e32 v3, 16, v2
	v_trunc_f32_e32 v3, v3
	s_mov_b32 s8, 0x2f800000
	v_mul_f32_e64 v5, |v3|, s8
	v_floor_f32_e32 v5, v5
	s_mov_b32 s8, 0xcf800000
	v_cvt_u32_f32_e32 v6, v5
	v_fma_f32 v5, v5, s8, |v3|
	v_cvt_u32_f32_e32 v5, v5
	v_ashrrev_i32_e32 v3, 31, v3
	v_xor_b32_e32 v7, v6, v3
	s_mov_b64 s[8:9], 0
	v_xor_b32_e32 v5, v5, v3
	v_sub_co_u32_e32 v6, vcc, v5, v3
	v_subb_co_u32_e32 v7, vcc, v7, v3, vcc
	global_store_dwordx2 v[0:1], v[6:7], off
.LBB31_416:
	s_andn2_b64 vcc, exec, s[8:9]
	s_cbranch_vccnz .LBB31_418
; %bb.417:
	v_lshlrev_b32_e32 v3, 16, v2
	v_cvt_i32_f32_e32 v3, v3
	global_store_dword v[0:1], v3, off
.LBB31_418:
	s_mov_b64 s[8:9], 0
.LBB31_419:
	s_andn2_b64 vcc, exec, s[8:9]
	s_cbranch_vccnz .LBB31_421
; %bb.420:
	v_lshlrev_b32_e32 v3, 16, v2
	v_cvt_i32_f32_e32 v3, v3
	global_store_short v[0:1], v3, off
.LBB31_421:
	s_mov_b64 s[8:9], 0
.LBB31_422:
	s_andn2_b64 vcc, exec, s[8:9]
	s_cbranch_vccnz .LBB31_427
; %bb.423:
	v_mov_b32_e32 v3, 0
	v_cmp_gt_i16_sdwa s[10:11], s75, v3 src0_sel:BYTE_0 src1_sel:DWORD
	s_mov_b64 s[8:9], -1
	s_and_b64 vcc, exec, s[10:11]
	v_lshlrev_b32_e32 v2, 16, v2
	s_cbranch_vccz .LBB31_425
; %bb.424:
	v_cvt_i32_f32_e32 v3, v2
	s_mov_b64 s[8:9], 0
	global_store_byte v[0:1], v3, off
.LBB31_425:
	s_andn2_b64 vcc, exec, s[8:9]
	s_cbranch_vccnz .LBB31_427
; %bb.426:
	v_trunc_f32_e32 v2, v2
	s_mov_b32 s8, 0x2f800000
	v_mul_f32_e64 v3, |v2|, s8
	v_floor_f32_e32 v3, v3
	s_mov_b32 s8, 0xcf800000
	v_fma_f32 v3, v3, s8, |v2|
	v_cvt_u32_f32_e32 v3, v3
	v_ashrrev_i32_e32 v2, 31, v2
	v_xor_b32_e32 v3, v3, v2
	v_sub_u32_e32 v2, v3, v2
	global_store_byte v[0:1], v2, off
.LBB31_427:
	s_mov_b64 s[8:9], -1
.LBB31_428:
	s_andn2_b64 vcc, exec, s[8:9]
	s_cbranch_vccnz .LBB31_430
; %bb.429:
	v_add_u32_e32 v8, 0x80, v8
	s_mov_b64 s[8:9], -1
	s_branch .LBB31_543
.LBB31_430:
	s_mov_b64 s[8:9], 0
	s_branch .LBB31_542
.LBB31_431:
	s_mov_b64 s[2:3], -1
                                        ; implicit-def: $vgpr1
.LBB31_432:
	s_mov_b64 s[8:9], 0
.LBB31_433:
	s_and_b64 vcc, exec, s[8:9]
	s_cbranch_vccz .LBB31_437
; %bb.434:
	v_cmp_eq_u16_e64 s[2:3], s77, 29
	s_and_b64 vcc, exec, s[2:3]
	s_cbranch_vccz .LBB31_436
; %bb.435:
	global_load_dwordx2 v[6:7], v[2:3], off
	s_movk_i32 s2, 0x7fff
	s_mov_b64 s[0:1], -1
	s_mov_b64 s[8:9], 0
	s_waitcnt vmcnt(0)
	v_ffbh_u32_e32 v1, v7
	v_min_u32_e32 v1, 32, v1
	v_lshlrev_b64 v[6:7], v1, v[6:7]
	v_min_u32_e32 v5, 1, v6
	v_or_b32_e32 v5, v7, v5
	v_cvt_f32_u32_e32 v5, v5
	v_sub_u32_e32 v1, 32, v1
	v_ldexp_f32 v1, v5, v1
	v_bfe_u32 v5, v1, 16, 1
	v_add3_u32 v1, v1, v5, s2
	v_lshrrev_b32_e32 v1, 16, v1
	s_mov_b64 s[2:3], 0
	s_branch .LBB31_438
.LBB31_436:
	s_mov_b64 s[2:3], -1
                                        ; implicit-def: $vgpr1
.LBB31_437:
	s_mov_b64 s[8:9], 0
.LBB31_438:
	s_and_b64 vcc, exec, s[8:9]
	s_cbranch_vccz .LBB31_456
; %bb.439:
	v_cmp_lt_i16_e64 s[0:1], s77, 27
	s_and_b64 vcc, exec, s[0:1]
	s_cbranch_vccnz .LBB31_442
; %bb.440:
	v_cmp_gt_i16_e64 s[0:1], s77, 27
	s_and_b64 vcc, exec, s[0:1]
	s_cbranch_vccz .LBB31_443
; %bb.441:
	global_load_dword v1, v[2:3], off
	s_movk_i32 s0, 0x7fff
	s_waitcnt vmcnt(0)
	v_cvt_f32_u32_e32 v1, v1
	v_bfe_u32 v5, v1, 16, 1
	v_add3_u32 v1, v1, v5, s0
	v_lshrrev_b32_e32 v1, 16, v1
	s_mov_b64 s[0:1], 0
	s_branch .LBB31_444
.LBB31_442:
	s_mov_b64 s[0:1], -1
                                        ; implicit-def: $vgpr1
	s_branch .LBB31_447
.LBB31_443:
	s_mov_b64 s[0:1], -1
                                        ; implicit-def: $vgpr1
.LBB31_444:
	s_andn2_b64 vcc, exec, s[0:1]
	s_cbranch_vccnz .LBB31_446
; %bb.445:
	global_load_ushort v1, v[2:3], off
	s_movk_i32 s0, 0x7fff
	s_waitcnt vmcnt(0)
	v_cvt_f32_u32_e32 v1, v1
	v_bfe_u32 v5, v1, 16, 1
	v_add3_u32 v1, v1, v5, s0
	v_lshrrev_b32_e32 v1, 16, v1
.LBB31_446:
	s_mov_b64 s[0:1], 0
.LBB31_447:
	s_andn2_b64 vcc, exec, s[0:1]
	s_cbranch_vccnz .LBB31_455
; %bb.448:
	global_load_ubyte v1, v[2:3], off
	s_movk_i32 s0, 0x7f
                                        ; implicit-def: $sgpr12
	s_waitcnt vmcnt(0)
	v_cmp_lt_i16_e32 vcc, s0, v1
	s_mov_b64 s[0:1], 0
	s_and_saveexec_b64 s[8:9], vcc
	s_xor_b64 s[8:9], exec, s[8:9]
	s_cbranch_execz .LBB31_469
; %bb.449:
	s_movk_i32 s0, 0x80
	v_cmp_eq_u16_e32 vcc, s0, v1
	s_mov_b64 s[0:1], -1
                                        ; implicit-def: $sgpr12
	s_and_saveexec_b64 s[10:11], vcc
; %bb.450:
	s_mov_b32 s12, 0x7f800001
	s_xor_b64 s[0:1], exec, -1
; %bb.451:
	s_or_b64 exec, exec, s[10:11]
	s_and_b64 s[0:1], s[0:1], exec
	s_or_saveexec_b64 s[8:9], s[8:9]
	v_mov_b32_e32 v5, s12
	s_xor_b64 exec, exec, s[8:9]
	s_cbranch_execnz .LBB31_470
.LBB31_452:
	s_or_b64 exec, exec, s[8:9]
	s_and_saveexec_b64 s[8:9], s[0:1]
	s_cbranch_execz .LBB31_454
.LBB31_453:
	v_lshlrev_b32_e32 v5, 24, v1
	v_and_b32_e32 v1, 0xffff, v1
	v_and_b32_e32 v6, 7, v1
	v_ffbh_u32_e32 v9, v6
	v_min_u32_e32 v9, 32, v9
	v_subrev_u32_e32 v10, 28, v9
	v_bfe_u32 v7, v1, 3, 4
	v_lshlrev_b32_e32 v1, v10, v1
	v_sub_u32_e32 v9, 29, v9
	v_and_b32_e32 v1, 7, v1
	v_cmp_eq_u32_e32 vcc, 0, v7
	v_cndmask_b32_e32 v7, v7, v9, vcc
	v_cndmask_b32_e32 v1, v6, v1, vcc
	v_mov_b32_e32 v6, 0x3b800000
	v_lshlrev_b32_e32 v1, 20, v1
	v_and_b32_e32 v5, 0x80000000, v5
	v_lshl_add_u32 v6, v7, 23, v6
	v_or3_b32 v5, v5, v6, v1
.LBB31_454:
	s_or_b64 exec, exec, s[8:9]
	v_bfe_u32 v1, v5, 16, 1
	s_movk_i32 s0, 0x7fff
	v_add3_u32 v1, v5, v1, s0
	v_lshrrev_b32_e32 v1, 16, v1
	v_mov_b32_e32 v6, 0x7fc0
	v_cmp_o_f32_e32 vcc, v5, v5
	v_cndmask_b32_e32 v1, v6, v1, vcc
.LBB31_455:
	s_mov_b64 s[0:1], -1
.LBB31_456:
	s_mov_b64 s[8:9], 0
.LBB31_457:
	s_and_b64 vcc, exec, s[8:9]
	s_cbranch_vccz .LBB31_492
; %bb.458:
	v_cmp_gt_i16_e64 s[8:9], s77, 22
	s_and_b64 vcc, exec, s[8:9]
	s_cbranch_vccz .LBB31_468
; %bb.459:
	v_cmp_lt_i16_e64 s[0:1], s77, 24
	s_and_b64 vcc, exec, s[0:1]
	s_cbranch_vccnz .LBB31_471
; %bb.460:
	v_cmp_gt_i16_e64 s[0:1], s77, 24
	s_and_b64 vcc, exec, s[0:1]
	s_cbranch_vccz .LBB31_472
; %bb.461:
	global_load_ubyte v1, v[2:3], off
	s_movk_i32 s0, 0x7f
                                        ; implicit-def: $sgpr12
	s_waitcnt vmcnt(0)
	v_cmp_lt_i16_e32 vcc, s0, v1
	s_mov_b64 s[0:1], 0
	s_and_saveexec_b64 s[8:9], vcc
	s_xor_b64 s[8:9], exec, s[8:9]
	s_cbranch_execz .LBB31_484
; %bb.462:
	s_movk_i32 s0, 0x80
	v_cmp_eq_u16_e32 vcc, s0, v1
	s_mov_b64 s[0:1], -1
                                        ; implicit-def: $sgpr12
	s_and_saveexec_b64 s[10:11], vcc
; %bb.463:
	s_mov_b32 s12, 0x7f800001
	s_xor_b64 s[0:1], exec, -1
; %bb.464:
	s_or_b64 exec, exec, s[10:11]
	s_and_b64 s[0:1], s[0:1], exec
	s_or_saveexec_b64 s[8:9], s[8:9]
	v_mov_b32_e32 v5, s12
	s_xor_b64 exec, exec, s[8:9]
	s_cbranch_execnz .LBB31_485
.LBB31_465:
	s_or_b64 exec, exec, s[8:9]
	s_and_saveexec_b64 s[8:9], s[0:1]
	s_cbranch_execz .LBB31_467
.LBB31_466:
	v_lshlrev_b32_e32 v5, 24, v1
	v_and_b32_e32 v1, 0xffff, v1
	v_and_b32_e32 v6, 3, v1
	v_ffbh_u32_e32 v9, v6
	v_min_u32_e32 v9, 32, v9
	v_subrev_u32_e32 v10, 29, v9
	v_bfe_u32 v7, v1, 2, 5
	v_lshlrev_b32_e32 v1, v10, v1
	v_sub_u32_e32 v9, 30, v9
	v_and_b32_e32 v1, 3, v1
	v_cmp_eq_u32_e32 vcc, 0, v7
	v_cndmask_b32_e32 v7, v7, v9, vcc
	v_cndmask_b32_e32 v1, v6, v1, vcc
	v_mov_b32_e32 v6, 0x37800000
	v_lshlrev_b32_e32 v1, 21, v1
	v_and_b32_e32 v5, 0x80000000, v5
	v_lshl_add_u32 v6, v7, 23, v6
	v_or3_b32 v5, v5, v6, v1
.LBB31_467:
	s_or_b64 exec, exec, s[8:9]
	v_bfe_u32 v1, v5, 16, 1
	s_movk_i32 s0, 0x7fff
	v_add3_u32 v1, v5, v1, s0
	v_lshrrev_b32_e32 v1, 16, v1
	v_mov_b32_e32 v6, 0x7fc0
	v_cmp_o_f32_e32 vcc, v5, v5
	v_cndmask_b32_e32 v1, v6, v1, vcc
	s_mov_b64 s[0:1], 0
	s_branch .LBB31_473
.LBB31_468:
	s_mov_b64 s[8:9], -1
                                        ; implicit-def: $vgpr1
	s_branch .LBB31_479
.LBB31_469:
	s_or_saveexec_b64 s[8:9], s[8:9]
	v_mov_b32_e32 v5, s12
	s_xor_b64 exec, exec, s[8:9]
	s_cbranch_execz .LBB31_452
.LBB31_470:
	v_cmp_ne_u16_e32 vcc, 0, v1
	s_andn2_b64 s[0:1], s[0:1], exec
	s_and_b64 s[10:11], vcc, exec
	v_mov_b32_e32 v5, 0
	s_or_b64 s[0:1], s[0:1], s[10:11]
	s_or_b64 exec, exec, s[8:9]
	s_and_saveexec_b64 s[8:9], s[0:1]
	s_cbranch_execnz .LBB31_453
	s_branch .LBB31_454
.LBB31_471:
	s_mov_b64 s[0:1], -1
                                        ; implicit-def: $vgpr1
	s_branch .LBB31_476
.LBB31_472:
	s_mov_b64 s[0:1], -1
                                        ; implicit-def: $vgpr1
.LBB31_473:
	s_and_b64 vcc, exec, s[0:1]
	s_cbranch_vccz .LBB31_475
; %bb.474:
	global_load_ubyte v1, v[2:3], off
	s_mov_b32 s0, 0x7f800000
	s_brev_b32 s1, 1
	s_movk_i32 s8, 0x7fff
	v_mov_b32_e32 v5, 0x7fc0
	s_waitcnt vmcnt(0)
	v_lshlrev_b32_e32 v1, 24, v1
	v_and_b32_e32 v6, 0x7f000000, v1
	v_ffbh_u32_e32 v7, v6
	v_min_u32_e32 v7, 32, v7
	v_sub_u32_e64 v7, v7, 4 clamp
	v_lshlrev_b32_e32 v10, v7, v6
	v_lshlrev_b32_e32 v7, 23, v7
	v_lshrrev_b32_e32 v10, 4, v10
	v_add_u32_e32 v9, 0x1000000, v6
	v_sub_u32_e32 v7, v10, v7
	v_ashrrev_i32_e32 v9, 8, v9
	v_add_u32_e32 v7, 0x3c000000, v7
	v_and_or_b32 v7, v9, s0, v7
	v_cmp_ne_u32_e32 vcc, 0, v6
	v_cndmask_b32_e32 v6, 0, v7, vcc
	v_and_or_b32 v1, v1, s1, v6
	v_bfe_u32 v6, v6, 16, 1
	v_add3_u32 v6, v1, v6, s8
	v_lshrrev_b32_e32 v6, 16, v6
	v_cmp_o_f32_e32 vcc, v1, v1
	v_cndmask_b32_e32 v1, v5, v6, vcc
.LBB31_475:
	s_mov_b64 s[0:1], 0
.LBB31_476:
	s_andn2_b64 vcc, exec, s[0:1]
	s_cbranch_vccnz .LBB31_478
; %bb.477:
	global_load_ubyte v1, v[2:3], off
	s_movk_i32 s0, 0x7f00
	s_brev_b32 s1, 16
	s_brev_b32 s8, 1
	s_movk_i32 s9, 0x7fff
	v_mov_b32_e32 v5, 0x7fc0
	s_waitcnt vmcnt(0)
	v_lshlrev_b16_e32 v6, 8, v1
	v_lshlrev_b32_e32 v1, 25, v1
	v_lshrrev_b32_e32 v7, 4, v1
	v_and_or_b32 v9, v6, s0, 0.5
	v_or_b32_e32 v7, 0x70000000, v7
	v_add_f32_e32 v9, -0.5, v9
	v_mul_f32_e32 v7, 0x7800000, v7
	v_cmp_gt_u32_e32 vcc, s1, v1
	v_bfe_i32 v6, v6, 0, 16
	v_cndmask_b32_e32 v1, v7, v9, vcc
	v_and_or_b32 v6, v6, s8, v1
	v_bfe_u32 v1, v1, 16, 1
	v_add3_u32 v1, v6, v1, s9
	v_lshrrev_b32_e32 v1, 16, v1
	v_cmp_o_f32_e32 vcc, v6, v6
	v_cndmask_b32_e32 v1, v5, v1, vcc
.LBB31_478:
	s_mov_b64 s[8:9], 0
	s_mov_b64 s[0:1], -1
.LBB31_479:
	s_andn2_b64 vcc, exec, s[8:9]
	s_cbranch_vccnz .LBB31_492
; %bb.480:
	v_cmp_gt_i16_e64 s[8:9], s77, 14
	s_and_b64 vcc, exec, s[8:9]
	s_cbranch_vccz .LBB31_483
; %bb.481:
	v_cmp_eq_u16_e64 s[2:3], s77, 15
	s_and_b64 vcc, exec, s[2:3]
	s_cbranch_vccz .LBB31_486
; %bb.482:
	global_load_ushort v1, v[2:3], off
	s_mov_b64 s[0:1], -1
	s_mov_b64 s[2:3], 0
	s_branch .LBB31_487
.LBB31_483:
	s_mov_b64 s[8:9], -1
                                        ; implicit-def: $vgpr1
	s_branch .LBB31_488
.LBB31_484:
	s_or_saveexec_b64 s[8:9], s[8:9]
	v_mov_b32_e32 v5, s12
	s_xor_b64 exec, exec, s[8:9]
	s_cbranch_execz .LBB31_465
.LBB31_485:
	v_cmp_ne_u16_e32 vcc, 0, v1
	s_andn2_b64 s[0:1], s[0:1], exec
	s_and_b64 s[10:11], vcc, exec
	v_mov_b32_e32 v5, 0
	s_or_b64 s[0:1], s[0:1], s[10:11]
	s_or_b64 exec, exec, s[8:9]
	s_and_saveexec_b64 s[8:9], s[0:1]
	s_cbranch_execnz .LBB31_466
	s_branch .LBB31_467
.LBB31_486:
	s_mov_b64 s[2:3], -1
                                        ; implicit-def: $vgpr1
.LBB31_487:
	s_mov_b64 s[8:9], 0
.LBB31_488:
	s_and_b64 vcc, exec, s[8:9]
	s_cbranch_vccz .LBB31_492
; %bb.489:
	v_cmp_eq_u16_e64 s[2:3], s77, 11
	s_and_b64 vcc, exec, s[2:3]
	s_cbranch_vccz .LBB31_491
; %bb.490:
	global_load_ubyte v1, v[2:3], off
	s_mov_b64 s[0:1], -1
	s_mov_b64 s[2:3], 0
	s_waitcnt vmcnt(0)
	v_cmp_ne_u16_e32 vcc, 0, v1
	v_cndmask_b32_e64 v1, 0, 1.0, vcc
	v_lshrrev_b32_e32 v1, 16, v1
	s_branch .LBB31_492
.LBB31_491:
	s_mov_b64 s[2:3], -1
                                        ; implicit-def: $vgpr1
.LBB31_492:
	s_branch .LBB31_295
.LBB31_493:
	v_cmp_lt_i16_e64 s[0:1], s77, 5
	s_and_b64 vcc, exec, s[0:1]
	s_cbranch_vccnz .LBB31_498
; %bb.494:
	v_cmp_lt_i16_e64 s[0:1], s77, 8
	s_and_b64 vcc, exec, s[0:1]
	s_cbranch_vccnz .LBB31_499
; %bb.495:
	;; [unrolled: 4-line block ×3, first 2 shown]
	v_cmp_gt_i16_e64 s[0:1], s77, 9
	s_and_b64 vcc, exec, s[0:1]
	s_cbranch_vccz .LBB31_501
; %bb.497:
	global_load_dwordx2 v[6:7], v[2:3], off
	s_movk_i32 s0, 0x7fff
	s_waitcnt vmcnt(1)
	v_mov_b32_e32 v1, 0x7fc0
	s_waitcnt vmcnt(0)
	v_cvt_f32_f64_e32 v5, v[6:7]
	v_bfe_u32 v6, v5, 16, 1
	v_add3_u32 v6, v5, v6, s0
	v_lshrrev_b32_e32 v6, 16, v6
	v_cmp_o_f32_e32 vcc, v5, v5
	v_cndmask_b32_e32 v1, v1, v6, vcc
	s_mov_b64 s[0:1], 0
	s_branch .LBB31_502
.LBB31_498:
	s_mov_b64 s[0:1], -1
                                        ; implicit-def: $vgpr1
	s_branch .LBB31_520
.LBB31_499:
	s_mov_b64 s[0:1], -1
                                        ; implicit-def: $vgpr1
	s_branch .LBB31_508
.LBB31_500:
	s_mov_b64 s[0:1], -1
                                        ; implicit-def: $vgpr1
	s_branch .LBB31_505
.LBB31_501:
	s_mov_b64 s[0:1], -1
                                        ; implicit-def: $vgpr1
.LBB31_502:
	s_andn2_b64 vcc, exec, s[0:1]
	s_cbranch_vccnz .LBB31_504
; %bb.503:
	global_load_dword v1, v[2:3], off
	s_movk_i32 s0, 0x7fff
	v_mov_b32_e32 v5, 0x7fc0
	s_waitcnt vmcnt(0)
	v_bfe_u32 v6, v1, 16, 1
	v_add3_u32 v6, v1, v6, s0
	v_lshrrev_b32_e32 v6, 16, v6
	v_cmp_o_f32_e32 vcc, v1, v1
	v_cndmask_b32_e32 v1, v5, v6, vcc
.LBB31_504:
	s_mov_b64 s[0:1], 0
.LBB31_505:
	s_andn2_b64 vcc, exec, s[0:1]
	s_cbranch_vccnz .LBB31_507
; %bb.506:
	global_load_dword v1, v[2:3], off
	s_movk_i32 s0, 0x7fff
	v_mov_b32_e32 v6, 0x7fc0
	s_waitcnt vmcnt(0)
	v_cvt_f32_f16_e32 v5, v1
	v_cmp_o_f16_e32 vcc, v1, v1
	v_bfe_u32 v7, v5, 16, 1
	v_add3_u32 v5, v5, v7, s0
	v_lshrrev_b32_e32 v5, 16, v5
	v_cndmask_b32_e32 v1, v6, v5, vcc
.LBB31_507:
	s_mov_b64 s[0:1], 0
.LBB31_508:
	s_andn2_b64 vcc, exec, s[0:1]
	s_cbranch_vccnz .LBB31_519
; %bb.509:
	v_cmp_lt_i16_e64 s[0:1], s77, 6
	s_and_b64 vcc, exec, s[0:1]
	s_cbranch_vccnz .LBB31_512
; %bb.510:
	v_cmp_gt_i16_e64 s[0:1], s77, 6
	s_and_b64 vcc, exec, s[0:1]
	s_cbranch_vccz .LBB31_513
; %bb.511:
	global_load_dwordx2 v[6:7], v[2:3], off
	s_movk_i32 s0, 0x7fff
	s_waitcnt vmcnt(1)
	v_mov_b32_e32 v1, 0x7fc0
	s_waitcnt vmcnt(0)
	v_cvt_f32_f64_e32 v5, v[6:7]
	v_bfe_u32 v6, v5, 16, 1
	v_add3_u32 v6, v5, v6, s0
	v_lshrrev_b32_e32 v6, 16, v6
	v_cmp_o_f32_e32 vcc, v5, v5
	v_cndmask_b32_e32 v1, v1, v6, vcc
	s_mov_b64 s[0:1], 0
	s_branch .LBB31_514
.LBB31_512:
	s_mov_b64 s[0:1], -1
                                        ; implicit-def: $vgpr1
	s_branch .LBB31_517
.LBB31_513:
	s_mov_b64 s[0:1], -1
                                        ; implicit-def: $vgpr1
.LBB31_514:
	s_andn2_b64 vcc, exec, s[0:1]
	s_cbranch_vccnz .LBB31_516
; %bb.515:
	global_load_dword v1, v[2:3], off
	s_movk_i32 s0, 0x7fff
	v_mov_b32_e32 v5, 0x7fc0
	s_waitcnt vmcnt(0)
	v_bfe_u32 v6, v1, 16, 1
	v_add3_u32 v6, v1, v6, s0
	v_lshrrev_b32_e32 v6, 16, v6
	v_cmp_o_f32_e32 vcc, v1, v1
	v_cndmask_b32_e32 v1, v5, v6, vcc
.LBB31_516:
	s_mov_b64 s[0:1], 0
.LBB31_517:
	s_andn2_b64 vcc, exec, s[0:1]
	s_cbranch_vccnz .LBB31_519
; %bb.518:
	global_load_ushort v1, v[2:3], off
	s_movk_i32 s0, 0x7fff
	v_mov_b32_e32 v6, 0x7fc0
	s_waitcnt vmcnt(0)
	v_cvt_f32_f16_e32 v5, v1
	v_cmp_o_f16_e32 vcc, v1, v1
	v_bfe_u32 v7, v5, 16, 1
	v_add3_u32 v5, v5, v7, s0
	v_lshrrev_b32_e32 v5, 16, v5
	v_cndmask_b32_e32 v1, v6, v5, vcc
.LBB31_519:
	s_mov_b64 s[0:1], 0
.LBB31_520:
	s_andn2_b64 vcc, exec, s[0:1]
	s_cbranch_vccnz .LBB31_540
; %bb.521:
	v_cmp_lt_i16_e64 s[0:1], s77, 2
	s_and_b64 vcc, exec, s[0:1]
	s_cbranch_vccnz .LBB31_525
; %bb.522:
	v_cmp_lt_i16_e64 s[0:1], s77, 3
	s_and_b64 vcc, exec, s[0:1]
	s_cbranch_vccnz .LBB31_526
; %bb.523:
	v_cmp_gt_i16_e64 s[0:1], s77, 3
	s_and_b64 vcc, exec, s[0:1]
	s_cbranch_vccz .LBB31_527
; %bb.524:
	global_load_dwordx2 v[6:7], v[2:3], off
	s_movk_i32 s0, 0x7fff
	s_waitcnt vmcnt(0)
	v_xor_b32_e32 v5, v6, v7
	v_ffbh_i32_e32 v1, v7
	v_ashrrev_i32_e32 v5, 31, v5
	v_add_u32_e32 v1, -1, v1
	v_add_u32_e32 v5, 32, v5
	v_min_u32_e32 v1, v1, v5
	v_lshlrev_b64 v[6:7], v1, v[6:7]
	v_min_u32_e32 v5, 1, v6
	v_or_b32_e32 v5, v7, v5
	v_cvt_f32_i32_e32 v5, v5
	v_sub_u32_e32 v1, 32, v1
	v_ldexp_f32 v1, v5, v1
	v_bfe_u32 v5, v1, 16, 1
	v_add3_u32 v1, v1, v5, s0
	v_lshrrev_b32_e32 v1, 16, v1
	s_mov_b64 s[0:1], 0
	s_branch .LBB31_528
.LBB31_525:
	s_mov_b64 s[0:1], -1
                                        ; implicit-def: $vgpr1
	s_branch .LBB31_534
.LBB31_526:
	s_mov_b64 s[0:1], -1
                                        ; implicit-def: $vgpr1
	s_branch .LBB31_531
.LBB31_527:
	s_mov_b64 s[0:1], -1
                                        ; implicit-def: $vgpr1
.LBB31_528:
	s_andn2_b64 vcc, exec, s[0:1]
	s_cbranch_vccnz .LBB31_530
; %bb.529:
	global_load_dword v1, v[2:3], off
	s_movk_i32 s0, 0x7fff
	s_waitcnt vmcnt(0)
	v_cvt_f32_i32_e32 v1, v1
	v_bfe_u32 v5, v1, 16, 1
	v_add3_u32 v1, v1, v5, s0
	v_lshrrev_b32_e32 v1, 16, v1
.LBB31_530:
	s_mov_b64 s[0:1], 0
.LBB31_531:
	s_andn2_b64 vcc, exec, s[0:1]
	s_cbranch_vccnz .LBB31_533
; %bb.532:
	global_load_sshort v1, v[2:3], off
	s_movk_i32 s0, 0x7fff
	s_waitcnt vmcnt(0)
	v_cvt_f32_i32_e32 v1, v1
	v_bfe_u32 v5, v1, 16, 1
	v_add3_u32 v1, v1, v5, s0
	v_lshrrev_b32_e32 v1, 16, v1
.LBB31_533:
	s_mov_b64 s[0:1], 0
.LBB31_534:
	s_andn2_b64 vcc, exec, s[0:1]
	s_cbranch_vccnz .LBB31_540
; %bb.535:
	v_cmp_gt_i16_e64 s[0:1], s77, 0
	s_and_b64 vcc, exec, s[0:1]
	s_cbranch_vccz .LBB31_537
; %bb.536:
	global_load_sbyte v1, v[2:3], off
	s_movk_i32 s0, 0x7fff
	s_waitcnt vmcnt(0)
	v_cvt_f32_i32_e32 v1, v1
	v_bfe_u32 v5, v1, 16, 1
	v_add3_u32 v1, v1, v5, s0
	v_lshrrev_b32_e32 v1, 16, v1
	s_mov_b64 s[0:1], 0
	s_branch .LBB31_538
.LBB31_537:
	s_mov_b64 s[0:1], -1
                                        ; implicit-def: $vgpr1
.LBB31_538:
	s_andn2_b64 vcc, exec, s[0:1]
	s_cbranch_vccnz .LBB31_540
; %bb.539:
	global_load_ubyte v1, v[2:3], off
	s_movk_i32 s0, 0x7fff
	s_waitcnt vmcnt(0)
	v_cvt_f32_ubyte0_e32 v1, v1
	v_bfe_u32 v2, v1, 16, 1
	v_add3_u32 v1, v1, v2, s0
	v_lshrrev_b32_e32 v1, 16, v1
.LBB31_540:
	s_branch .LBB31_296
.LBB31_541:
	s_mov_b64 s[8:9], 0
	s_mov_b64 s[0:1], s[52:53]
.LBB31_542:
                                        ; implicit-def: $vgpr8
.LBB31_543:
	s_andn2_b64 s[10:11], s[52:53], exec
	s_and_b64 s[0:1], s[0:1], exec
	s_or_b64 s[60:61], s[10:11], s[0:1]
	s_andn2_b64 s[0:1], s[54:55], exec
	s_and_b64 s[2:3], s[2:3], exec
	s_or_b64 s[58:59], s[0:1], s[2:3]
	s_orn2_b64 s[0:1], s[8:9], exec
.LBB31_544:
	s_or_b64 exec, exec, s[62:63]
	s_mov_b64 s[2:3], 0
	s_mov_b64 s[8:9], 0
	;; [unrolled: 1-line block ×3, first 2 shown]
                                        ; implicit-def: $vgpr2_vgpr3
                                        ; implicit-def: $vgpr0
                                        ; implicit-def: $vgpr6
	s_and_saveexec_b64 s[62:63], s[0:1]
	s_cbranch_execz .LBB31_921
; %bb.545:
	v_cmp_gt_i32_e32 vcc, s72, v8
	s_mov_b64 s[2:3], -1
	s_mov_b64 s[66:67], s[58:59]
	s_mov_b64 s[68:69], s[60:61]
	s_and_saveexec_b64 s[64:65], vcc
	s_cbranch_execz .LBB31_820
; %bb.546:
	s_andn2_b64 vcc, exec, s[40:41]
	s_cbranch_vccnz .LBB31_552
; %bb.547:
	s_mov_b32 s66, 0
	s_andn2_b64 vcc, exec, s[50:51]
	v_mov_b32_e32 v2, 0
	v_mov_b32_e32 v0, 0
	s_cbranch_vccnz .LBB31_558
; %bb.548:
	s_add_i32 s78, s73, 1
	s_cmp_eq_u32 s74, 2
	s_cbranch_scc1 .LBB31_553
; %bb.549:
	s_and_b32 s66, s78, 28
	s_mov_b32 s67, 0
	v_mov_b32_e32 v0, 0
	s_mov_b64 s[68:69], s[34:35]
	s_mov_b64 s[70:71], s[48:49]
	v_mov_b32_e32 v3, v8
	v_mov_b32_e32 v2, 0
.LBB31_550:                             ; =>This Inner Loop Header: Depth=1
	s_load_dwordx8 s[16:23], s[68:69], 0x4
	s_load_dwordx4 s[0:3], s[68:69], 0x24
	s_load_dwordx8 s[8:15], s[70:71], 0x0
	s_add_u32 s68, s68, 48
	s_addc_u32 s69, s69, 0
	s_waitcnt vmcnt(0) lgkmcnt(0)
	v_mul_hi_u32 v1, s17, v3
	v_add_u32_e32 v1, v3, v1
	v_lshrrev_b32_e32 v1, s18, v1
	v_mul_lo_u32 v5, v1, s16
	v_mul_hi_u32 v6, s20, v1
	v_sub_u32_e32 v3, v3, v5
	v_add_u32_e32 v5, v1, v6
	v_lshrrev_b32_e32 v5, s21, v5
	v_mul_lo_u32 v7, v5, s19
	v_mul_hi_u32 v9, s23, v5
	v_sub_u32_e32 v1, v1, v7
	v_add_u32_e32 v7, v5, v9
	v_mul_lo_u32 v6, v3, s9
	v_mul_lo_u32 v3, v3, s8
	;; [unrolled: 1-line block ×4, first 2 shown]
	v_lshrrev_b32_e32 v7, s0, v7
	v_add3_u32 v0, v3, v0, v1
	v_mul_hi_u32 v3, s2, v7
	v_add_u32_e32 v3, v7, v3
	v_lshrrev_b32_e32 v3, s3, v3
	s_add_i32 s67, s67, 4
	v_add3_u32 v1, v6, v2, v9
	v_mul_lo_u32 v2, v7, s22
	v_mul_lo_u32 v6, v3, s1
	s_add_u32 s70, s70, 32
	v_sub_u32_e32 v2, v5, v2
	v_sub_u32_e32 v6, v7, v6
	s_addc_u32 s71, s71, 0
	v_mul_lo_u32 v5, v2, s12
	v_mul_lo_u32 v2, v2, s13
	;; [unrolled: 1-line block ×4, first 2 shown]
	s_cmp_eq_u32 s66, s67
	v_add3_u32 v2, v2, v1, v6
	v_add3_u32 v0, v5, v0, v7
	s_cbranch_scc0 .LBB31_550
; %bb.551:
	v_mov_b32_e32 v1, v2
	s_branch .LBB31_554
.LBB31_552:
	s_mov_b64 s[0:1], -1
                                        ; implicit-def: $vgpr2
                                        ; implicit-def: $vgpr0
	s_branch .LBB31_559
.LBB31_553:
	s_mov_b32 s67, s66
	s_waitcnt vmcnt(0)
	v_pk_mov_b32 v[0:1], s[66:67], s[66:67] op_sel:[0,1]
                                        ; implicit-def: $vgpr2
	v_mov_b32_e32 v3, v8
.LBB31_554:
	s_and_b32 s8, s78, 3
	s_cmp_eq_u32 s8, 0
	s_cbranch_scc1 .LBB31_558
; %bb.555:
	s_lshl_b32 s0, s66, 3
	s_add_u32 s0, s0, s34
	s_addc_u32 s1, s35, 0
	s_add_u32 s0, s0, 0xc4
	s_addc_u32 s1, s1, 0
	s_mul_i32 s2, s66, 12
	s_add_u32 s2, s34, s2
	s_addc_u32 s3, s35, 0
.LBB31_556:                             ; =>This Inner Loop Header: Depth=1
	s_load_dwordx2 s[10:11], s[2:3], 0x4
	s_load_dword s9, s[2:3], 0xc
	s_load_dwordx2 s[12:13], s[0:1], 0x0
	v_mov_b32_e32 v2, v1
	s_add_u32 s2, s2, 12
	s_waitcnt lgkmcnt(0)
	v_mul_hi_u32 v1, s11, v3
	v_add_u32_e32 v1, v3, v1
	v_lshrrev_b32_e32 v1, s9, v1
	s_addc_u32 s3, s3, 0
	v_mul_lo_u32 v5, v1, s10
	s_add_u32 s0, s0, 8
	v_sub_u32_e32 v5, v3, v5
	v_mov_b32_e32 v3, v1
	s_addc_u32 s1, s1, 0
	s_add_i32 s8, s8, -1
	v_mad_u64_u32 v[6:7], s[10:11], v5, s13, v[2:3]
	v_mad_u64_u32 v[0:1], s[10:11], v5, s12, v[0:1]
	s_cmp_lg_u32 s8, 0
	v_mov_b32_e32 v1, v6
	s_cbranch_scc1 .LBB31_556
; %bb.557:
	v_mov_b32_e32 v2, v1
.LBB31_558:
	s_mov_b64 s[0:1], 0
.LBB31_559:
	s_andn2_b64 vcc, exec, s[0:1]
	s_cbranch_vccnz .LBB31_562
; %bb.560:
	v_mul_hi_u32 v0, s29, v8
	v_add_u32_e32 v0, v8, v0
	s_waitcnt vmcnt(0)
	v_lshrrev_b32_e32 v1, s30, v0
	v_mul_lo_u32 v0, v1, s28
	v_sub_u32_e32 v0, v8, v0
	v_mul_lo_u32 v2, v0, s37
	s_andn2_b64 vcc, exec, s[44:45]
	v_mul_lo_u32 v0, v0, s36
	s_cbranch_vccnz .LBB31_562
; %bb.561:
	v_mul_hi_u32 v3, s46, v1
	v_add_u32_e32 v3, v1, v3
	v_lshrrev_b32_e32 v3, s47, v3
	v_mul_lo_u32 v3, v3, s31
	v_sub_u32_e32 v3, v1, v3
	v_mad_u64_u32 v[0:1], s[0:1], v3, s38, v[0:1]
	v_mad_u64_u32 v[2:3], s[0:1], v3, s39, v[2:3]
.LBB31_562:
	s_waitcnt vmcnt(0)
	v_mov_b32_e32 v1, s27
	v_add_co_u32_e32 v2, vcc, s26, v2
	v_addc_co_u32_e32 v3, vcc, 0, v1, vcc
	v_cmp_lt_i16_e64 s[0:1], s77, 11
	s_and_b64 vcc, exec, s[0:1]
	s_cbranch_vccnz .LBB31_569
; %bb.563:
	v_cmp_gt_i16_e64 s[0:1], s77, 25
	s_and_b64 vcc, exec, s[0:1]
	s_cbranch_vccz .LBB31_570
; %bb.564:
	v_cmp_gt_i16_e64 s[0:1], s77, 28
	s_and_b64 vcc, exec, s[0:1]
	s_cbranch_vccz .LBB31_571
	;; [unrolled: 4-line block ×4, first 2 shown]
; %bb.567:
	v_cmp_eq_u16_e64 s[0:1], s77, 46
	s_mov_b64 s[8:9], 0
	s_and_b64 vcc, exec, s[0:1]
	s_cbranch_vccz .LBB31_578
; %bb.568:
	global_load_dword v1, v[2:3], off
	s_mov_b64 s[0:1], -1
	s_mov_b64 s[2:3], 0
	s_branch .LBB31_579
.LBB31_569:
	s_mov_b64 s[8:9], -1
	s_mov_b64 s[0:1], 0
                                        ; implicit-def: $vgpr1
	s_mov_b64 s[2:3], s[58:59]
	s_branch .LBB31_644
.LBB31_570:
	s_mov_b64 s[8:9], -1
	s_mov_b64 s[0:1], 0
	s_mov_b64 s[2:3], s[58:59]
                                        ; implicit-def: $vgpr1
	s_branch .LBB31_608
.LBB31_571:
	s_mov_b64 s[8:9], -1
	s_mov_b64 s[0:1], 0
	s_mov_b64 s[2:3], s[58:59]
                                        ; implicit-def: $vgpr1
	s_branch .LBB31_589
.LBB31_572:
	s_mov_b64 s[8:9], -1
	s_mov_b64 s[0:1], 0
	s_mov_b64 s[2:3], s[58:59]
                                        ; implicit-def: $vgpr1
	s_branch .LBB31_584
.LBB31_573:
	s_or_saveexec_b64 s[12:13], s[12:13]
                                        ; implicit-def: $sgpr14
	s_xor_b64 exec, exec, s[12:13]
	s_cbranch_execz .LBB31_341
.LBB31_574:
	s_mov_b32 s14, 0x46000000
	v_add_f32_e64 v5, |v6|, s14
	v_and_b32_e32 v5, 0xff, v5
	v_cmp_ne_u32_e32 vcc, 0, v5
	s_andn2_b64 s[10:11], s[10:11], exec
	s_and_b64 s[16:17], vcc, exec
	s_mov_b32 s14, 0
	s_or_b64 s[10:11], s[10:11], s[16:17]
	s_or_b64 exec, exec, s[12:13]
	v_mov_b32_e32 v7, s14
	s_and_saveexec_b64 s[12:13], s[10:11]
	s_cbranch_execnz .LBB31_342
	s_branch .LBB31_343
.LBB31_575:
	s_mov_b64 s[8:9], -1
	s_mov_b64 s[0:1], 0
	s_mov_b64 s[2:3], s[58:59]
                                        ; implicit-def: $vgpr1
	s_branch .LBB31_579
.LBB31_576:
	s_or_saveexec_b64 s[12:13], s[12:13]
                                        ; implicit-def: $sgpr14
	s_xor_b64 exec, exec, s[12:13]
	s_cbranch_execz .LBB31_354
.LBB31_577:
	s_mov_b32 s14, 0x42800000
	v_add_f32_e64 v5, |v6|, s14
	v_and_b32_e32 v5, 0xff, v5
	v_cmp_ne_u32_e32 vcc, 0, v5
	s_andn2_b64 s[10:11], s[10:11], exec
	s_and_b64 s[16:17], vcc, exec
	s_mov_b32 s14, 0
	s_or_b64 s[10:11], s[10:11], s[16:17]
	s_or_b64 exec, exec, s[12:13]
	v_mov_b32_e32 v7, s14
	s_and_saveexec_b64 s[12:13], s[10:11]
	s_cbranch_execnz .LBB31_355
	s_branch .LBB31_356
.LBB31_578:
	s_mov_b64 s[2:3], -1
                                        ; implicit-def: $vgpr1
	s_mov_b64 s[0:1], 0
.LBB31_579:
	s_and_b64 vcc, exec, s[8:9]
	s_cbranch_vccz .LBB31_583
; %bb.580:
	v_cmp_eq_u16_e64 s[2:3], s77, 44
	s_and_b64 vcc, exec, s[2:3]
	s_cbranch_vccz .LBB31_582
; %bb.581:
	global_load_ubyte v1, v[2:3], off
	s_movk_i32 s2, 0xff
	v_mov_b32_e32 v5, 0x7f800001
	v_mov_b32_e32 v6, 0x400000
	;; [unrolled: 1-line block ×3, first 2 shown]
	s_mov_b64 s[0:1], -1
	s_waitcnt vmcnt(0)
	v_lshlrev_b32_e32 v9, 23, v1
	v_cmp_ne_u32_e32 vcc, s2, v1
	v_cndmask_b32_e32 v5, v5, v9, vcc
	v_cmp_ne_u32_e32 vcc, 0, v1
	v_cndmask_b32_e32 v1, v6, v5, vcc
	v_add_u32_e32 v5, 0x7fff, v1
	v_lshrrev_b32_e32 v5, 16, v5
	v_cmp_o_f32_e32 vcc, v1, v1
	v_cndmask_b32_e32 v1, v7, v5, vcc
	s_mov_b64 s[2:3], 0
	s_branch .LBB31_583
.LBB31_582:
	s_mov_b64 s[2:3], -1
                                        ; implicit-def: $vgpr1
.LBB31_583:
	s_mov_b64 s[8:9], 0
.LBB31_584:
	s_and_b64 vcc, exec, s[8:9]
	s_cbranch_vccz .LBB31_588
; %bb.585:
	v_cmp_eq_u16_e64 s[2:3], s77, 29
	s_and_b64 vcc, exec, s[2:3]
	s_cbranch_vccz .LBB31_587
; %bb.586:
	global_load_dwordx2 v[6:7], v[2:3], off
	s_movk_i32 s2, 0x7fff
	s_mov_b64 s[0:1], -1
	s_mov_b64 s[8:9], 0
	s_waitcnt vmcnt(0)
	v_ffbh_u32_e32 v1, v7
	v_min_u32_e32 v1, 32, v1
	v_lshlrev_b64 v[6:7], v1, v[6:7]
	v_min_u32_e32 v5, 1, v6
	v_or_b32_e32 v5, v7, v5
	v_cvt_f32_u32_e32 v5, v5
	v_sub_u32_e32 v1, 32, v1
	v_ldexp_f32 v1, v5, v1
	v_bfe_u32 v5, v1, 16, 1
	v_add3_u32 v1, v1, v5, s2
	v_lshrrev_b32_e32 v1, 16, v1
	s_mov_b64 s[2:3], 0
	s_branch .LBB31_589
.LBB31_587:
	s_mov_b64 s[2:3], -1
                                        ; implicit-def: $vgpr1
.LBB31_588:
	s_mov_b64 s[8:9], 0
.LBB31_589:
	s_and_b64 vcc, exec, s[8:9]
	s_cbranch_vccz .LBB31_607
; %bb.590:
	v_cmp_lt_i16_e64 s[0:1], s77, 27
	s_and_b64 vcc, exec, s[0:1]
	s_cbranch_vccnz .LBB31_593
; %bb.591:
	v_cmp_gt_i16_e64 s[0:1], s77, 27
	s_and_b64 vcc, exec, s[0:1]
	s_cbranch_vccz .LBB31_594
; %bb.592:
	global_load_dword v1, v[2:3], off
	s_movk_i32 s0, 0x7fff
	s_waitcnt vmcnt(0)
	v_cvt_f32_u32_e32 v1, v1
	v_bfe_u32 v5, v1, 16, 1
	v_add3_u32 v1, v1, v5, s0
	v_lshrrev_b32_e32 v1, 16, v1
	s_mov_b64 s[0:1], 0
	s_branch .LBB31_595
.LBB31_593:
	s_mov_b64 s[0:1], -1
                                        ; implicit-def: $vgpr1
	s_branch .LBB31_598
.LBB31_594:
	s_mov_b64 s[0:1], -1
                                        ; implicit-def: $vgpr1
.LBB31_595:
	s_andn2_b64 vcc, exec, s[0:1]
	s_cbranch_vccnz .LBB31_597
; %bb.596:
	global_load_ushort v1, v[2:3], off
	s_movk_i32 s0, 0x7fff
	s_waitcnt vmcnt(0)
	v_cvt_f32_u32_e32 v1, v1
	v_bfe_u32 v5, v1, 16, 1
	v_add3_u32 v1, v1, v5, s0
	v_lshrrev_b32_e32 v1, 16, v1
.LBB31_597:
	s_mov_b64 s[0:1], 0
.LBB31_598:
	s_andn2_b64 vcc, exec, s[0:1]
	s_cbranch_vccnz .LBB31_606
; %bb.599:
	global_load_ubyte v1, v[2:3], off
	s_movk_i32 s0, 0x7f
                                        ; implicit-def: $sgpr12
	s_waitcnt vmcnt(0)
	v_cmp_lt_i16_e32 vcc, s0, v1
	s_mov_b64 s[0:1], 0
	s_and_saveexec_b64 s[8:9], vcc
	s_xor_b64 s[8:9], exec, s[8:9]
	s_cbranch_execz .LBB31_620
; %bb.600:
	s_movk_i32 s0, 0x80
	v_cmp_eq_u16_e32 vcc, s0, v1
	s_mov_b64 s[0:1], -1
                                        ; implicit-def: $sgpr12
	s_and_saveexec_b64 s[10:11], vcc
; %bb.601:
	s_mov_b32 s12, 0x7f800001
	s_xor_b64 s[0:1], exec, -1
; %bb.602:
	s_or_b64 exec, exec, s[10:11]
	s_and_b64 s[0:1], s[0:1], exec
	s_or_saveexec_b64 s[8:9], s[8:9]
	v_mov_b32_e32 v5, s12
	s_xor_b64 exec, exec, s[8:9]
	s_cbranch_execnz .LBB31_621
.LBB31_603:
	s_or_b64 exec, exec, s[8:9]
	s_and_saveexec_b64 s[8:9], s[0:1]
	s_cbranch_execz .LBB31_605
.LBB31_604:
	v_lshlrev_b32_e32 v5, 24, v1
	v_and_b32_e32 v1, 0xffff, v1
	v_and_b32_e32 v6, 7, v1
	v_ffbh_u32_e32 v9, v6
	v_min_u32_e32 v9, 32, v9
	v_subrev_u32_e32 v10, 28, v9
	v_bfe_u32 v7, v1, 3, 4
	v_lshlrev_b32_e32 v1, v10, v1
	v_sub_u32_e32 v9, 29, v9
	v_and_b32_e32 v1, 7, v1
	v_cmp_eq_u32_e32 vcc, 0, v7
	v_cndmask_b32_e32 v7, v7, v9, vcc
	v_cndmask_b32_e32 v1, v6, v1, vcc
	v_mov_b32_e32 v6, 0x3b800000
	v_lshlrev_b32_e32 v1, 20, v1
	v_and_b32_e32 v5, 0x80000000, v5
	v_lshl_add_u32 v6, v7, 23, v6
	v_or3_b32 v5, v5, v6, v1
.LBB31_605:
	s_or_b64 exec, exec, s[8:9]
	v_bfe_u32 v1, v5, 16, 1
	s_movk_i32 s0, 0x7fff
	v_add3_u32 v1, v5, v1, s0
	v_lshrrev_b32_e32 v1, 16, v1
	v_mov_b32_e32 v6, 0x7fc0
	v_cmp_o_f32_e32 vcc, v5, v5
	v_cndmask_b32_e32 v1, v6, v1, vcc
.LBB31_606:
	s_mov_b64 s[0:1], -1
.LBB31_607:
	s_mov_b64 s[8:9], 0
.LBB31_608:
	s_and_b64 vcc, exec, s[8:9]
	s_cbranch_vccz .LBB31_643
; %bb.609:
	v_cmp_gt_i16_e64 s[8:9], s77, 22
	s_and_b64 vcc, exec, s[8:9]
	s_cbranch_vccz .LBB31_619
; %bb.610:
	v_cmp_lt_i16_e64 s[0:1], s77, 24
	s_and_b64 vcc, exec, s[0:1]
	s_cbranch_vccnz .LBB31_622
; %bb.611:
	v_cmp_gt_i16_e64 s[0:1], s77, 24
	s_and_b64 vcc, exec, s[0:1]
	s_cbranch_vccz .LBB31_623
; %bb.612:
	global_load_ubyte v1, v[2:3], off
	s_movk_i32 s0, 0x7f
                                        ; implicit-def: $sgpr12
	s_waitcnt vmcnt(0)
	v_cmp_lt_i16_e32 vcc, s0, v1
	s_mov_b64 s[0:1], 0
	s_and_saveexec_b64 s[8:9], vcc
	s_xor_b64 s[8:9], exec, s[8:9]
	s_cbranch_execz .LBB31_635
; %bb.613:
	s_movk_i32 s0, 0x80
	v_cmp_eq_u16_e32 vcc, s0, v1
	s_mov_b64 s[0:1], -1
                                        ; implicit-def: $sgpr12
	s_and_saveexec_b64 s[10:11], vcc
; %bb.614:
	s_mov_b32 s12, 0x7f800001
	s_xor_b64 s[0:1], exec, -1
; %bb.615:
	s_or_b64 exec, exec, s[10:11]
	s_and_b64 s[0:1], s[0:1], exec
	s_or_saveexec_b64 s[8:9], s[8:9]
	v_mov_b32_e32 v5, s12
	s_xor_b64 exec, exec, s[8:9]
	s_cbranch_execnz .LBB31_636
.LBB31_616:
	s_or_b64 exec, exec, s[8:9]
	s_and_saveexec_b64 s[8:9], s[0:1]
	s_cbranch_execz .LBB31_618
.LBB31_617:
	v_lshlrev_b32_e32 v5, 24, v1
	v_and_b32_e32 v1, 0xffff, v1
	v_and_b32_e32 v6, 3, v1
	v_ffbh_u32_e32 v9, v6
	v_min_u32_e32 v9, 32, v9
	v_subrev_u32_e32 v10, 29, v9
	v_bfe_u32 v7, v1, 2, 5
	v_lshlrev_b32_e32 v1, v10, v1
	v_sub_u32_e32 v9, 30, v9
	v_and_b32_e32 v1, 3, v1
	v_cmp_eq_u32_e32 vcc, 0, v7
	v_cndmask_b32_e32 v7, v7, v9, vcc
	v_cndmask_b32_e32 v1, v6, v1, vcc
	v_mov_b32_e32 v6, 0x37800000
	v_lshlrev_b32_e32 v1, 21, v1
	v_and_b32_e32 v5, 0x80000000, v5
	v_lshl_add_u32 v6, v7, 23, v6
	v_or3_b32 v5, v5, v6, v1
.LBB31_618:
	s_or_b64 exec, exec, s[8:9]
	v_bfe_u32 v1, v5, 16, 1
	s_movk_i32 s0, 0x7fff
	v_add3_u32 v1, v5, v1, s0
	v_lshrrev_b32_e32 v1, 16, v1
	v_mov_b32_e32 v6, 0x7fc0
	v_cmp_o_f32_e32 vcc, v5, v5
	v_cndmask_b32_e32 v1, v6, v1, vcc
	s_mov_b64 s[0:1], 0
	s_branch .LBB31_624
.LBB31_619:
	s_mov_b64 s[8:9], -1
                                        ; implicit-def: $vgpr1
	s_branch .LBB31_630
.LBB31_620:
	s_or_saveexec_b64 s[8:9], s[8:9]
	v_mov_b32_e32 v5, s12
	s_xor_b64 exec, exec, s[8:9]
	s_cbranch_execz .LBB31_603
.LBB31_621:
	v_cmp_ne_u16_e32 vcc, 0, v1
	s_andn2_b64 s[0:1], s[0:1], exec
	s_and_b64 s[10:11], vcc, exec
	v_mov_b32_e32 v5, 0
	s_or_b64 s[0:1], s[0:1], s[10:11]
	s_or_b64 exec, exec, s[8:9]
	s_and_saveexec_b64 s[8:9], s[0:1]
	s_cbranch_execnz .LBB31_604
	s_branch .LBB31_605
.LBB31_622:
	s_mov_b64 s[0:1], -1
                                        ; implicit-def: $vgpr1
	s_branch .LBB31_627
.LBB31_623:
	s_mov_b64 s[0:1], -1
                                        ; implicit-def: $vgpr1
.LBB31_624:
	s_and_b64 vcc, exec, s[0:1]
	s_cbranch_vccz .LBB31_626
; %bb.625:
	global_load_ubyte v1, v[2:3], off
	s_mov_b32 s0, 0x7f800000
	s_brev_b32 s1, 1
	s_movk_i32 s8, 0x7fff
	v_mov_b32_e32 v5, 0x7fc0
	s_waitcnt vmcnt(0)
	v_lshlrev_b32_e32 v1, 24, v1
	v_and_b32_e32 v6, 0x7f000000, v1
	v_ffbh_u32_e32 v7, v6
	v_min_u32_e32 v7, 32, v7
	v_sub_u32_e64 v7, v7, 4 clamp
	v_lshlrev_b32_e32 v10, v7, v6
	v_lshlrev_b32_e32 v7, 23, v7
	v_lshrrev_b32_e32 v10, 4, v10
	v_add_u32_e32 v9, 0x1000000, v6
	v_sub_u32_e32 v7, v10, v7
	v_ashrrev_i32_e32 v9, 8, v9
	v_add_u32_e32 v7, 0x3c000000, v7
	v_and_or_b32 v7, v9, s0, v7
	v_cmp_ne_u32_e32 vcc, 0, v6
	v_cndmask_b32_e32 v6, 0, v7, vcc
	v_and_or_b32 v1, v1, s1, v6
	v_bfe_u32 v6, v6, 16, 1
	v_add3_u32 v6, v1, v6, s8
	v_lshrrev_b32_e32 v6, 16, v6
	v_cmp_o_f32_e32 vcc, v1, v1
	v_cndmask_b32_e32 v1, v5, v6, vcc
.LBB31_626:
	s_mov_b64 s[0:1], 0
.LBB31_627:
	s_andn2_b64 vcc, exec, s[0:1]
	s_cbranch_vccnz .LBB31_629
; %bb.628:
	global_load_ubyte v1, v[2:3], off
	s_movk_i32 s0, 0x7f00
	s_brev_b32 s1, 16
	s_brev_b32 s8, 1
	s_movk_i32 s9, 0x7fff
	v_mov_b32_e32 v5, 0x7fc0
	s_waitcnt vmcnt(0)
	v_lshlrev_b16_e32 v6, 8, v1
	v_lshlrev_b32_e32 v1, 25, v1
	v_lshrrev_b32_e32 v7, 4, v1
	v_and_or_b32 v9, v6, s0, 0.5
	v_or_b32_e32 v7, 0x70000000, v7
	v_add_f32_e32 v9, -0.5, v9
	v_mul_f32_e32 v7, 0x7800000, v7
	v_cmp_gt_u32_e32 vcc, s1, v1
	v_bfe_i32 v6, v6, 0, 16
	v_cndmask_b32_e32 v1, v7, v9, vcc
	v_and_or_b32 v6, v6, s8, v1
	v_bfe_u32 v1, v1, 16, 1
	v_add3_u32 v1, v6, v1, s9
	v_lshrrev_b32_e32 v1, 16, v1
	v_cmp_o_f32_e32 vcc, v6, v6
	v_cndmask_b32_e32 v1, v5, v1, vcc
.LBB31_629:
	s_mov_b64 s[8:9], 0
	s_mov_b64 s[0:1], -1
.LBB31_630:
	s_andn2_b64 vcc, exec, s[8:9]
	s_cbranch_vccnz .LBB31_643
; %bb.631:
	v_cmp_gt_i16_e64 s[8:9], s77, 14
	s_and_b64 vcc, exec, s[8:9]
	s_cbranch_vccz .LBB31_634
; %bb.632:
	v_cmp_eq_u16_e64 s[2:3], s77, 15
	s_and_b64 vcc, exec, s[2:3]
	s_cbranch_vccz .LBB31_637
; %bb.633:
	global_load_ushort v1, v[2:3], off
	s_mov_b64 s[0:1], -1
	s_mov_b64 s[2:3], 0
	s_branch .LBB31_638
.LBB31_634:
	s_mov_b64 s[8:9], -1
                                        ; implicit-def: $vgpr1
	s_branch .LBB31_639
.LBB31_635:
	s_or_saveexec_b64 s[8:9], s[8:9]
	v_mov_b32_e32 v5, s12
	s_xor_b64 exec, exec, s[8:9]
	s_cbranch_execz .LBB31_616
.LBB31_636:
	v_cmp_ne_u16_e32 vcc, 0, v1
	s_andn2_b64 s[0:1], s[0:1], exec
	s_and_b64 s[10:11], vcc, exec
	v_mov_b32_e32 v5, 0
	s_or_b64 s[0:1], s[0:1], s[10:11]
	s_or_b64 exec, exec, s[8:9]
	s_and_saveexec_b64 s[8:9], s[0:1]
	s_cbranch_execnz .LBB31_617
	s_branch .LBB31_618
.LBB31_637:
	s_mov_b64 s[2:3], -1
                                        ; implicit-def: $vgpr1
.LBB31_638:
	s_mov_b64 s[8:9], 0
.LBB31_639:
	s_and_b64 vcc, exec, s[8:9]
	s_cbranch_vccz .LBB31_643
; %bb.640:
	v_cmp_eq_u16_e64 s[2:3], s77, 11
	s_and_b64 vcc, exec, s[2:3]
	s_cbranch_vccz .LBB31_642
; %bb.641:
	global_load_ubyte v1, v[2:3], off
	s_mov_b64 s[0:1], -1
	s_mov_b64 s[2:3], 0
	s_waitcnt vmcnt(0)
	v_cmp_ne_u16_e32 vcc, 0, v1
	v_cndmask_b32_e64 v1, 0, 1.0, vcc
	v_lshrrev_b32_e32 v1, 16, v1
	s_branch .LBB31_643
.LBB31_642:
	s_mov_b64 s[2:3], -1
                                        ; implicit-def: $vgpr1
.LBB31_643:
	s_mov_b64 s[8:9], 0
.LBB31_644:
	s_and_b64 vcc, exec, s[8:9]
	s_cbranch_vccz .LBB31_693
; %bb.645:
	v_cmp_lt_i16_e64 s[0:1], s77, 5
	s_and_b64 vcc, exec, s[0:1]
	s_cbranch_vccnz .LBB31_650
; %bb.646:
	v_cmp_lt_i16_e64 s[0:1], s77, 8
	s_and_b64 vcc, exec, s[0:1]
	s_cbranch_vccnz .LBB31_651
	;; [unrolled: 4-line block ×3, first 2 shown]
; %bb.648:
	v_cmp_gt_i16_e64 s[0:1], s77, 9
	s_and_b64 vcc, exec, s[0:1]
	s_cbranch_vccz .LBB31_653
; %bb.649:
	global_load_dwordx2 v[6:7], v[2:3], off
	s_movk_i32 s0, 0x7fff
	s_waitcnt vmcnt(1)
	v_mov_b32_e32 v1, 0x7fc0
	s_waitcnt vmcnt(0)
	v_cvt_f32_f64_e32 v5, v[6:7]
	v_bfe_u32 v6, v5, 16, 1
	v_add3_u32 v6, v5, v6, s0
	v_lshrrev_b32_e32 v6, 16, v6
	v_cmp_o_f32_e32 vcc, v5, v5
	v_cndmask_b32_e32 v1, v1, v6, vcc
	s_mov_b64 s[0:1], 0
	s_branch .LBB31_654
.LBB31_650:
	s_mov_b64 s[0:1], -1
                                        ; implicit-def: $vgpr1
	s_branch .LBB31_672
.LBB31_651:
	s_mov_b64 s[0:1], -1
                                        ; implicit-def: $vgpr1
	s_branch .LBB31_660
.LBB31_652:
	s_mov_b64 s[0:1], -1
                                        ; implicit-def: $vgpr1
	s_branch .LBB31_657
.LBB31_653:
	s_mov_b64 s[0:1], -1
                                        ; implicit-def: $vgpr1
.LBB31_654:
	s_andn2_b64 vcc, exec, s[0:1]
	s_cbranch_vccnz .LBB31_656
; %bb.655:
	global_load_dword v1, v[2:3], off
	s_movk_i32 s0, 0x7fff
	v_mov_b32_e32 v5, 0x7fc0
	s_waitcnt vmcnt(0)
	v_bfe_u32 v6, v1, 16, 1
	v_add3_u32 v6, v1, v6, s0
	v_lshrrev_b32_e32 v6, 16, v6
	v_cmp_o_f32_e32 vcc, v1, v1
	v_cndmask_b32_e32 v1, v5, v6, vcc
.LBB31_656:
	s_mov_b64 s[0:1], 0
.LBB31_657:
	s_andn2_b64 vcc, exec, s[0:1]
	s_cbranch_vccnz .LBB31_659
; %bb.658:
	global_load_dword v1, v[2:3], off
	s_movk_i32 s0, 0x7fff
	v_mov_b32_e32 v6, 0x7fc0
	s_waitcnt vmcnt(0)
	v_cvt_f32_f16_e32 v5, v1
	v_cmp_o_f16_e32 vcc, v1, v1
	v_bfe_u32 v7, v5, 16, 1
	v_add3_u32 v5, v5, v7, s0
	v_lshrrev_b32_e32 v5, 16, v5
	v_cndmask_b32_e32 v1, v6, v5, vcc
.LBB31_659:
	s_mov_b64 s[0:1], 0
.LBB31_660:
	s_andn2_b64 vcc, exec, s[0:1]
	s_cbranch_vccnz .LBB31_671
; %bb.661:
	v_cmp_lt_i16_e64 s[0:1], s77, 6
	s_and_b64 vcc, exec, s[0:1]
	s_cbranch_vccnz .LBB31_664
; %bb.662:
	v_cmp_gt_i16_e64 s[0:1], s77, 6
	s_and_b64 vcc, exec, s[0:1]
	s_cbranch_vccz .LBB31_665
; %bb.663:
	global_load_dwordx2 v[6:7], v[2:3], off
	s_movk_i32 s0, 0x7fff
	s_waitcnt vmcnt(1)
	v_mov_b32_e32 v1, 0x7fc0
	s_waitcnt vmcnt(0)
	v_cvt_f32_f64_e32 v5, v[6:7]
	v_bfe_u32 v6, v5, 16, 1
	v_add3_u32 v6, v5, v6, s0
	v_lshrrev_b32_e32 v6, 16, v6
	v_cmp_o_f32_e32 vcc, v5, v5
	v_cndmask_b32_e32 v1, v1, v6, vcc
	s_mov_b64 s[0:1], 0
	s_branch .LBB31_666
.LBB31_664:
	s_mov_b64 s[0:1], -1
                                        ; implicit-def: $vgpr1
	s_branch .LBB31_669
.LBB31_665:
	s_mov_b64 s[0:1], -1
                                        ; implicit-def: $vgpr1
.LBB31_666:
	s_andn2_b64 vcc, exec, s[0:1]
	s_cbranch_vccnz .LBB31_668
; %bb.667:
	global_load_dword v1, v[2:3], off
	s_movk_i32 s0, 0x7fff
	v_mov_b32_e32 v5, 0x7fc0
	s_waitcnt vmcnt(0)
	v_bfe_u32 v6, v1, 16, 1
	v_add3_u32 v6, v1, v6, s0
	v_lshrrev_b32_e32 v6, 16, v6
	v_cmp_o_f32_e32 vcc, v1, v1
	v_cndmask_b32_e32 v1, v5, v6, vcc
.LBB31_668:
	s_mov_b64 s[0:1], 0
.LBB31_669:
	s_andn2_b64 vcc, exec, s[0:1]
	s_cbranch_vccnz .LBB31_671
; %bb.670:
	global_load_ushort v1, v[2:3], off
	s_movk_i32 s0, 0x7fff
	v_mov_b32_e32 v6, 0x7fc0
	s_waitcnt vmcnt(0)
	v_cvt_f32_f16_e32 v5, v1
	v_cmp_o_f16_e32 vcc, v1, v1
	v_bfe_u32 v7, v5, 16, 1
	v_add3_u32 v5, v5, v7, s0
	v_lshrrev_b32_e32 v5, 16, v5
	v_cndmask_b32_e32 v1, v6, v5, vcc
.LBB31_671:
	s_mov_b64 s[0:1], 0
.LBB31_672:
	s_andn2_b64 vcc, exec, s[0:1]
	s_cbranch_vccnz .LBB31_692
; %bb.673:
	v_cmp_lt_i16_e64 s[0:1], s77, 2
	s_and_b64 vcc, exec, s[0:1]
	s_cbranch_vccnz .LBB31_677
; %bb.674:
	v_cmp_lt_i16_e64 s[0:1], s77, 3
	s_and_b64 vcc, exec, s[0:1]
	s_cbranch_vccnz .LBB31_678
; %bb.675:
	v_cmp_gt_i16_e64 s[0:1], s77, 3
	s_and_b64 vcc, exec, s[0:1]
	s_cbranch_vccz .LBB31_679
; %bb.676:
	global_load_dwordx2 v[6:7], v[2:3], off
	s_movk_i32 s0, 0x7fff
	s_waitcnt vmcnt(0)
	v_xor_b32_e32 v5, v6, v7
	v_ffbh_i32_e32 v1, v7
	v_ashrrev_i32_e32 v5, 31, v5
	v_add_u32_e32 v1, -1, v1
	v_add_u32_e32 v5, 32, v5
	v_min_u32_e32 v1, v1, v5
	v_lshlrev_b64 v[6:7], v1, v[6:7]
	v_min_u32_e32 v5, 1, v6
	v_or_b32_e32 v5, v7, v5
	v_cvt_f32_i32_e32 v5, v5
	v_sub_u32_e32 v1, 32, v1
	v_ldexp_f32 v1, v5, v1
	v_bfe_u32 v5, v1, 16, 1
	v_add3_u32 v1, v1, v5, s0
	v_lshrrev_b32_e32 v1, 16, v1
	s_mov_b64 s[0:1], 0
	s_branch .LBB31_680
.LBB31_677:
	s_mov_b64 s[0:1], -1
                                        ; implicit-def: $vgpr1
	s_branch .LBB31_686
.LBB31_678:
	s_mov_b64 s[0:1], -1
                                        ; implicit-def: $vgpr1
	s_branch .LBB31_683
.LBB31_679:
	s_mov_b64 s[0:1], -1
                                        ; implicit-def: $vgpr1
.LBB31_680:
	s_andn2_b64 vcc, exec, s[0:1]
	s_cbranch_vccnz .LBB31_682
; %bb.681:
	global_load_dword v1, v[2:3], off
	s_movk_i32 s0, 0x7fff
	s_waitcnt vmcnt(0)
	v_cvt_f32_i32_e32 v1, v1
	v_bfe_u32 v5, v1, 16, 1
	v_add3_u32 v1, v1, v5, s0
	v_lshrrev_b32_e32 v1, 16, v1
.LBB31_682:
	s_mov_b64 s[0:1], 0
.LBB31_683:
	s_andn2_b64 vcc, exec, s[0:1]
	s_cbranch_vccnz .LBB31_685
; %bb.684:
	global_load_sshort v1, v[2:3], off
	s_movk_i32 s0, 0x7fff
	s_waitcnt vmcnt(0)
	v_cvt_f32_i32_e32 v1, v1
	v_bfe_u32 v5, v1, 16, 1
	v_add3_u32 v1, v1, v5, s0
	v_lshrrev_b32_e32 v1, 16, v1
.LBB31_685:
	s_mov_b64 s[0:1], 0
.LBB31_686:
	s_andn2_b64 vcc, exec, s[0:1]
	s_cbranch_vccnz .LBB31_692
; %bb.687:
	v_cmp_gt_i16_e64 s[0:1], s77, 0
	s_and_b64 vcc, exec, s[0:1]
	s_cbranch_vccz .LBB31_689
; %bb.688:
	global_load_sbyte v1, v[2:3], off
	s_movk_i32 s0, 0x7fff
	s_waitcnt vmcnt(0)
	v_cvt_f32_i32_e32 v1, v1
	v_bfe_u32 v5, v1, 16, 1
	v_add3_u32 v1, v1, v5, s0
	v_lshrrev_b32_e32 v1, 16, v1
	s_mov_b64 s[0:1], 0
	s_branch .LBB31_690
.LBB31_689:
	s_mov_b64 s[0:1], -1
                                        ; implicit-def: $vgpr1
.LBB31_690:
	s_andn2_b64 vcc, exec, s[0:1]
	s_cbranch_vccnz .LBB31_692
; %bb.691:
	global_load_ubyte v1, v[2:3], off
	s_movk_i32 s0, 0x7fff
	s_waitcnt vmcnt(0)
	v_cvt_f32_ubyte0_e32 v1, v1
	v_bfe_u32 v2, v1, 16, 1
	v_add3_u32 v1, v1, v2, s0
	v_lshrrev_b32_e32 v1, 16, v1
.LBB31_692:
	s_mov_b64 s[0:1], -1
.LBB31_693:
	s_andn2_b64 vcc, exec, s[0:1]
	s_cbranch_vccnz .LBB31_701
; %bb.694:
	s_waitcnt vmcnt(0)
	v_lshlrev_b32_e32 v2, 16, v1
	v_cmp_nle_f32_e32 vcc, v4, v2
	v_cmp_nge_f32_e64 s[0:1], s76, v2
	s_or_b64 vcc, s[0:1], vcc
	v_cndmask_b32_e32 v2, 0, v1, vcc
	v_mov_b32_e32 v1, s25
	v_add_co_u32_e32 v0, vcc, s24, v0
	v_mov_b32_e32 v3, 11
	v_addc_co_u32_e32 v1, vcc, 0, v1, vcc
	v_cmp_lt_i16_sdwa s[0:1], s75, v3 src0_sel:BYTE_0 src1_sel:DWORD
	s_and_b64 vcc, exec, s[0:1]
	s_cbranch_vccnz .LBB31_702
; %bb.695:
	v_mov_b32_e32 v3, 25
	v_cmp_gt_i16_sdwa s[0:1], s75, v3 src0_sel:BYTE_0 src1_sel:DWORD
	s_and_b64 vcc, exec, s[0:1]
	s_cbranch_vccz .LBB31_703
; %bb.696:
	v_mov_b32_e32 v3, 28
	v_cmp_gt_i16_sdwa s[0:1], s75, v3 src0_sel:BYTE_0 src1_sel:DWORD
	s_and_b64 vcc, exec, s[0:1]
	s_cbranch_vccz .LBB31_704
	;; [unrolled: 5-line block ×4, first 2 shown]
; %bb.699:
	v_mov_b32_e32 v3, 46
	v_cmp_eq_u16_sdwa s[8:9], s75, v3 src0_sel:BYTE_0 src1_sel:DWORD
	s_mov_b64 s[10:11], 0
	s_mov_b64 s[0:1], -1
	s_and_b64 vcc, exec, s[8:9]
	s_mov_b64 s[8:9], 0
	s_cbranch_vccz .LBB31_707
; %bb.700:
	v_and_b32_e32 v3, 0xffff, v2
	global_store_dword v[0:1], v3, off
	s_mov_b64 s[8:9], -1
	s_mov_b64 s[0:1], 0
	s_branch .LBB31_707
.LBB31_701:
	s_mov_b64 s[8:9], 0
	s_mov_b64 s[0:1], s[60:61]
	s_branch .LBB31_818
.LBB31_702:
	s_mov_b64 s[10:11], -1
	s_mov_b64 s[8:9], 0
	s_mov_b64 s[0:1], s[60:61]
	s_branch .LBB31_776
.LBB31_703:
	s_mov_b64 s[10:11], -1
	s_mov_b64 s[8:9], 0
	s_mov_b64 s[0:1], s[60:61]
	s_branch .LBB31_734
.LBB31_704:
	s_mov_b64 s[10:11], -1
	s_mov_b64 s[8:9], 0
	s_mov_b64 s[0:1], s[60:61]
	s_branch .LBB31_717
.LBB31_705:
	s_mov_b64 s[10:11], -1
	s_mov_b64 s[8:9], 0
	s_mov_b64 s[0:1], s[60:61]
	s_branch .LBB31_713
.LBB31_706:
	s_mov_b64 s[10:11], -1
	s_mov_b64 s[8:9], 0
	s_mov_b64 s[0:1], s[60:61]
.LBB31_707:
	s_and_b64 vcc, exec, s[10:11]
	s_cbranch_vccz .LBB31_712
; %bb.708:
	v_mov_b32_e32 v3, 44
	v_cmp_eq_u16_sdwa s[10:11], s75, v3 src0_sel:BYTE_0 src1_sel:DWORD
	s_mov_b64 s[0:1], -1
	s_and_b64 vcc, exec, s[10:11]
	s_cbranch_vccz .LBB31_712
; %bb.709:
	v_and_b32_e32 v5, 0xffff, v2
	v_bfe_u32 v3, v5, 7, 8
	s_movk_i32 s0, 0xff
	v_cmp_ne_u32_e32 vcc, s0, v3
	v_mov_b32_e32 v6, 0xff
	s_and_saveexec_b64 s[8:9], vcc
; %bb.710:
	v_lshlrev_b32_e32 v7, 16, v5
	s_mov_b32 s0, 0x3f0000
	v_lshrrev_b32_e32 v6, 7, v5
	v_and_b32_e32 v5, 64, v5
	v_and_or_b32 v3, v7, s0, v3
	v_cmp_ne_u32_e32 vcc, 0, v5
	v_cmp_ne_u32_e64 s[0:1], 0, v3
	s_and_b64 s[0:1], vcc, s[0:1]
	v_cndmask_b32_e64 v3, 0, 1, s[0:1]
	v_add_u32_e32 v6, v6, v3
; %bb.711:
	s_or_b64 exec, exec, s[8:9]
	s_mov_b64 s[8:9], -1
	s_mov_b64 s[0:1], 0
	global_store_byte v[0:1], v6, off
.LBB31_712:
	s_mov_b64 s[10:11], 0
.LBB31_713:
	s_and_b64 vcc, exec, s[10:11]
	s_cbranch_vccz .LBB31_716
; %bb.714:
	v_mov_b32_e32 v3, 29
	v_cmp_eq_u16_sdwa s[10:11], s75, v3 src0_sel:BYTE_0 src1_sel:DWORD
	s_mov_b64 s[0:1], -1
	s_and_b64 vcc, exec, s[10:11]
	s_cbranch_vccz .LBB31_716
; %bb.715:
	v_lshlrev_b32_e32 v3, 16, v2
	v_trunc_f32_e32 v3, v3
	v_mul_f32_e32 v5, 0x2f800000, v3
	v_floor_f32_e32 v5, v5
	v_fmac_f32_e32 v3, 0xcf800000, v5
	v_cvt_u32_f32_e32 v7, v5
	v_cvt_u32_f32_e32 v6, v3
	s_mov_b64 s[8:9], -1
	s_mov_b64 s[0:1], 0
	s_mov_b64 s[10:11], 0
	global_store_dwordx2 v[0:1], v[6:7], off
	s_branch .LBB31_717
.LBB31_716:
	s_mov_b64 s[10:11], 0
.LBB31_717:
	s_and_b64 vcc, exec, s[10:11]
	s_cbranch_vccz .LBB31_733
; %bb.718:
	v_mov_b32_e32 v3, 27
	v_cmp_lt_i16_sdwa s[10:11], s75, v3 src0_sel:BYTE_0 src1_sel:DWORD
	s_mov_b64 s[8:9], -1
	s_and_b64 vcc, exec, s[10:11]
	s_cbranch_vccnz .LBB31_724
; %bb.719:
	v_cmp_gt_i16_sdwa s[10:11], s75, v3 src0_sel:BYTE_0 src1_sel:DWORD
	s_and_b64 vcc, exec, s[10:11]
	s_cbranch_vccz .LBB31_721
; %bb.720:
	v_lshlrev_b32_e32 v3, 16, v2
	v_cvt_u32_f32_e32 v3, v3
	s_mov_b64 s[8:9], 0
	global_store_dword v[0:1], v3, off
.LBB31_721:
	s_andn2_b64 vcc, exec, s[8:9]
	s_cbranch_vccnz .LBB31_723
; %bb.722:
	v_lshlrev_b32_e32 v3, 16, v2
	v_cvt_u32_f32_e32 v3, v3
	global_store_short v[0:1], v3, off
.LBB31_723:
	s_mov_b64 s[8:9], 0
.LBB31_724:
	s_andn2_b64 vcc, exec, s[8:9]
	s_cbranch_vccnz .LBB31_732
; %bb.725:
	v_lshlrev_b32_e32 v6, 16, v2
	v_and_b32_e32 v5, 0x7fffffff, v6
	s_mov_b32 s8, 0x43800000
	v_cmp_gt_u32_e32 vcc, s8, v5
	v_mov_b32_e32 v7, 0x80
	s_and_saveexec_b64 s[8:9], vcc
	s_cbranch_execz .LBB31_731
; %bb.726:
	s_mov_b32 s10, 0x3bffffff
	v_and_b32_e32 v3, 0xffff, v2
	v_cmp_lt_u32_e32 vcc, s10, v5
	s_mov_b64 s[10:11], 0
                                        ; implicit-def: $vgpr5
	s_and_saveexec_b64 s[12:13], vcc
	s_xor_b64 s[12:13], exec, s[12:13]
	s_cbranch_execz .LBB31_849
; %bb.727:
	v_bfe_u32 v5, v3, 4, 1
	s_mov_b32 s14, 0x487ffff
	v_add3_u32 v5, v6, v5, s14
	s_mov_b64 s[10:11], exec
	v_lshrrev_b32_e32 v5, 20, v5
                                        ; implicit-def: $vgpr6
	s_or_saveexec_b64 s[12:13], s[12:13]
                                        ; implicit-def: $sgpr14
	s_xor_b64 exec, exec, s[12:13]
	s_cbranch_execnz .LBB31_850
.LBB31_728:
	s_or_b64 exec, exec, s[12:13]
	v_mov_b32_e32 v7, s14
	s_and_saveexec_b64 s[12:13], s[10:11]
.LBB31_729:
	v_lshrrev_b32_e32 v3, 8, v3
	s_movk_i32 s10, 0x80
	v_and_or_b32 v7, v3, s10, v5
.LBB31_730:
	s_or_b64 exec, exec, s[12:13]
.LBB31_731:
	s_or_b64 exec, exec, s[8:9]
	global_store_byte v[0:1], v7, off
.LBB31_732:
	s_mov_b64 s[8:9], -1
.LBB31_733:
	s_mov_b64 s[10:11], 0
.LBB31_734:
	s_and_b64 vcc, exec, s[10:11]
	s_cbranch_vccz .LBB31_775
; %bb.735:
	v_mov_b32_e32 v3, 22
	v_cmp_gt_i16_sdwa s[12:13], s75, v3 src0_sel:BYTE_0 src1_sel:DWORD
	s_mov_b64 s[10:11], -1
	s_and_b64 vcc, exec, s[12:13]
	s_cbranch_vccz .LBB31_767
; %bb.736:
	v_mov_b32_e32 v3, 24
	v_cmp_lt_i16_sdwa s[10:11], s75, v3 src0_sel:BYTE_0 src1_sel:DWORD
	s_mov_b64 s[8:9], -1
	s_and_b64 vcc, exec, s[10:11]
	s_cbranch_vccnz .LBB31_756
; %bb.737:
	v_cmp_gt_i16_sdwa s[10:11], s75, v3 src0_sel:BYTE_0 src1_sel:DWORD
	s_and_b64 vcc, exec, s[10:11]
	s_cbranch_vccz .LBB31_745
; %bb.738:
	v_lshlrev_b32_e32 v6, 16, v2
	v_and_b32_e32 v5, 0x7fffffff, v6
	s_mov_b32 s8, 0x47800000
	v_cmp_gt_u32_e32 vcc, s8, v5
	v_mov_b32_e32 v7, 0x80
	s_and_saveexec_b64 s[8:9], vcc
	s_cbranch_execz .LBB31_744
; %bb.739:
	s_mov_b32 s10, 0x37ffffff
	v_and_b32_e32 v3, 0xffff, v2
	v_cmp_lt_u32_e32 vcc, s10, v5
	s_mov_b64 s[10:11], 0
                                        ; implicit-def: $vgpr5
	s_and_saveexec_b64 s[12:13], vcc
	s_xor_b64 s[12:13], exec, s[12:13]
	s_cbranch_execz .LBB31_852
; %bb.740:
	v_bfe_u32 v5, v3, 5, 1
	s_mov_b32 s14, 0x88fffff
	v_add3_u32 v5, v6, v5, s14
	s_mov_b64 s[10:11], exec
	v_lshrrev_b32_e32 v5, 21, v5
                                        ; implicit-def: $vgpr6
	s_or_saveexec_b64 s[12:13], s[12:13]
                                        ; implicit-def: $sgpr14
	s_xor_b64 exec, exec, s[12:13]
	s_cbranch_execnz .LBB31_853
.LBB31_741:
	s_or_b64 exec, exec, s[12:13]
	v_mov_b32_e32 v7, s14
	s_and_saveexec_b64 s[12:13], s[10:11]
.LBB31_742:
	v_lshrrev_b32_e32 v3, 8, v3
	s_movk_i32 s10, 0x80
	v_and_or_b32 v7, v3, s10, v5
.LBB31_743:
	s_or_b64 exec, exec, s[12:13]
.LBB31_744:
	s_or_b64 exec, exec, s[8:9]
	s_mov_b64 s[8:9], 0
	global_store_byte v[0:1], v7, off
.LBB31_745:
	s_and_b64 vcc, exec, s[8:9]
	s_cbranch_vccz .LBB31_755
; %bb.746:
	v_lshlrev_b32_e32 v6, 16, v2
	v_and_b32_e32 v7, 0x7fffffff, v6
	s_mov_b32 s8, 0x43f00000
	v_and_b32_e32 v3, 0xffff, v2
	v_cmp_gt_u32_e32 vcc, s8, v7
                                        ; implicit-def: $vgpr5
	s_and_saveexec_b64 s[8:9], vcc
	s_xor_b64 s[8:9], exec, s[8:9]
	s_cbranch_execz .LBB31_752
; %bb.747:
	s_mov_b32 s10, 0x3c7fffff
	v_cmp_lt_u32_e32 vcc, s10, v7
                                        ; implicit-def: $vgpr5
	s_and_saveexec_b64 s[10:11], vcc
	s_xor_b64 s[10:11], exec, s[10:11]
; %bb.748:
	v_bfe_u32 v5, v3, 4, 1
	s_mov_b32 s12, 0x407ffff
	v_add3_u32 v5, v6, v5, s12
	v_lshrrev_b32_e32 v6, 20, v5
	v_and_b32_e32 v5, 0xff00000, v5
	s_mov_b32 s12, 0x7f00000
	v_mov_b32_e32 v7, 0x7e
	v_cmp_ne_u32_e32 vcc, s12, v5
	v_cndmask_b32_e32 v5, v7, v6, vcc
                                        ; implicit-def: $vgpr6
; %bb.749:
	s_andn2_saveexec_b64 s[10:11], s[10:11]
; %bb.750:
	s_mov_b32 s12, 0x46800000
	v_add_f32_e64 v5, |v6|, s12
; %bb.751:
	s_or_b64 exec, exec, s[10:11]
                                        ; implicit-def: $vgpr7
.LBB31_752:
	s_andn2_saveexec_b64 s[8:9], s[8:9]
; %bb.753:
	s_mov_b32 s10, 0x7f800000
	v_mov_b32_e32 v5, 0x7e
	v_mov_b32_e32 v6, 0x7f
	v_cmp_lt_u32_e32 vcc, s10, v7
	v_cndmask_b32_e32 v5, v5, v6, vcc
; %bb.754:
	s_or_b64 exec, exec, s[8:9]
	v_lshrrev_b32_e32 v3, 8, v3
	s_movk_i32 s8, 0x80
	v_and_or_b32 v3, v3, s8, v5
	global_store_byte v[0:1], v3, off
.LBB31_755:
	s_mov_b64 s[8:9], 0
.LBB31_756:
	s_andn2_b64 vcc, exec, s[8:9]
	s_cbranch_vccnz .LBB31_766
; %bb.757:
	v_lshlrev_b32_e32 v6, 16, v2
	v_and_b32_e32 v7, 0x7fffffff, v6
	s_mov_b32 s8, 0x47800000
	v_and_b32_e32 v3, 0xffff, v2
	v_cmp_gt_u32_e32 vcc, s8, v7
                                        ; implicit-def: $vgpr5
	s_and_saveexec_b64 s[8:9], vcc
	s_xor_b64 s[8:9], exec, s[8:9]
	s_cbranch_execz .LBB31_763
; %bb.758:
	s_mov_b32 s10, 0x387fffff
	v_cmp_lt_u32_e32 vcc, s10, v7
                                        ; implicit-def: $vgpr5
	s_and_saveexec_b64 s[10:11], vcc
	s_xor_b64 s[10:11], exec, s[10:11]
; %bb.759:
	v_bfe_u32 v5, v3, 5, 1
	s_mov_b32 s12, 0x80fffff
	v_add3_u32 v5, v6, v5, s12
	v_lshrrev_b32_e32 v5, 21, v5
                                        ; implicit-def: $vgpr6
; %bb.760:
	s_andn2_saveexec_b64 s[10:11], s[10:11]
; %bb.761:
	s_mov_b32 s12, 0x43000000
	v_add_f32_e64 v5, |v6|, s12
; %bb.762:
	s_or_b64 exec, exec, s[10:11]
                                        ; implicit-def: $vgpr7
.LBB31_763:
	s_andn2_saveexec_b64 s[8:9], s[8:9]
; %bb.764:
	s_mov_b32 s10, 0x7f800000
	v_mov_b32_e32 v5, 0x7c
	v_mov_b32_e32 v6, 0x7f
	v_cmp_lt_u32_e32 vcc, s10, v7
	v_cndmask_b32_e32 v5, v5, v6, vcc
; %bb.765:
	s_or_b64 exec, exec, s[8:9]
	v_lshrrev_b32_e32 v3, 8, v3
	s_movk_i32 s8, 0x80
	v_and_or_b32 v3, v3, s8, v5
	global_store_byte v[0:1], v3, off
.LBB31_766:
	s_mov_b64 s[10:11], 0
	s_mov_b64 s[8:9], -1
.LBB31_767:
	s_andn2_b64 vcc, exec, s[10:11]
	s_cbranch_vccnz .LBB31_775
; %bb.768:
	v_mov_b32_e32 v3, 14
	v_cmp_gt_i16_sdwa s[12:13], s75, v3 src0_sel:BYTE_0 src1_sel:DWORD
	s_mov_b64 s[10:11], -1
	s_and_b64 vcc, exec, s[12:13]
	s_cbranch_vccz .LBB31_772
; %bb.769:
	v_mov_b32_e32 v3, 15
	v_cmp_eq_u16_sdwa s[10:11], s75, v3 src0_sel:BYTE_0 src1_sel:DWORD
	s_mov_b64 s[0:1], -1
	s_and_b64 vcc, exec, s[10:11]
	s_cbranch_vccz .LBB31_771
; %bb.770:
	global_store_short v[0:1], v2, off
	s_mov_b64 s[8:9], -1
	s_mov_b64 s[0:1], 0
.LBB31_771:
	s_mov_b64 s[10:11], 0
.LBB31_772:
	s_and_b64 vcc, exec, s[10:11]
	s_cbranch_vccz .LBB31_775
; %bb.773:
	v_mov_b32_e32 v3, 11
	v_cmp_eq_u16_sdwa s[10:11], s75, v3 src0_sel:BYTE_0 src1_sel:DWORD
	s_mov_b64 s[0:1], -1
	s_and_b64 vcc, exec, s[10:11]
	s_cbranch_vccz .LBB31_775
; %bb.774:
	v_and_b32_e32 v3, 0x7fff, v2
	v_cmp_ne_u16_e32 vcc, 0, v3
	v_cndmask_b32_e64 v3, 0, 1, vcc
	s_mov_b64 s[8:9], -1
	s_mov_b64 s[0:1], 0
	global_store_byte v[0:1], v3, off
.LBB31_775:
	s_mov_b64 s[10:11], 0
.LBB31_776:
	s_and_b64 vcc, exec, s[10:11]
	s_cbranch_vccz .LBB31_815
; %bb.777:
	v_mov_b32_e32 v3, 5
	v_cmp_lt_i16_sdwa s[10:11], s75, v3 src0_sel:BYTE_0 src1_sel:DWORD
	s_mov_b64 s[8:9], -1
	s_and_b64 vcc, exec, s[10:11]
	s_cbranch_vccnz .LBB31_798
; %bb.778:
	v_mov_b32_e32 v3, 8
	v_cmp_lt_i16_sdwa s[10:11], s75, v3 src0_sel:BYTE_0 src1_sel:DWORD
	s_and_b64 vcc, exec, s[10:11]
	s_cbranch_vccnz .LBB31_788
; %bb.779:
	v_mov_b32_e32 v3, 9
	v_cmp_lt_i16_sdwa s[10:11], s75, v3 src0_sel:BYTE_0 src1_sel:DWORD
	s_and_b64 vcc, exec, s[10:11]
	s_cbranch_vccnz .LBB31_785
; %bb.780:
	v_cmp_gt_i16_sdwa s[10:11], s75, v3 src0_sel:BYTE_0 src1_sel:DWORD
	s_and_b64 vcc, exec, s[10:11]
	s_cbranch_vccz .LBB31_782
; %bb.781:
	v_lshlrev_b32_e32 v3, 16, v2
	v_mov_b32_e32 v12, 0
	v_cvt_f64_f32_e32 v[10:11], v3
	v_mov_b32_e32 v13, v12
	s_mov_b64 s[8:9], 0
	global_store_dwordx4 v[0:1], v[10:13], off
.LBB31_782:
	s_andn2_b64 vcc, exec, s[8:9]
	s_cbranch_vccnz .LBB31_784
; %bb.783:
	v_lshlrev_b32_e32 v6, 16, v2
	v_mov_b32_e32 v7, 0
	global_store_dwordx2 v[0:1], v[6:7], off
.LBB31_784:
	s_mov_b64 s[8:9], 0
.LBB31_785:
	s_andn2_b64 vcc, exec, s[8:9]
	s_cbranch_vccnz .LBB31_787
; %bb.786:
	v_lshlrev_b32_e32 v3, 16, v2
	v_cvt_f16_f32_e32 v3, v3
	global_store_dword v[0:1], v3, off
.LBB31_787:
	s_mov_b64 s[8:9], 0
.LBB31_788:
	s_andn2_b64 vcc, exec, s[8:9]
	s_cbranch_vccnz .LBB31_797
; %bb.789:
	v_mov_b32_e32 v3, 6
	v_cmp_lt_i16_sdwa s[10:11], s75, v3 src0_sel:BYTE_0 src1_sel:DWORD
	s_mov_b64 s[8:9], -1
	s_and_b64 vcc, exec, s[10:11]
	s_cbranch_vccnz .LBB31_795
; %bb.790:
	v_cmp_gt_i16_sdwa s[10:11], s75, v3 src0_sel:BYTE_0 src1_sel:DWORD
	s_and_b64 vcc, exec, s[10:11]
	s_cbranch_vccz .LBB31_792
; %bb.791:
	v_lshlrev_b32_e32 v3, 16, v2
	v_cvt_f64_f32_e32 v[6:7], v3
	s_mov_b64 s[8:9], 0
	global_store_dwordx2 v[0:1], v[6:7], off
.LBB31_792:
	s_andn2_b64 vcc, exec, s[8:9]
	s_cbranch_vccnz .LBB31_794
; %bb.793:
	v_lshlrev_b32_e32 v3, 16, v2
	global_store_dword v[0:1], v3, off
.LBB31_794:
	s_mov_b64 s[8:9], 0
.LBB31_795:
	s_andn2_b64 vcc, exec, s[8:9]
	s_cbranch_vccnz .LBB31_797
; %bb.796:
	v_lshlrev_b32_e32 v3, 16, v2
	v_cvt_f16_f32_e32 v3, v3
	global_store_short v[0:1], v3, off
.LBB31_797:
	s_mov_b64 s[8:9], 0
.LBB31_798:
	s_andn2_b64 vcc, exec, s[8:9]
	s_cbranch_vccnz .LBB31_814
; %bb.799:
	v_mov_b32_e32 v3, 2
	v_cmp_lt_i16_sdwa s[10:11], s75, v3 src0_sel:BYTE_0 src1_sel:DWORD
	s_mov_b64 s[8:9], -1
	s_and_b64 vcc, exec, s[10:11]
	s_cbranch_vccnz .LBB31_809
; %bb.800:
	v_mov_b32_e32 v3, 3
	v_cmp_lt_i16_sdwa s[10:11], s75, v3 src0_sel:BYTE_0 src1_sel:DWORD
	s_and_b64 vcc, exec, s[10:11]
	s_cbranch_vccnz .LBB31_806
; %bb.801:
	v_cmp_gt_i16_sdwa s[10:11], s75, v3 src0_sel:BYTE_0 src1_sel:DWORD
	s_and_b64 vcc, exec, s[10:11]
	s_cbranch_vccz .LBB31_803
; %bb.802:
	v_lshlrev_b32_e32 v3, 16, v2
	v_trunc_f32_e32 v3, v3
	s_mov_b32 s8, 0x2f800000
	v_mul_f32_e64 v5, |v3|, s8
	v_floor_f32_e32 v5, v5
	s_mov_b32 s8, 0xcf800000
	v_cvt_u32_f32_e32 v6, v5
	v_fma_f32 v5, v5, s8, |v3|
	v_cvt_u32_f32_e32 v5, v5
	v_ashrrev_i32_e32 v3, 31, v3
	v_xor_b32_e32 v7, v6, v3
	s_mov_b64 s[8:9], 0
	v_xor_b32_e32 v5, v5, v3
	v_sub_co_u32_e32 v6, vcc, v5, v3
	v_subb_co_u32_e32 v7, vcc, v7, v3, vcc
	global_store_dwordx2 v[0:1], v[6:7], off
.LBB31_803:
	s_andn2_b64 vcc, exec, s[8:9]
	s_cbranch_vccnz .LBB31_805
; %bb.804:
	v_lshlrev_b32_e32 v3, 16, v2
	v_cvt_i32_f32_e32 v3, v3
	global_store_dword v[0:1], v3, off
.LBB31_805:
	s_mov_b64 s[8:9], 0
.LBB31_806:
	s_andn2_b64 vcc, exec, s[8:9]
	s_cbranch_vccnz .LBB31_808
; %bb.807:
	v_lshlrev_b32_e32 v3, 16, v2
	v_cvt_i32_f32_e32 v3, v3
	global_store_short v[0:1], v3, off
.LBB31_808:
	s_mov_b64 s[8:9], 0
.LBB31_809:
	s_andn2_b64 vcc, exec, s[8:9]
	s_cbranch_vccnz .LBB31_814
; %bb.810:
	v_mov_b32_e32 v3, 0
	v_cmp_gt_i16_sdwa s[10:11], s75, v3 src0_sel:BYTE_0 src1_sel:DWORD
	s_mov_b64 s[8:9], -1
	s_and_b64 vcc, exec, s[10:11]
	v_lshlrev_b32_e32 v2, 16, v2
	s_cbranch_vccz .LBB31_812
; %bb.811:
	v_cvt_i32_f32_e32 v3, v2
	s_mov_b64 s[8:9], 0
	global_store_byte v[0:1], v3, off
.LBB31_812:
	s_andn2_b64 vcc, exec, s[8:9]
	s_cbranch_vccnz .LBB31_814
; %bb.813:
	v_trunc_f32_e32 v2, v2
	s_mov_b32 s8, 0x2f800000
	v_mul_f32_e64 v3, |v2|, s8
	v_floor_f32_e32 v3, v3
	s_mov_b32 s8, 0xcf800000
	v_fma_f32 v3, v3, s8, |v2|
	v_cvt_u32_f32_e32 v3, v3
	v_ashrrev_i32_e32 v2, 31, v2
	v_xor_b32_e32 v3, v3, v2
	v_sub_u32_e32 v2, v3, v2
	global_store_byte v[0:1], v2, off
.LBB31_814:
	s_mov_b64 s[8:9], -1
.LBB31_815:
	s_andn2_b64 vcc, exec, s[8:9]
	s_cbranch_vccnz .LBB31_817
; %bb.816:
	v_add_u32_e32 v8, 0x80, v8
	s_mov_b64 s[8:9], -1
	s_branch .LBB31_819
.LBB31_817:
	s_mov_b64 s[8:9], 0
.LBB31_818:
                                        ; implicit-def: $vgpr8
.LBB31_819:
	s_andn2_b64 s[10:11], s[60:61], exec
	s_and_b64 s[0:1], s[0:1], exec
	s_or_b64 s[68:69], s[10:11], s[0:1]
	s_andn2_b64 s[0:1], s[58:59], exec
	s_and_b64 s[2:3], s[2:3], exec
	s_or_b64 s[66:67], s[0:1], s[2:3]
	s_orn2_b64 s[2:3], s[8:9], exec
.LBB31_820:
	s_or_b64 exec, exec, s[64:65]
	s_mov_b64 s[0:1], 0
	s_mov_b64 s[8:9], 0
	;; [unrolled: 1-line block ×3, first 2 shown]
                                        ; implicit-def: $vgpr2_vgpr3
                                        ; implicit-def: $vgpr0
                                        ; implicit-def: $vgpr6
	s_and_saveexec_b64 s[64:65], s[2:3]
	s_cbranch_execz .LBB31_920
; %bb.821:
	v_cmp_gt_i32_e32 vcc, s72, v8
	s_mov_b64 s[2:3], 0
	s_mov_b64 s[12:13], s[66:67]
                                        ; implicit-def: $vgpr2_vgpr3
                                        ; implicit-def: $vgpr0
                                        ; implicit-def: $vgpr6
	s_and_saveexec_b64 s[70:71], vcc
	s_cbranch_execz .LBB31_919
; %bb.822:
	s_andn2_b64 vcc, exec, s[40:41]
	s_cbranch_vccnz .LBB31_828
; %bb.823:
	s_mov_b32 s72, 0
	s_andn2_b64 vcc, exec, s[50:51]
	v_mov_b32_e32 v2, 0
	v_mov_b32_e32 v0, 0
	s_cbranch_vccnz .LBB31_834
; %bb.824:
	s_add_i32 s78, s73, 1
	s_cmp_eq_u32 s74, 2
	s_cbranch_scc1 .LBB31_829
; %bb.825:
	s_and_b32 s72, s78, 28
	s_mov_b32 s73, 0
	v_mov_b32_e32 v0, 0
	s_mov_b64 s[50:51], s[34:35]
	v_mov_b32_e32 v3, v8
	v_mov_b32_e32 v2, 0
.LBB31_826:                             ; =>This Inner Loop Header: Depth=1
	s_load_dwordx8 s[16:23], s[50:51], 0x4
	s_load_dwordx4 s[0:3], s[50:51], 0x24
	s_load_dwordx8 s[8:15], s[48:49], 0x0
	s_add_u32 s50, s50, 48
	s_addc_u32 s51, s51, 0
	s_waitcnt vmcnt(0) lgkmcnt(0)
	v_mul_hi_u32 v1, s17, v3
	v_add_u32_e32 v1, v3, v1
	v_lshrrev_b32_e32 v1, s18, v1
	v_mul_lo_u32 v5, v1, s16
	v_mul_hi_u32 v6, s20, v1
	v_sub_u32_e32 v3, v3, v5
	v_add_u32_e32 v5, v1, v6
	v_lshrrev_b32_e32 v5, s21, v5
	v_mul_lo_u32 v7, v5, s19
	v_mul_hi_u32 v9, s23, v5
	v_sub_u32_e32 v1, v1, v7
	v_add_u32_e32 v7, v5, v9
	v_mul_lo_u32 v6, v3, s9
	v_mul_lo_u32 v3, v3, s8
	;; [unrolled: 1-line block ×4, first 2 shown]
	v_lshrrev_b32_e32 v7, s0, v7
	v_add3_u32 v0, v3, v0, v1
	v_mul_hi_u32 v3, s2, v7
	v_add_u32_e32 v3, v7, v3
	v_lshrrev_b32_e32 v3, s3, v3
	s_add_i32 s73, s73, 4
	v_add3_u32 v1, v6, v2, v9
	v_mul_lo_u32 v2, v7, s22
	v_mul_lo_u32 v6, v3, s1
	s_add_u32 s48, s48, 32
	v_sub_u32_e32 v2, v5, v2
	v_sub_u32_e32 v6, v7, v6
	s_addc_u32 s49, s49, 0
	v_mul_lo_u32 v5, v2, s12
	v_mul_lo_u32 v2, v2, s13
	;; [unrolled: 1-line block ×4, first 2 shown]
	s_cmp_eq_u32 s72, s73
	v_add3_u32 v2, v2, v1, v6
	v_add3_u32 v0, v5, v0, v7
	s_cbranch_scc0 .LBB31_826
; %bb.827:
	v_mov_b32_e32 v1, v2
	s_branch .LBB31_830
.LBB31_828:
	s_mov_b64 s[0:1], -1
                                        ; implicit-def: $vgpr2
                                        ; implicit-def: $vgpr0
	s_branch .LBB31_835
.LBB31_829:
	s_mov_b32 s73, s72
	s_waitcnt vmcnt(0)
	v_pk_mov_b32 v[0:1], s[72:73], s[72:73] op_sel:[0,1]
                                        ; implicit-def: $vgpr2
	v_mov_b32_e32 v3, v8
.LBB31_830:
	s_and_b32 s8, s78, 3
	s_cmp_eq_u32 s8, 0
	s_cbranch_scc1 .LBB31_834
; %bb.831:
	s_lshl_b32 s0, s72, 3
	s_add_u32 s0, s0, s34
	s_addc_u32 s1, s35, 0
	s_add_u32 s0, s0, 0xc4
	s_addc_u32 s1, s1, 0
	s_mul_i32 s2, s72, 12
	s_add_u32 s2, s34, s2
	s_addc_u32 s3, s35, 0
.LBB31_832:                             ; =>This Inner Loop Header: Depth=1
	s_load_dwordx2 s[10:11], s[2:3], 0x4
	s_load_dword s9, s[2:3], 0xc
	s_load_dwordx2 s[12:13], s[0:1], 0x0
	v_mov_b32_e32 v2, v1
	s_add_u32 s2, s2, 12
	s_waitcnt lgkmcnt(0)
	v_mul_hi_u32 v1, s11, v3
	v_add_u32_e32 v1, v3, v1
	v_lshrrev_b32_e32 v1, s9, v1
	s_addc_u32 s3, s3, 0
	v_mul_lo_u32 v5, v1, s10
	s_add_u32 s0, s0, 8
	v_sub_u32_e32 v5, v3, v5
	v_mov_b32_e32 v3, v1
	s_addc_u32 s1, s1, 0
	s_add_i32 s8, s8, -1
	v_mad_u64_u32 v[6:7], s[10:11], v5, s13, v[2:3]
	v_mad_u64_u32 v[0:1], s[10:11], v5, s12, v[0:1]
	s_cmp_lg_u32 s8, 0
	v_mov_b32_e32 v1, v6
	s_cbranch_scc1 .LBB31_832
; %bb.833:
	v_mov_b32_e32 v2, v1
.LBB31_834:
	s_mov_b64 s[0:1], 0
.LBB31_835:
	s_andn2_b64 vcc, exec, s[0:1]
	s_cbranch_vccnz .LBB31_838
; %bb.836:
	v_mul_hi_u32 v0, s29, v8
	v_add_u32_e32 v0, v8, v0
	s_waitcnt vmcnt(0)
	v_lshrrev_b32_e32 v1, s30, v0
	v_mul_lo_u32 v0, v1, s28
	v_sub_u32_e32 v0, v8, v0
	v_mul_lo_u32 v2, v0, s37
	s_andn2_b64 vcc, exec, s[44:45]
	v_mul_lo_u32 v0, v0, s36
	s_cbranch_vccnz .LBB31_838
; %bb.837:
	v_mul_hi_u32 v3, s46, v1
	v_add_u32_e32 v3, v1, v3
	v_lshrrev_b32_e32 v3, s47, v3
	v_mul_lo_u32 v3, v3, s31
	v_sub_u32_e32 v3, v1, v3
	v_mad_u64_u32 v[0:1], s[0:1], v3, s38, v[0:1]
	v_mad_u64_u32 v[2:3], s[0:1], v3, s39, v[2:3]
.LBB31_838:
	s_waitcnt vmcnt(0)
	v_mov_b32_e32 v1, s27
	v_add_co_u32_e32 v2, vcc, s26, v2
	v_addc_co_u32_e32 v3, vcc, 0, v1, vcc
	v_cmp_lt_i16_e64 s[0:1], s77, 11
	s_and_b64 vcc, exec, s[0:1]
	s_cbranch_vccnz .LBB31_845
; %bb.839:
	v_cmp_gt_i16_e64 s[0:1], s77, 25
	s_mov_b64 s[2:3], 0
	s_and_b64 vcc, exec, s[0:1]
	s_cbranch_vccz .LBB31_846
; %bb.840:
	v_cmp_gt_i16_e64 s[0:1], s77, 28
	s_and_b64 vcc, exec, s[0:1]
	s_cbranch_vccz .LBB31_847
; %bb.841:
	v_cmp_gt_i16_e64 s[0:1], s77, 43
	;; [unrolled: 4-line block ×3, first 2 shown]
	s_and_b64 vcc, exec, s[0:1]
	s_cbranch_vccz .LBB31_851
; %bb.843:
	v_cmp_eq_u16_e64 s[0:1], s77, 46
	s_mov_b64 s[10:11], 0
	s_and_b64 vcc, exec, s[0:1]
	s_cbranch_vccz .LBB31_854
; %bb.844:
	global_load_dword v6, v[2:3], off
	s_mov_b64 s[0:1], 0
	s_mov_b64 s[8:9], -1
	s_branch .LBB31_855
.LBB31_845:
	s_mov_b64 s[12:13], -1
	s_mov_b64 s[8:9], 0
	s_mov_b64 s[2:3], 0
	s_mov_b64 s[0:1], s[66:67]
                                        ; implicit-def: $vgpr6
	s_branch .LBB31_918
.LBB31_846:
	s_mov_b64 s[10:11], -1
	s_mov_b64 s[8:9], 0
	s_mov_b64 s[0:1], s[66:67]
                                        ; implicit-def: $vgpr6
	s_branch .LBB31_884
.LBB31_847:
	s_mov_b64 s[10:11], -1
	s_mov_b64 s[8:9], 0
	s_mov_b64 s[0:1], s[66:67]
                                        ; implicit-def: $vgpr6
	s_branch .LBB31_865
.LBB31_848:
	s_mov_b64 s[10:11], -1
	s_mov_b64 s[8:9], 0
	s_mov_b64 s[0:1], s[66:67]
                                        ; implicit-def: $vgpr6
	s_branch .LBB31_860
.LBB31_849:
	s_or_saveexec_b64 s[12:13], s[12:13]
                                        ; implicit-def: $sgpr14
	s_xor_b64 exec, exec, s[12:13]
	s_cbranch_execz .LBB31_728
.LBB31_850:
	s_mov_b32 s14, 0x46000000
	v_add_f32_e64 v5, |v6|, s14
	v_and_b32_e32 v5, 0xff, v5
	v_cmp_ne_u32_e32 vcc, 0, v5
	s_andn2_b64 s[10:11], s[10:11], exec
	s_and_b64 s[16:17], vcc, exec
	s_mov_b32 s14, 0
	s_or_b64 s[10:11], s[10:11], s[16:17]
	s_or_b64 exec, exec, s[12:13]
	v_mov_b32_e32 v7, s14
	s_and_saveexec_b64 s[12:13], s[10:11]
	s_cbranch_execnz .LBB31_729
	s_branch .LBB31_730
.LBB31_851:
	s_mov_b64 s[10:11], -1
	s_mov_b64 s[8:9], 0
	s_mov_b64 s[0:1], s[66:67]
                                        ; implicit-def: $vgpr6
	s_branch .LBB31_855
.LBB31_852:
	s_or_saveexec_b64 s[12:13], s[12:13]
                                        ; implicit-def: $sgpr14
	s_xor_b64 exec, exec, s[12:13]
	s_cbranch_execz .LBB31_741
.LBB31_853:
	s_mov_b32 s14, 0x42800000
	v_add_f32_e64 v5, |v6|, s14
	v_and_b32_e32 v5, 0xff, v5
	v_cmp_ne_u32_e32 vcc, 0, v5
	s_andn2_b64 s[10:11], s[10:11], exec
	s_and_b64 s[16:17], vcc, exec
	s_mov_b32 s14, 0
	s_or_b64 s[10:11], s[10:11], s[16:17]
	s_or_b64 exec, exec, s[12:13]
	v_mov_b32_e32 v7, s14
	s_and_saveexec_b64 s[12:13], s[10:11]
	s_cbranch_execnz .LBB31_742
	s_branch .LBB31_743
.LBB31_854:
	s_mov_b64 s[0:1], -1
                                        ; implicit-def: $vgpr6
	s_mov_b64 s[8:9], 0
.LBB31_855:
	s_and_b64 vcc, exec, s[10:11]
	s_cbranch_vccz .LBB31_859
; %bb.856:
	v_cmp_eq_u16_e64 s[0:1], s77, 44
	s_and_b64 vcc, exec, s[0:1]
	s_cbranch_vccz .LBB31_858
; %bb.857:
	global_load_ubyte v1, v[2:3], off
	s_movk_i32 s8, 0xff
	v_mov_b32_e32 v5, 0x7f800001
	s_waitcnt vmcnt(1)
	v_mov_b32_e32 v6, 0x400000
	v_mov_b32_e32 v7, 0x7fc0
	s_mov_b64 s[0:1], 0
	s_waitcnt vmcnt(0)
	v_lshlrev_b32_e32 v8, 23, v1
	v_cmp_ne_u32_e32 vcc, s8, v1
	v_cndmask_b32_e32 v5, v5, v8, vcc
	v_cmp_ne_u32_e32 vcc, 0, v1
	v_cndmask_b32_e32 v1, v6, v5, vcc
	v_add_u32_e32 v5, 0x7fff, v1
	v_lshrrev_b32_e32 v5, 16, v5
	v_cmp_o_f32_e32 vcc, v1, v1
	v_cndmask_b32_e32 v6, v7, v5, vcc
	s_mov_b64 s[8:9], -1
	s_branch .LBB31_859
.LBB31_858:
	s_mov_b64 s[0:1], -1
                                        ; implicit-def: $vgpr6
.LBB31_859:
	s_mov_b64 s[10:11], 0
.LBB31_860:
	s_and_b64 vcc, exec, s[10:11]
	s_cbranch_vccz .LBB31_864
; %bb.861:
	v_cmp_eq_u16_e64 s[0:1], s77, 29
	s_and_b64 vcc, exec, s[0:1]
	s_cbranch_vccz .LBB31_863
; %bb.862:
	global_load_dwordx2 v[6:7], v[2:3], off
	s_movk_i32 s8, 0x7fff
	s_mov_b64 s[0:1], 0
	s_mov_b64 s[10:11], 0
	s_waitcnt vmcnt(0)
	v_ffbh_u32_e32 v1, v7
	v_min_u32_e32 v1, 32, v1
	v_lshlrev_b64 v[6:7], v1, v[6:7]
	v_min_u32_e32 v5, 1, v6
	v_or_b32_e32 v5, v7, v5
	v_cvt_f32_u32_e32 v5, v5
	v_sub_u32_e32 v1, 32, v1
	v_ldexp_f32 v1, v5, v1
	v_bfe_u32 v5, v1, 16, 1
	v_add3_u32 v1, v1, v5, s8
	v_lshrrev_b32_e32 v6, 16, v1
	s_mov_b64 s[8:9], -1
	s_branch .LBB31_865
.LBB31_863:
	s_mov_b64 s[0:1], -1
                                        ; implicit-def: $vgpr6
.LBB31_864:
	s_mov_b64 s[10:11], 0
.LBB31_865:
	s_and_b64 vcc, exec, s[10:11]
	s_cbranch_vccz .LBB31_883
; %bb.866:
	v_cmp_lt_i16_e64 s[8:9], s77, 27
	s_and_b64 vcc, exec, s[8:9]
	s_cbranch_vccnz .LBB31_869
; %bb.867:
	v_cmp_gt_i16_e64 s[8:9], s77, 27
	s_and_b64 vcc, exec, s[8:9]
	s_cbranch_vccz .LBB31_870
; %bb.868:
	global_load_dword v1, v[2:3], off
	s_movk_i32 s8, 0x7fff
	s_waitcnt vmcnt(0)
	v_cvt_f32_u32_e32 v1, v1
	v_bfe_u32 v5, v1, 16, 1
	v_add3_u32 v1, v1, v5, s8
	v_lshrrev_b32_e32 v6, 16, v1
	s_mov_b64 s[8:9], 0
	s_branch .LBB31_871
.LBB31_869:
	s_mov_b64 s[8:9], -1
                                        ; implicit-def: $vgpr6
	s_branch .LBB31_874
.LBB31_870:
	s_mov_b64 s[8:9], -1
                                        ; implicit-def: $vgpr6
.LBB31_871:
	s_andn2_b64 vcc, exec, s[8:9]
	s_cbranch_vccnz .LBB31_873
; %bb.872:
	global_load_ushort v1, v[2:3], off
	s_movk_i32 s8, 0x7fff
	s_waitcnt vmcnt(0)
	v_cvt_f32_u32_e32 v1, v1
	v_bfe_u32 v5, v1, 16, 1
	v_add3_u32 v1, v1, v5, s8
	v_lshrrev_b32_e32 v6, 16, v1
.LBB31_873:
	s_mov_b64 s[8:9], 0
.LBB31_874:
	s_andn2_b64 vcc, exec, s[8:9]
	s_cbranch_vccnz .LBB31_882
; %bb.875:
	global_load_ubyte v1, v[2:3], off
	s_movk_i32 s8, 0x7f
                                        ; implicit-def: $sgpr14
	s_waitcnt vmcnt(0)
	v_cmp_lt_i16_e32 vcc, s8, v1
	s_mov_b64 s[8:9], 0
	s_and_saveexec_b64 s[10:11], vcc
	s_xor_b64 s[10:11], exec, s[10:11]
	s_cbranch_execz .LBB31_896
; %bb.876:
	s_movk_i32 s8, 0x80
	v_cmp_eq_u16_e32 vcc, s8, v1
	s_mov_b64 s[8:9], -1
                                        ; implicit-def: $sgpr14
	s_and_saveexec_b64 s[12:13], vcc
; %bb.877:
	s_mov_b32 s14, 0x7f800001
	s_xor_b64 s[8:9], exec, -1
; %bb.878:
	s_or_b64 exec, exec, s[12:13]
	s_and_b64 s[8:9], s[8:9], exec
	s_or_saveexec_b64 s[10:11], s[10:11]
	v_mov_b32_e32 v5, s14
	s_xor_b64 exec, exec, s[10:11]
	s_cbranch_execnz .LBB31_897
.LBB31_879:
	s_or_b64 exec, exec, s[10:11]
	s_and_saveexec_b64 s[10:11], s[8:9]
	s_cbranch_execz .LBB31_881
.LBB31_880:
	v_lshlrev_b32_e32 v5, 24, v1
	v_and_b32_e32 v1, 0xffff, v1
	v_and_b32_e32 v6, 7, v1
	v_ffbh_u32_e32 v8, v6
	v_min_u32_e32 v8, 32, v8
	v_subrev_u32_e32 v9, 28, v8
	v_bfe_u32 v7, v1, 3, 4
	v_lshlrev_b32_e32 v1, v9, v1
	v_sub_u32_e32 v8, 29, v8
	v_and_b32_e32 v1, 7, v1
	v_cmp_eq_u32_e32 vcc, 0, v7
	v_cndmask_b32_e32 v7, v7, v8, vcc
	v_cndmask_b32_e32 v1, v6, v1, vcc
	v_mov_b32_e32 v6, 0x3b800000
	v_lshlrev_b32_e32 v1, 20, v1
	v_and_b32_e32 v5, 0x80000000, v5
	v_lshl_add_u32 v6, v7, 23, v6
	v_or3_b32 v5, v5, v6, v1
.LBB31_881:
	s_or_b64 exec, exec, s[10:11]
	v_bfe_u32 v1, v5, 16, 1
	s_movk_i32 s8, 0x7fff
	v_add3_u32 v1, v5, v1, s8
	v_lshrrev_b32_e32 v1, 16, v1
	v_mov_b32_e32 v6, 0x7fc0
	v_cmp_o_f32_e32 vcc, v5, v5
	v_cndmask_b32_e32 v6, v6, v1, vcc
.LBB31_882:
	s_mov_b64 s[8:9], -1
.LBB31_883:
	s_mov_b64 s[10:11], 0
.LBB31_884:
	s_and_b64 vcc, exec, s[10:11]
	s_cbranch_vccz .LBB31_917
; %bb.885:
	v_cmp_gt_i16_e64 s[2:3], s77, 22
	s_and_b64 vcc, exec, s[2:3]
	s_cbranch_vccz .LBB31_895
; %bb.886:
	v_cmp_lt_i16_e64 s[2:3], s77, 24
	s_and_b64 vcc, exec, s[2:3]
	s_cbranch_vccnz .LBB31_898
; %bb.887:
	v_cmp_gt_i16_e64 s[2:3], s77, 24
	s_and_b64 vcc, exec, s[2:3]
	s_cbranch_vccz .LBB31_899
; %bb.888:
	global_load_ubyte v1, v[2:3], off
	s_movk_i32 s2, 0x7f
                                        ; implicit-def: $sgpr12
	s_waitcnt vmcnt(0)
	v_cmp_lt_i16_e32 vcc, s2, v1
	s_mov_b64 s[2:3], 0
	s_and_saveexec_b64 s[8:9], vcc
	s_xor_b64 s[8:9], exec, s[8:9]
	s_cbranch_execz .LBB31_911
; %bb.889:
	s_movk_i32 s2, 0x80
	v_cmp_eq_u16_e32 vcc, s2, v1
	s_mov_b64 s[2:3], -1
                                        ; implicit-def: $sgpr12
	s_and_saveexec_b64 s[10:11], vcc
; %bb.890:
	s_mov_b32 s12, 0x7f800001
	s_xor_b64 s[2:3], exec, -1
; %bb.891:
	s_or_b64 exec, exec, s[10:11]
	s_and_b64 s[2:3], s[2:3], exec
	s_or_saveexec_b64 s[8:9], s[8:9]
	v_mov_b32_e32 v5, s12
	s_xor_b64 exec, exec, s[8:9]
	s_cbranch_execnz .LBB31_912
.LBB31_892:
	s_or_b64 exec, exec, s[8:9]
	s_and_saveexec_b64 s[8:9], s[2:3]
	s_cbranch_execz .LBB31_894
.LBB31_893:
	v_lshlrev_b32_e32 v5, 24, v1
	v_and_b32_e32 v1, 0xffff, v1
	v_and_b32_e32 v6, 3, v1
	v_ffbh_u32_e32 v8, v6
	v_min_u32_e32 v8, 32, v8
	v_subrev_u32_e32 v9, 29, v8
	v_bfe_u32 v7, v1, 2, 5
	v_lshlrev_b32_e32 v1, v9, v1
	v_sub_u32_e32 v8, 30, v8
	v_and_b32_e32 v1, 3, v1
	v_cmp_eq_u32_e32 vcc, 0, v7
	v_cndmask_b32_e32 v7, v7, v8, vcc
	v_cndmask_b32_e32 v1, v6, v1, vcc
	v_mov_b32_e32 v6, 0x37800000
	v_lshlrev_b32_e32 v1, 21, v1
	v_and_b32_e32 v5, 0x80000000, v5
	v_lshl_add_u32 v6, v7, 23, v6
	v_or3_b32 v5, v5, v6, v1
.LBB31_894:
	s_or_b64 exec, exec, s[8:9]
	v_bfe_u32 v1, v5, 16, 1
	s_movk_i32 s2, 0x7fff
	v_add3_u32 v1, v5, v1, s2
	v_lshrrev_b32_e32 v1, 16, v1
	v_mov_b32_e32 v6, 0x7fc0
	v_cmp_o_f32_e32 vcc, v5, v5
	v_cndmask_b32_e32 v6, v6, v1, vcc
	s_mov_b64 s[2:3], 0
	s_branch .LBB31_900
.LBB31_895:
	s_mov_b64 s[2:3], -1
                                        ; implicit-def: $vgpr6
	s_branch .LBB31_906
.LBB31_896:
	s_or_saveexec_b64 s[10:11], s[10:11]
	v_mov_b32_e32 v5, s14
	s_xor_b64 exec, exec, s[10:11]
	s_cbranch_execz .LBB31_879
.LBB31_897:
	v_cmp_ne_u16_e32 vcc, 0, v1
	s_andn2_b64 s[8:9], s[8:9], exec
	s_and_b64 s[12:13], vcc, exec
	v_mov_b32_e32 v5, 0
	s_or_b64 s[8:9], s[8:9], s[12:13]
	s_or_b64 exec, exec, s[10:11]
	s_and_saveexec_b64 s[10:11], s[8:9]
	s_cbranch_execnz .LBB31_880
	s_branch .LBB31_881
.LBB31_898:
	s_mov_b64 s[2:3], -1
                                        ; implicit-def: $vgpr6
	s_branch .LBB31_903
.LBB31_899:
	s_mov_b64 s[2:3], -1
                                        ; implicit-def: $vgpr6
.LBB31_900:
	s_and_b64 vcc, exec, s[2:3]
	s_cbranch_vccz .LBB31_902
; %bb.901:
	global_load_ubyte v1, v[2:3], off
	s_mov_b32 s2, 0x7f800000
	s_brev_b32 s3, 1
	s_movk_i32 s8, 0x7fff
	v_mov_b32_e32 v5, 0x7fc0
	s_waitcnt vmcnt(0)
	v_lshlrev_b32_e32 v1, 24, v1
	v_and_b32_e32 v6, 0x7f000000, v1
	v_ffbh_u32_e32 v7, v6
	v_min_u32_e32 v7, 32, v7
	v_sub_u32_e64 v7, v7, 4 clamp
	v_lshlrev_b32_e32 v9, v7, v6
	v_lshlrev_b32_e32 v7, 23, v7
	v_lshrrev_b32_e32 v9, 4, v9
	v_add_u32_e32 v8, 0x1000000, v6
	v_sub_u32_e32 v7, v9, v7
	v_ashrrev_i32_e32 v8, 8, v8
	v_add_u32_e32 v7, 0x3c000000, v7
	v_and_or_b32 v7, v8, s2, v7
	v_cmp_ne_u32_e32 vcc, 0, v6
	v_cndmask_b32_e32 v6, 0, v7, vcc
	v_and_or_b32 v1, v1, s3, v6
	v_bfe_u32 v6, v6, 16, 1
	v_add3_u32 v6, v1, v6, s8
	v_lshrrev_b32_e32 v6, 16, v6
	v_cmp_o_f32_e32 vcc, v1, v1
	v_cndmask_b32_e32 v6, v5, v6, vcc
.LBB31_902:
	s_mov_b64 s[2:3], 0
.LBB31_903:
	s_andn2_b64 vcc, exec, s[2:3]
	s_cbranch_vccnz .LBB31_905
; %bb.904:
	global_load_ubyte v1, v[2:3], off
	s_movk_i32 s2, 0x7f00
	s_brev_b32 s3, 16
	s_brev_b32 s8, 1
	s_movk_i32 s9, 0x7fff
	v_mov_b32_e32 v5, 0x7fc0
	s_waitcnt vmcnt(0)
	v_lshlrev_b16_e32 v6, 8, v1
	v_lshlrev_b32_e32 v1, 25, v1
	v_lshrrev_b32_e32 v7, 4, v1
	v_and_or_b32 v8, v6, s2, 0.5
	v_or_b32_e32 v7, 0x70000000, v7
	v_add_f32_e32 v8, -0.5, v8
	v_mul_f32_e32 v7, 0x7800000, v7
	v_cmp_gt_u32_e32 vcc, s3, v1
	v_bfe_i32 v6, v6, 0, 16
	v_cndmask_b32_e32 v1, v7, v8, vcc
	v_and_or_b32 v6, v6, s8, v1
	v_bfe_u32 v1, v1, 16, 1
	v_add3_u32 v1, v6, v1, s9
	v_lshrrev_b32_e32 v1, 16, v1
	v_cmp_o_f32_e32 vcc, v6, v6
	v_cndmask_b32_e32 v6, v5, v1, vcc
.LBB31_905:
	s_mov_b64 s[2:3], 0
	s_mov_b64 s[8:9], -1
.LBB31_906:
	s_andn2_b64 vcc, exec, s[2:3]
	s_mov_b64 s[2:3], 0
	s_cbranch_vccnz .LBB31_917
; %bb.907:
	v_cmp_gt_i16_e64 s[2:3], s77, 14
	s_and_b64 vcc, exec, s[2:3]
	s_cbranch_vccz .LBB31_910
; %bb.908:
	v_cmp_eq_u16_e64 s[0:1], s77, 15
	s_and_b64 vcc, exec, s[0:1]
	s_cbranch_vccz .LBB31_913
; %bb.909:
	global_load_ushort v6, v[2:3], off
	s_mov_b64 s[0:1], 0
	s_mov_b64 s[8:9], -1
	s_branch .LBB31_914
.LBB31_910:
	s_mov_b64 s[10:11], -1
                                        ; implicit-def: $vgpr6
	s_branch .LBB31_915
.LBB31_911:
	s_or_saveexec_b64 s[8:9], s[8:9]
	v_mov_b32_e32 v5, s12
	s_xor_b64 exec, exec, s[8:9]
	s_cbranch_execz .LBB31_892
.LBB31_912:
	v_cmp_ne_u16_e32 vcc, 0, v1
	s_andn2_b64 s[2:3], s[2:3], exec
	s_and_b64 s[10:11], vcc, exec
	v_mov_b32_e32 v5, 0
	s_or_b64 s[2:3], s[2:3], s[10:11]
	s_or_b64 exec, exec, s[8:9]
	s_and_saveexec_b64 s[8:9], s[2:3]
	s_cbranch_execnz .LBB31_893
	s_branch .LBB31_894
.LBB31_913:
	s_mov_b64 s[0:1], -1
                                        ; implicit-def: $vgpr6
.LBB31_914:
	s_mov_b64 s[10:11], 0
.LBB31_915:
	s_mov_b64 s[2:3], 0
	s_and_b64 vcc, exec, s[10:11]
	s_cbranch_vccz .LBB31_917
; %bb.916:
	v_cmp_ne_u16_e64 s[10:11], s77, 11
	s_andn2_b64 s[0:1], s[0:1], exec
	s_and_b64 s[10:11], s[10:11], exec
	s_mov_b64 s[2:3], -1
	s_or_b64 s[0:1], s[0:1], s[10:11]
                                        ; implicit-def: $vgpr6
.LBB31_917:
	s_mov_b64 s[12:13], 0
.LBB31_918:
	s_and_b64 s[10:11], s[8:9], exec
	s_and_b64 s[8:9], s[12:13], exec
	s_andn2_b64 s[12:13], s[66:67], exec
	s_and_b64 s[0:1], s[0:1], exec
	s_and_b64 s[2:3], s[2:3], exec
	s_or_b64 s[12:13], s[12:13], s[0:1]
.LBB31_919:
	s_or_b64 exec, exec, s[70:71]
	s_and_b64 s[0:1], s[2:3], exec
	s_andn2_b64 s[2:3], s[66:67], exec
	s_and_b64 s[12:13], s[12:13], exec
	s_and_b64 s[10:11], s[10:11], exec
	;; [unrolled: 1-line block ×3, first 2 shown]
	s_or_b64 s[66:67], s[2:3], s[12:13]
.LBB31_920:
	s_or_b64 exec, exec, s[64:65]
	s_andn2_b64 s[2:3], s[60:61], exec
	s_and_b64 s[12:13], s[68:69], exec
	s_or_b64 s[60:61], s[2:3], s[12:13]
	s_and_b64 s[2:3], s[0:1], exec
	s_andn2_b64 s[0:1], s[58:59], exec
	s_and_b64 s[12:13], s[66:67], exec
	s_and_b64 s[10:11], s[10:11], exec
	;; [unrolled: 1-line block ×3, first 2 shown]
	s_or_b64 s[58:59], s[0:1], s[12:13]
.LBB31_921:
	s_or_b64 exec, exec, s[62:63]
	s_andn2_b64 s[0:1], s[52:53], exec
	s_and_b64 s[12:13], s[60:61], exec
	s_or_b64 s[52:53], s[0:1], s[12:13]
	s_and_b64 s[0:1], s[10:11], exec
	s_and_b64 s[10:11], s[8:9], exec
	;; [unrolled: 1-line block ×3, first 2 shown]
	s_andn2_b64 s[2:3], s[54:55], exec
	s_and_b64 s[8:9], s[58:59], exec
	s_or_b64 s[54:55], s[2:3], s[8:9]
	s_or_b64 exec, exec, s[56:57]
	s_mov_b64 s[2:3], 0
	s_and_saveexec_b64 s[8:9], s[54:55]
	s_cbranch_execz .LBB31_276
.LBB31_922:
	s_mov_b64 s[2:3], exec
	s_andn2_b64 s[60:61], s[60:61], exec
	s_trap 2
                                        ; implicit-def: $vgpr6
	s_or_b64 exec, exec, s[8:9]
	s_and_saveexec_b64 s[8:9], s[60:61]
	s_xor_b64 s[8:9], exec, s[8:9]
	s_cbranch_execnz .LBB31_277
.LBB31_923:
	s_or_b64 exec, exec, s[8:9]
	s_and_saveexec_b64 s[8:9], s[10:11]
	s_cbranch_execz .LBB31_969
.LBB31_924:
	v_cmp_lt_i16_e64 s[10:11], s77, 5
	s_and_b64 vcc, exec, s[10:11]
	s_cbranch_vccnz .LBB31_929
; %bb.925:
	v_cmp_lt_i16_e64 s[10:11], s77, 8
	s_and_b64 vcc, exec, s[10:11]
	s_cbranch_vccnz .LBB31_930
; %bb.926:
	;; [unrolled: 4-line block ×3, first 2 shown]
	v_cmp_gt_i16_e64 s[10:11], s77, 9
	s_and_b64 vcc, exec, s[10:11]
	s_cbranch_vccz .LBB31_932
; %bb.928:
	global_load_dwordx2 v[6:7], v[2:3], off
	s_movk_i32 s10, 0x7fff
	s_waitcnt vmcnt(1)
	v_mov_b32_e32 v1, 0x7fc0
	s_waitcnt vmcnt(0)
	v_cvt_f32_f64_e32 v5, v[6:7]
	v_bfe_u32 v6, v5, 16, 1
	v_add3_u32 v6, v5, v6, s10
	v_lshrrev_b32_e32 v6, 16, v6
	v_cmp_o_f32_e32 vcc, v5, v5
	v_cndmask_b32_e32 v6, v1, v6, vcc
	s_mov_b64 s[10:11], 0
	s_branch .LBB31_933
.LBB31_929:
                                        ; implicit-def: $vgpr6
	s_branch .LBB31_950
.LBB31_930:
                                        ; implicit-def: $vgpr6
	s_branch .LBB31_939
.LBB31_931:
	s_mov_b64 s[10:11], -1
                                        ; implicit-def: $vgpr6
	s_branch .LBB31_936
.LBB31_932:
	s_mov_b64 s[10:11], -1
                                        ; implicit-def: $vgpr6
.LBB31_933:
	s_andn2_b64 vcc, exec, s[10:11]
	s_cbranch_vccnz .LBB31_935
; %bb.934:
	global_load_dword v1, v[2:3], off
	s_movk_i32 s10, 0x7fff
	v_mov_b32_e32 v5, 0x7fc0
	s_waitcnt vmcnt(0)
	v_bfe_u32 v6, v1, 16, 1
	v_add3_u32 v6, v1, v6, s10
	v_lshrrev_b32_e32 v6, 16, v6
	v_cmp_o_f32_e32 vcc, v1, v1
	v_cndmask_b32_e32 v6, v5, v6, vcc
.LBB31_935:
	s_mov_b64 s[10:11], 0
.LBB31_936:
	s_andn2_b64 vcc, exec, s[10:11]
	s_cbranch_vccnz .LBB31_938
; %bb.937:
	global_load_dword v1, v[2:3], off
	s_movk_i32 s10, 0x7fff
	s_waitcnt vmcnt(1)
	v_mov_b32_e32 v6, 0x7fc0
	s_waitcnt vmcnt(0)
	v_cvt_f32_f16_e32 v5, v1
	v_cmp_o_f16_e32 vcc, v1, v1
	v_bfe_u32 v7, v5, 16, 1
	v_add3_u32 v5, v5, v7, s10
	v_lshrrev_b32_e32 v5, 16, v5
	v_cndmask_b32_e32 v6, v6, v5, vcc
.LBB31_938:
	s_cbranch_execnz .LBB31_949
.LBB31_939:
	v_cmp_lt_i16_e64 s[10:11], s77, 6
	s_and_b64 vcc, exec, s[10:11]
	s_cbranch_vccnz .LBB31_942
; %bb.940:
	v_cmp_gt_i16_e64 s[10:11], s77, 6
	s_and_b64 vcc, exec, s[10:11]
	s_cbranch_vccz .LBB31_943
; %bb.941:
	global_load_dwordx2 v[6:7], v[2:3], off
	s_movk_i32 s10, 0x7fff
	s_waitcnt vmcnt(1)
	v_mov_b32_e32 v1, 0x7fc0
	s_waitcnt vmcnt(0)
	v_cvt_f32_f64_e32 v5, v[6:7]
	v_bfe_u32 v6, v5, 16, 1
	v_add3_u32 v6, v5, v6, s10
	v_lshrrev_b32_e32 v6, 16, v6
	v_cmp_o_f32_e32 vcc, v5, v5
	v_cndmask_b32_e32 v6, v1, v6, vcc
	s_mov_b64 s[10:11], 0
	s_branch .LBB31_944
.LBB31_942:
	s_mov_b64 s[10:11], -1
                                        ; implicit-def: $vgpr6
	s_branch .LBB31_947
.LBB31_943:
	s_mov_b64 s[10:11], -1
                                        ; implicit-def: $vgpr6
.LBB31_944:
	s_andn2_b64 vcc, exec, s[10:11]
	s_cbranch_vccnz .LBB31_946
; %bb.945:
	global_load_dword v1, v[2:3], off
	s_movk_i32 s10, 0x7fff
	v_mov_b32_e32 v5, 0x7fc0
	s_waitcnt vmcnt(0)
	v_bfe_u32 v6, v1, 16, 1
	v_add3_u32 v6, v1, v6, s10
	v_lshrrev_b32_e32 v6, 16, v6
	v_cmp_o_f32_e32 vcc, v1, v1
	v_cndmask_b32_e32 v6, v5, v6, vcc
.LBB31_946:
	s_mov_b64 s[10:11], 0
.LBB31_947:
	s_andn2_b64 vcc, exec, s[10:11]
	s_cbranch_vccnz .LBB31_949
; %bb.948:
	global_load_ushort v1, v[2:3], off
	s_movk_i32 s10, 0x7fff
	s_waitcnt vmcnt(1)
	v_mov_b32_e32 v6, 0x7fc0
	s_waitcnt vmcnt(0)
	v_cvt_f32_f16_e32 v5, v1
	v_cmp_o_f16_e32 vcc, v1, v1
	v_bfe_u32 v7, v5, 16, 1
	v_add3_u32 v5, v5, v7, s10
	v_lshrrev_b32_e32 v5, 16, v5
	v_cndmask_b32_e32 v6, v6, v5, vcc
.LBB31_949:
	s_cbranch_execnz .LBB31_968
.LBB31_950:
	v_cmp_lt_i16_e64 s[10:11], s77, 2
	s_and_b64 vcc, exec, s[10:11]
	s_cbranch_vccnz .LBB31_954
; %bb.951:
	v_cmp_lt_i16_e64 s[10:11], s77, 3
	s_and_b64 vcc, exec, s[10:11]
	s_cbranch_vccnz .LBB31_955
; %bb.952:
	v_cmp_gt_i16_e64 s[10:11], s77, 3
	s_and_b64 vcc, exec, s[10:11]
	s_cbranch_vccz .LBB31_956
; %bb.953:
	global_load_dwordx2 v[6:7], v[2:3], off
	s_movk_i32 s10, 0x7fff
	s_waitcnt vmcnt(0)
	v_xor_b32_e32 v5, v6, v7
	v_ffbh_i32_e32 v1, v7
	v_ashrrev_i32_e32 v5, 31, v5
	v_add_u32_e32 v1, -1, v1
	v_add_u32_e32 v5, 32, v5
	v_min_u32_e32 v1, v1, v5
	v_lshlrev_b64 v[6:7], v1, v[6:7]
	v_min_u32_e32 v5, 1, v6
	v_or_b32_e32 v5, v7, v5
	v_cvt_f32_i32_e32 v5, v5
	v_sub_u32_e32 v1, 32, v1
	v_ldexp_f32 v1, v5, v1
	v_bfe_u32 v5, v1, 16, 1
	v_add3_u32 v1, v1, v5, s10
	v_lshrrev_b32_e32 v6, 16, v1
	s_mov_b64 s[10:11], 0
	s_branch .LBB31_957
.LBB31_954:
                                        ; implicit-def: $vgpr6
	s_branch .LBB31_963
.LBB31_955:
	s_mov_b64 s[10:11], -1
                                        ; implicit-def: $vgpr6
	s_branch .LBB31_960
.LBB31_956:
	s_mov_b64 s[10:11], -1
                                        ; implicit-def: $vgpr6
.LBB31_957:
	s_andn2_b64 vcc, exec, s[10:11]
	s_cbranch_vccnz .LBB31_959
; %bb.958:
	global_load_dword v1, v[2:3], off
	s_movk_i32 s10, 0x7fff
	s_waitcnt vmcnt(0)
	v_cvt_f32_i32_e32 v1, v1
	v_bfe_u32 v5, v1, 16, 1
	v_add3_u32 v1, v1, v5, s10
	v_lshrrev_b32_e32 v6, 16, v1
.LBB31_959:
	s_mov_b64 s[10:11], 0
.LBB31_960:
	s_andn2_b64 vcc, exec, s[10:11]
	s_cbranch_vccnz .LBB31_962
; %bb.961:
	global_load_sshort v1, v[2:3], off
	s_movk_i32 s10, 0x7fff
	s_waitcnt vmcnt(0)
	v_cvt_f32_i32_e32 v1, v1
	v_bfe_u32 v5, v1, 16, 1
	v_add3_u32 v1, v1, v5, s10
	v_lshrrev_b32_e32 v6, 16, v1
.LBB31_962:
	s_cbranch_execnz .LBB31_968
.LBB31_963:
	v_cmp_gt_i16_e64 s[10:11], s77, 0
	s_and_b64 vcc, exec, s[10:11]
	s_cbranch_vccz .LBB31_965
; %bb.964:
	global_load_sbyte v1, v[2:3], off
	s_movk_i32 s10, 0x7fff
	s_waitcnt vmcnt(0)
	v_cvt_f32_i32_e32 v1, v1
	v_bfe_u32 v5, v1, 16, 1
	v_add3_u32 v1, v1, v5, s10
	v_lshrrev_b32_e32 v6, 16, v1
	s_mov_b64 s[10:11], 0
	s_branch .LBB31_966
.LBB31_965:
	s_mov_b64 s[10:11], -1
                                        ; implicit-def: $vgpr6
.LBB31_966:
	s_andn2_b64 vcc, exec, s[10:11]
	s_cbranch_vccnz .LBB31_968
; %bb.967:
	global_load_ubyte v1, v[2:3], off
	s_movk_i32 s10, 0x7fff
	s_waitcnt vmcnt(0)
	v_cvt_f32_ubyte0_e32 v1, v1
	v_bfe_u32 v2, v1, 16, 1
	v_add3_u32 v1, v1, v2, s10
	v_lshrrev_b32_e32 v6, 16, v1
.LBB31_968:
	s_or_b64 s[0:1], s[0:1], exec
.LBB31_969:
	s_or_b64 exec, exec, s[8:9]
	s_mov_b64 s[12:13], 0
	s_mov_b64 s[10:11], 0
                                        ; implicit-def: $vgpr5
                                        ; implicit-def: $vgpr2_vgpr3
                                        ; implicit-def: $vgpr1
	s_and_saveexec_b64 s[8:9], s[0:1]
	s_cbranch_execz .LBB31_987
; %bb.970:
	s_waitcnt vmcnt(0)
	v_lshlrev_b32_e32 v1, 16, v6
	v_cmp_nle_f32_e32 vcc, v4, v1
	v_cmp_nge_f32_e64 s[0:1], s76, v1
	s_or_b64 vcc, s[0:1], vcc
	v_cndmask_b32_e32 v1, 0, v6, vcc
	v_mov_b32_e32 v3, s25
	v_add_co_u32_e32 v2, vcc, s24, v0
	v_mov_b32_e32 v0, 0xff
	v_addc_co_u32_e32 v3, vcc, 0, v3, vcc
	v_and_b32_e32 v5, s75, v0
	v_cmp_gt_i16_e32 vcc, 11, v5
	s_cbranch_vccnz .LBB31_990
; %bb.971:
	v_cmp_lt_i16_e32 vcc, 25, v5
	s_mov_b64 s[12:13], -1
	s_mov_b64 s[0:1], s[52:53]
	s_cbranch_vccz .LBB31_1008
; %bb.972:
	v_cmp_lt_i16_e32 vcc, 28, v5
	s_mov_b64 s[10:11], -1
	s_mov_b64 s[0:1], s[52:53]
	s_cbranch_vccz .LBB31_992
; %bb.973:
	v_cmp_lt_i16_e32 vcc, 43, v5
	s_mov_b64 s[0:1], s[52:53]
	s_cbranch_vccz .LBB31_984
; %bb.974:
	v_cmp_lt_i16_e32 vcc, 45, v5
	s_mov_b64 s[0:1], s[52:53]
	s_cbranch_vccz .LBB31_978
; %bb.975:
	v_cmp_eq_u16_e32 vcc, 46, v5
	s_mov_b64 s[0:1], -1
	s_cbranch_vccz .LBB31_977
; %bb.976:
	v_and_b32_e32 v0, 0xffff, v1
	global_store_dword v[2:3], v0, off
	s_mov_b64 s[0:1], 0
.LBB31_977:
	s_mov_b64 s[10:11], 0
.LBB31_978:
	s_and_b64 vcc, exec, s[10:11]
	s_cbranch_vccz .LBB31_983
; %bb.979:
	v_cmp_eq_u16_e32 vcc, 44, v5
	s_mov_b64 s[0:1], -1
	s_cbranch_vccz .LBB31_983
; %bb.980:
	v_and_b32_e32 v4, 0xffff, v1
	v_bfe_u32 v0, v4, 7, 8
	s_movk_i32 s0, 0xff
	v_cmp_ne_u32_e32 vcc, s0, v0
	v_mov_b32_e32 v6, 0xff
	s_and_saveexec_b64 s[10:11], vcc
; %bb.981:
	v_lshlrev_b32_e32 v7, 16, v4
	s_mov_b32 s0, 0x3f0000
	v_lshrrev_b32_e32 v6, 7, v4
	v_and_b32_e32 v4, 64, v4
	v_and_or_b32 v0, v7, s0, v0
	v_cmp_ne_u32_e32 vcc, 0, v4
	v_cmp_ne_u32_e64 s[0:1], 0, v0
	s_and_b64 s[0:1], vcc, s[0:1]
	v_cndmask_b32_e64 v0, 0, 1, s[0:1]
	v_add_u32_e32 v6, v6, v0
; %bb.982:
	s_or_b64 exec, exec, s[10:11]
	s_mov_b64 s[0:1], 0
	global_store_byte v[2:3], v6, off
.LBB31_983:
	s_mov_b64 s[10:11], 0
.LBB31_984:
	s_and_b64 vcc, exec, s[10:11]
	s_cbranch_vccz .LBB31_991
; %bb.985:
	v_cmp_eq_u16_e32 vcc, 29, v5
	s_mov_b64 s[0:1], -1
	s_cbranch_vccz .LBB31_991
; %bb.986:
	v_lshlrev_b32_e32 v0, 16, v1
	v_trunc_f32_e32 v0, v0
	v_mul_f32_e32 v4, 0x2f800000, v0
	v_floor_f32_e32 v4, v4
	v_fmac_f32_e32 v0, 0xcf800000, v4
	v_cvt_u32_f32_e32 v7, v4
	v_cvt_u32_f32_e32 v6, v0
	s_mov_b64 s[0:1], 0
	s_mov_b64 s[10:11], 0
	global_store_dwordx2 v[2:3], v[6:7], off
	s_branch .LBB31_992
.LBB31_987:
	s_or_b64 exec, exec, s[8:9]
	s_and_saveexec_b64 s[0:1], s[52:53]
	s_cbranch_execnz .LBB31_1050
.LBB31_988:
	s_or_b64 exec, exec, s[0:1]
	s_and_saveexec_b64 s[0:1], s[12:13]
	s_xor_b64 s[0:1], exec, s[0:1]
	s_cbranch_execz .LBB31_1051
.LBB31_989:
	s_waitcnt vmcnt(0)
	v_and_b32_e32 v0, 0x7fff, v1
	v_cmp_ne_u16_e32 vcc, 0, v0
	v_cndmask_b32_e64 v0, 0, 1, vcc
	global_store_byte v[2:3], v0, off
	s_or_b64 exec, exec, s[0:1]
	s_and_saveexec_b64 s[0:1], s[10:11]
	s_xor_b64 s[0:1], exec, s[0:1]
	s_cbranch_execz .LBB31_1089
	s_branch .LBB31_1052
.LBB31_990:
	s_mov_b64 s[10:11], -1
	s_mov_b64 s[0:1], s[52:53]
	s_branch .LBB31_1049
.LBB31_991:
	s_mov_b64 s[10:11], 0
.LBB31_992:
	s_and_b64 vcc, exec, s[10:11]
	s_cbranch_vccz .LBB31_1007
; %bb.993:
	v_cmp_gt_i16_e32 vcc, 27, v5
	s_mov_b64 s[10:11], -1
	s_cbranch_vccnz .LBB31_999
; %bb.994:
	v_cmp_lt_i16_e32 vcc, 27, v5
	s_cbranch_vccz .LBB31_996
; %bb.995:
	v_lshlrev_b32_e32 v0, 16, v1
	v_cvt_u32_f32_e32 v0, v0
	s_mov_b64 s[10:11], 0
	global_store_dword v[2:3], v0, off
.LBB31_996:
	s_andn2_b64 vcc, exec, s[10:11]
	s_cbranch_vccnz .LBB31_998
; %bb.997:
	v_lshlrev_b32_e32 v0, 16, v1
	v_cvt_u32_f32_e32 v0, v0
	global_store_short v[2:3], v0, off
.LBB31_998:
	s_mov_b64 s[10:11], 0
.LBB31_999:
	s_andn2_b64 vcc, exec, s[10:11]
	s_cbranch_vccnz .LBB31_1007
; %bb.1000:
	v_lshlrev_b32_e32 v6, 16, v1
	v_and_b32_e32 v4, 0x7fffffff, v6
	s_mov_b32 s10, 0x43800000
	v_cmp_gt_u32_e32 vcc, s10, v4
	v_mov_b32_e32 v7, 0x80
	s_and_saveexec_b64 s[10:11], vcc
	s_cbranch_execz .LBB31_1006
; %bb.1001:
	s_mov_b32 s12, 0x3bffffff
	v_and_b32_e32 v0, 0xffff, v1
	v_cmp_lt_u32_e32 vcc, s12, v4
	s_mov_b64 s[12:13], 0
                                        ; implicit-def: $vgpr4
	s_and_saveexec_b64 s[14:15], vcc
	s_xor_b64 s[14:15], exec, s[14:15]
	s_cbranch_execz .LBB31_1160
; %bb.1002:
	v_bfe_u32 v4, v0, 4, 1
	s_mov_b32 s16, 0x487ffff
	v_add3_u32 v4, v6, v4, s16
	s_mov_b64 s[12:13], exec
	v_lshrrev_b32_e32 v4, 20, v4
                                        ; implicit-def: $vgpr6
	s_or_saveexec_b64 s[14:15], s[14:15]
                                        ; implicit-def: $sgpr16
	s_xor_b64 exec, exec, s[14:15]
	s_cbranch_execnz .LBB31_1161
.LBB31_1003:
	s_or_b64 exec, exec, s[14:15]
	v_mov_b32_e32 v7, s16
	s_and_saveexec_b64 s[14:15], s[12:13]
.LBB31_1004:
	v_lshrrev_b32_e32 v0, 8, v0
	s_movk_i32 s12, 0x80
	v_and_or_b32 v7, v0, s12, v4
.LBB31_1005:
	s_or_b64 exec, exec, s[14:15]
.LBB31_1006:
	s_or_b64 exec, exec, s[10:11]
	global_store_byte v[2:3], v7, off
.LBB31_1007:
	s_mov_b64 s[12:13], 0
.LBB31_1008:
	s_mov_b64 s[10:11], 0
	s_and_b64 vcc, exec, s[12:13]
	s_cbranch_vccz .LBB31_1048
; %bb.1009:
	v_cmp_lt_i16_e32 vcc, 22, v5
	s_mov_b64 s[12:13], -1
	s_cbranch_vccz .LBB31_1041
; %bb.1010:
	v_cmp_gt_i16_e32 vcc, 24, v5
	s_cbranch_vccnz .LBB31_1030
; %bb.1011:
	v_cmp_lt_i16_e32 vcc, 24, v5
	s_cbranch_vccz .LBB31_1019
; %bb.1012:
	v_lshlrev_b32_e32 v6, 16, v1
	v_and_b32_e32 v4, 0x7fffffff, v6
	s_mov_b32 s12, 0x47800000
	v_cmp_gt_u32_e32 vcc, s12, v4
	v_mov_b32_e32 v7, 0x80
	s_and_saveexec_b64 s[12:13], vcc
	s_cbranch_execz .LBB31_1018
; %bb.1013:
	s_mov_b32 s14, 0x37ffffff
	v_and_b32_e32 v0, 0xffff, v1
	v_cmp_lt_u32_e32 vcc, s14, v4
	s_mov_b64 s[14:15], 0
                                        ; implicit-def: $vgpr4
	s_and_saveexec_b64 s[16:17], vcc
	s_xor_b64 s[16:17], exec, s[16:17]
	s_cbranch_execz .LBB31_1285
; %bb.1014:
	v_bfe_u32 v4, v0, 5, 1
	s_mov_b32 s18, 0x88fffff
	v_add3_u32 v4, v6, v4, s18
	s_mov_b64 s[14:15], exec
	v_lshrrev_b32_e32 v4, 21, v4
                                        ; implicit-def: $vgpr6
	s_or_saveexec_b64 s[16:17], s[16:17]
                                        ; implicit-def: $sgpr18
	s_xor_b64 exec, exec, s[16:17]
	s_cbranch_execnz .LBB31_1286
.LBB31_1015:
	s_or_b64 exec, exec, s[16:17]
	v_mov_b32_e32 v7, s18
	s_and_saveexec_b64 s[16:17], s[14:15]
.LBB31_1016:
	v_lshrrev_b32_e32 v0, 8, v0
	s_movk_i32 s14, 0x80
	v_and_or_b32 v7, v0, s14, v4
.LBB31_1017:
	s_or_b64 exec, exec, s[16:17]
.LBB31_1018:
	s_or_b64 exec, exec, s[12:13]
	s_mov_b64 s[12:13], 0
	global_store_byte v[2:3], v7, off
.LBB31_1019:
	s_and_b64 vcc, exec, s[12:13]
	s_cbranch_vccz .LBB31_1029
; %bb.1020:
	v_lshlrev_b32_e32 v6, 16, v1
	v_and_b32_e32 v7, 0x7fffffff, v6
	s_mov_b32 s12, 0x43f00000
	v_and_b32_e32 v0, 0xffff, v1
	v_cmp_gt_u32_e32 vcc, s12, v7
                                        ; implicit-def: $vgpr4
	s_and_saveexec_b64 s[12:13], vcc
	s_xor_b64 s[12:13], exec, s[12:13]
	s_cbranch_execz .LBB31_1026
; %bb.1021:
	s_mov_b32 s14, 0x3c7fffff
	v_cmp_lt_u32_e32 vcc, s14, v7
                                        ; implicit-def: $vgpr4
	s_and_saveexec_b64 s[14:15], vcc
	s_xor_b64 s[14:15], exec, s[14:15]
; %bb.1022:
	v_bfe_u32 v4, v0, 4, 1
	s_mov_b32 s16, 0x407ffff
	v_add3_u32 v4, v6, v4, s16
	v_lshrrev_b32_e32 v6, 20, v4
	v_and_b32_e32 v4, 0xff00000, v4
	s_mov_b32 s16, 0x7f00000
	v_mov_b32_e32 v7, 0x7e
	v_cmp_ne_u32_e32 vcc, s16, v4
	v_cndmask_b32_e32 v4, v7, v6, vcc
                                        ; implicit-def: $vgpr6
; %bb.1023:
	s_andn2_saveexec_b64 s[14:15], s[14:15]
; %bb.1024:
	s_mov_b32 s16, 0x46800000
	v_add_f32_e64 v4, |v6|, s16
; %bb.1025:
	s_or_b64 exec, exec, s[14:15]
                                        ; implicit-def: $vgpr7
.LBB31_1026:
	s_andn2_saveexec_b64 s[12:13], s[12:13]
; %bb.1027:
	s_mov_b32 s14, 0x7f800000
	v_mov_b32_e32 v4, 0x7e
	v_mov_b32_e32 v6, 0x7f
	v_cmp_lt_u32_e32 vcc, s14, v7
	v_cndmask_b32_e32 v4, v4, v6, vcc
; %bb.1028:
	s_or_b64 exec, exec, s[12:13]
	v_lshrrev_b32_e32 v0, 8, v0
	s_movk_i32 s12, 0x80
	v_and_or_b32 v0, v0, s12, v4
	global_store_byte v[2:3], v0, off
.LBB31_1029:
	s_mov_b64 s[12:13], 0
.LBB31_1030:
	s_andn2_b64 vcc, exec, s[12:13]
	s_cbranch_vccnz .LBB31_1040
; %bb.1031:
	v_lshlrev_b32_e32 v6, 16, v1
	v_and_b32_e32 v7, 0x7fffffff, v6
	s_mov_b32 s12, 0x47800000
	v_and_b32_e32 v0, 0xffff, v1
	v_cmp_gt_u32_e32 vcc, s12, v7
                                        ; implicit-def: $vgpr4
	s_and_saveexec_b64 s[12:13], vcc
	s_xor_b64 s[12:13], exec, s[12:13]
	s_cbranch_execz .LBB31_1037
; %bb.1032:
	s_mov_b32 s14, 0x387fffff
	v_cmp_lt_u32_e32 vcc, s14, v7
                                        ; implicit-def: $vgpr4
	s_and_saveexec_b64 s[14:15], vcc
	s_xor_b64 s[14:15], exec, s[14:15]
; %bb.1033:
	v_bfe_u32 v4, v0, 5, 1
	s_mov_b32 s16, 0x80fffff
	v_add3_u32 v4, v6, v4, s16
	v_lshrrev_b32_e32 v4, 21, v4
                                        ; implicit-def: $vgpr6
; %bb.1034:
	s_andn2_saveexec_b64 s[14:15], s[14:15]
; %bb.1035:
	s_mov_b32 s16, 0x43000000
	v_add_f32_e64 v4, |v6|, s16
; %bb.1036:
	s_or_b64 exec, exec, s[14:15]
                                        ; implicit-def: $vgpr7
.LBB31_1037:
	s_andn2_saveexec_b64 s[12:13], s[12:13]
; %bb.1038:
	s_mov_b32 s14, 0x7f800000
	v_mov_b32_e32 v4, 0x7c
	v_mov_b32_e32 v6, 0x7f
	v_cmp_lt_u32_e32 vcc, s14, v7
	v_cndmask_b32_e32 v4, v4, v6, vcc
; %bb.1039:
	s_or_b64 exec, exec, s[12:13]
	v_lshrrev_b32_e32 v0, 8, v0
	s_movk_i32 s12, 0x80
	v_and_or_b32 v0, v0, s12, v4
	global_store_byte v[2:3], v0, off
.LBB31_1040:
	s_mov_b64 s[12:13], 0
.LBB31_1041:
	s_andn2_b64 vcc, exec, s[12:13]
	s_mov_b64 s[12:13], 0
	s_cbranch_vccnz .LBB31_1049
; %bb.1042:
	v_cmp_lt_i16_e32 vcc, 14, v5
	s_mov_b64 s[14:15], -1
	s_cbranch_vccz .LBB31_1046
; %bb.1043:
	v_cmp_eq_u16_e32 vcc, 15, v5
	s_mov_b64 s[0:1], -1
	s_cbranch_vccz .LBB31_1045
; %bb.1044:
	global_store_short v[2:3], v1, off
	s_mov_b64 s[0:1], 0
.LBB31_1045:
	s_mov_b64 s[14:15], 0
.LBB31_1046:
	s_and_b64 vcc, exec, s[14:15]
	s_cbranch_vccz .LBB31_1049
; %bb.1047:
	v_cmp_ne_u16_e32 vcc, 11, v5
	s_andn2_b64 s[0:1], s[0:1], exec
	s_and_b64 s[14:15], vcc, exec
	s_mov_b64 s[12:13], -1
	s_or_b64 s[0:1], s[0:1], s[14:15]
	s_branch .LBB31_1049
.LBB31_1048:
	s_mov_b64 s[12:13], 0
.LBB31_1049:
	s_andn2_b64 s[14:15], s[52:53], exec
	s_and_b64 s[0:1], s[0:1], exec
	s_and_b64 s[10:11], s[10:11], exec
	;; [unrolled: 1-line block ×3, first 2 shown]
	s_or_b64 s[52:53], s[14:15], s[0:1]
	s_or_b64 exec, exec, s[8:9]
	s_and_saveexec_b64 s[0:1], s[52:53]
	s_cbranch_execz .LBB31_988
.LBB31_1050:
	s_or_b64 s[2:3], s[2:3], exec
	s_andn2_b64 s[12:13], s[12:13], exec
	s_trap 2
	s_or_b64 exec, exec, s[0:1]
	s_and_saveexec_b64 s[0:1], s[12:13]
	s_xor_b64 s[0:1], exec, s[0:1]
	s_cbranch_execnz .LBB31_989
.LBB31_1051:
	s_or_b64 exec, exec, s[0:1]
	s_and_saveexec_b64 s[0:1], s[10:11]
	s_xor_b64 s[0:1], exec, s[0:1]
	s_cbranch_execz .LBB31_1089
.LBB31_1052:
	v_cmp_gt_i16_e32 vcc, 5, v5
	s_mov_b64 s[8:9], -1
	s_cbranch_vccnz .LBB31_1073
; %bb.1053:
	v_cmp_gt_i16_e32 vcc, 8, v5
	s_cbranch_vccnz .LBB31_1063
; %bb.1054:
	v_cmp_gt_i16_e32 vcc, 9, v5
	s_cbranch_vccnz .LBB31_1060
; %bb.1055:
	v_cmp_lt_i16_e32 vcc, 9, v5
	s_cbranch_vccz .LBB31_1057
; %bb.1056:
	s_waitcnt vmcnt(0)
	v_lshlrev_b32_e32 v0, 16, v1
	v_mov_b32_e32 v8, 0
	v_cvt_f64_f32_e32 v[6:7], v0
	v_mov_b32_e32 v9, v8
	s_mov_b64 s[8:9], 0
	global_store_dwordx4 v[2:3], v[6:9], off
.LBB31_1057:
	s_andn2_b64 vcc, exec, s[8:9]
	s_cbranch_vccnz .LBB31_1059
; %bb.1058:
	s_waitcnt vmcnt(0)
	v_lshlrev_b32_e32 v6, 16, v1
	v_mov_b32_e32 v7, 0
	global_store_dwordx2 v[2:3], v[6:7], off
.LBB31_1059:
	s_mov_b64 s[8:9], 0
.LBB31_1060:
	s_andn2_b64 vcc, exec, s[8:9]
	s_cbranch_vccnz .LBB31_1062
; %bb.1061:
	s_waitcnt vmcnt(0)
	v_lshlrev_b32_e32 v0, 16, v1
	v_cvt_f16_f32_e32 v0, v0
	global_store_dword v[2:3], v0, off
.LBB31_1062:
	s_mov_b64 s[8:9], 0
.LBB31_1063:
	s_andn2_b64 vcc, exec, s[8:9]
	s_cbranch_vccnz .LBB31_1072
; %bb.1064:
	v_cmp_gt_i16_e32 vcc, 6, v5
	s_mov_b64 s[8:9], -1
	s_cbranch_vccnz .LBB31_1070
; %bb.1065:
	v_cmp_lt_i16_e32 vcc, 6, v5
	s_cbranch_vccz .LBB31_1067
; %bb.1066:
	s_waitcnt vmcnt(0)
	v_lshlrev_b32_e32 v0, 16, v1
	v_cvt_f64_f32_e32 v[6:7], v0
	s_mov_b64 s[8:9], 0
	global_store_dwordx2 v[2:3], v[6:7], off
.LBB31_1067:
	s_andn2_b64 vcc, exec, s[8:9]
	s_cbranch_vccnz .LBB31_1069
; %bb.1068:
	s_waitcnt vmcnt(0)
	v_lshlrev_b32_e32 v0, 16, v1
	global_store_dword v[2:3], v0, off
.LBB31_1069:
	s_mov_b64 s[8:9], 0
.LBB31_1070:
	s_andn2_b64 vcc, exec, s[8:9]
	s_cbranch_vccnz .LBB31_1072
; %bb.1071:
	s_waitcnt vmcnt(0)
	v_lshlrev_b32_e32 v0, 16, v1
	v_cvt_f16_f32_e32 v0, v0
	global_store_short v[2:3], v0, off
.LBB31_1072:
	s_mov_b64 s[8:9], 0
.LBB31_1073:
	s_andn2_b64 vcc, exec, s[8:9]
	s_cbranch_vccnz .LBB31_1089
; %bb.1074:
	v_cmp_gt_i16_e32 vcc, 2, v5
	s_mov_b64 s[8:9], -1
	s_cbranch_vccnz .LBB31_1084
; %bb.1075:
	v_cmp_gt_i16_e32 vcc, 3, v5
	s_cbranch_vccnz .LBB31_1081
; %bb.1076:
	v_cmp_lt_i16_e32 vcc, 3, v5
	s_cbranch_vccz .LBB31_1078
; %bb.1077:
	s_waitcnt vmcnt(0)
	v_lshlrev_b32_e32 v0, 16, v1
	v_trunc_f32_e32 v0, v0
	s_mov_b32 s8, 0x2f800000
	v_mul_f32_e64 v4, |v0|, s8
	v_floor_f32_e32 v4, v4
	s_mov_b32 s8, 0xcf800000
	v_cvt_u32_f32_e32 v6, v4
	v_fma_f32 v4, v4, s8, |v0|
	v_cvt_u32_f32_e32 v4, v4
	v_ashrrev_i32_e32 v0, 31, v0
	v_xor_b32_e32 v7, v6, v0
	s_mov_b64 s[8:9], 0
	v_xor_b32_e32 v4, v4, v0
	v_sub_co_u32_e32 v6, vcc, v4, v0
	v_subb_co_u32_e32 v7, vcc, v7, v0, vcc
	global_store_dwordx2 v[2:3], v[6:7], off
.LBB31_1078:
	s_andn2_b64 vcc, exec, s[8:9]
	s_cbranch_vccnz .LBB31_1080
; %bb.1079:
	s_waitcnt vmcnt(0)
	v_lshlrev_b32_e32 v0, 16, v1
	v_cvt_i32_f32_e32 v0, v0
	global_store_dword v[2:3], v0, off
.LBB31_1080:
	s_mov_b64 s[8:9], 0
.LBB31_1081:
	s_andn2_b64 vcc, exec, s[8:9]
	s_cbranch_vccnz .LBB31_1083
; %bb.1082:
	s_waitcnt vmcnt(0)
	v_lshlrev_b32_e32 v0, 16, v1
	v_cvt_i32_f32_e32 v0, v0
	global_store_short v[2:3], v0, off
.LBB31_1083:
	s_mov_b64 s[8:9], 0
.LBB31_1084:
	s_andn2_b64 vcc, exec, s[8:9]
	s_cbranch_vccnz .LBB31_1089
; %bb.1085:
	v_cmp_lt_i16_e32 vcc, 0, v5
	s_mov_b64 s[8:9], -1
	s_cbranch_vccz .LBB31_1087
; %bb.1086:
	s_waitcnt vmcnt(0)
	v_lshlrev_b32_e32 v0, 16, v1
	v_cvt_i32_f32_e32 v0, v0
	s_mov_b64 s[8:9], 0
	global_store_byte v[2:3], v0, off
.LBB31_1087:
	s_andn2_b64 vcc, exec, s[8:9]
	s_cbranch_vccnz .LBB31_1089
; %bb.1088:
	s_waitcnt vmcnt(0)
	v_lshlrev_b32_e32 v0, 16, v1
	v_trunc_f32_e32 v0, v0
	s_mov_b32 s8, 0x2f800000
	v_mul_f32_e64 v1, |v0|, s8
	v_floor_f32_e32 v1, v1
	s_mov_b32 s8, 0xcf800000
	v_fma_f32 v1, v1, s8, |v0|
	v_cvt_u32_f32_e32 v1, v1
	v_ashrrev_i32_e32 v0, 31, v0
	v_xor_b32_e32 v1, v1, v0
	v_sub_u32_e32 v0, v1, v0
	global_store_byte v[2:3], v0, off
.LBB31_1089:
	s_or_b64 exec, exec, s[0:1]
	s_and_b64 s[28:29], s[2:3], exec
                                        ; implicit-def: $vgpr9
                                        ; implicit-def: $vgpr8
.LBB31_1090:
	s_or_saveexec_b64 s[30:31], s[42:43]
	s_mov_b64 s[0:1], 0
                                        ; implicit-def: $vgpr0_vgpr1
                                        ; implicit-def: $vgpr3
                                        ; implicit-def: $vgpr2
	s_xor_b64 exec, exec, s[30:31]
	s_cbranch_execz .LBB31_2114
; %bb.1091:
	v_cndmask_b32_e64 v0, 0, 1, s[40:41]
	v_cmp_ne_u32_e64 s[0:1], 1, v0
	s_andn2_b64 vcc, exec, s[40:41]
	s_cbranch_vccnz .LBB31_1098
; %bb.1092:
	s_mov_b32 s2, 0
	s_cmp_lg_u32 s33, 0
	v_mov_b32_e32 v14, 0
	s_waitcnt vmcnt(0)
	v_mov_b32_e32 v6, 0
	s_cbranch_scc0 .LBB31_1097
; %bb.1093:
	s_min_u32 s38, s74, 15
	s_add_i32 s38, s38, 1
	s_cmp_eq_u32 s74, 2
	s_cbranch_scc1 .LBB31_1099
; %bb.1094:
	s_add_u32 s6, s34, 0xc4
	s_addc_u32 s7, s35, 0
	s_and_b32 s2, s38, 28
	s_mov_b32 s3, 0
	v_mov_b32_e32 v6, 0
	s_mov_b64 s[36:37], s[34:35]
	v_mov_b32_e32 v0, v8
	v_mov_b32_e32 v14, 0
.LBB31_1095:                            ; =>This Inner Loop Header: Depth=1
	s_load_dwordx8 s[16:23], s[36:37], 0x4
	s_load_dwordx4 s[24:27], s[36:37], 0x24
	s_load_dwordx8 s[8:15], s[6:7], 0x0
	s_add_u32 s36, s36, 48
	s_addc_u32 s37, s37, 0
	s_waitcnt lgkmcnt(0)
	v_mul_hi_u32 v1, s17, v0
	v_add_u32_e32 v1, v0, v1
	v_lshrrev_b32_e32 v1, s18, v1
	v_mul_lo_u32 v2, v1, s16
	v_mul_hi_u32 v3, s20, v1
	v_sub_u32_e32 v0, v0, v2
	v_add_u32_e32 v2, v1, v3
	v_lshrrev_b32_e32 v2, s21, v2
	v_mul_lo_u32 v4, v2, s19
	v_mul_hi_u32 v5, s23, v2
	v_sub_u32_e32 v1, v1, v4
	v_add_u32_e32 v4, v2, v5
	v_mul_lo_u32 v3, v0, s9
	v_mul_lo_u32 v0, v0, s8
	;; [unrolled: 1-line block ×4, first 2 shown]
	v_lshrrev_b32_e32 v4, s24, v4
	v_add3_u32 v1, v0, v6, v1
	v_add3_u32 v3, v3, v14, v5
	v_mul_lo_u32 v0, v4, s22
	v_mul_hi_u32 v5, s26, v4
	v_sub_u32_e32 v0, v2, v0
	v_add_u32_e32 v2, v4, v5
	v_mul_lo_u32 v5, v0, s12
	v_mul_lo_u32 v6, v0, s13
	v_lshrrev_b32_e32 v0, s27, v2
	s_add_i32 s3, s3, 4
	v_mul_lo_u32 v2, v0, s25
	s_add_u32 s6, s6, 32
	v_sub_u32_e32 v2, v4, v2
	s_addc_u32 s7, s7, 0
	v_mul_lo_u32 v4, v2, s14
	v_mul_lo_u32 v2, v2, s15
	s_cmp_lg_u32 s2, s3
	v_add3_u32 v14, v6, v3, v2
	v_add3_u32 v6, v5, v1, v4
	s_cbranch_scc1 .LBB31_1095
; %bb.1096:
	v_mov_b32_e32 v7, v14
	s_and_b32 s8, s38, 3
	s_cmp_eq_u32 s8, 0
	s_cbranch_scc0 .LBB31_1100
.LBB31_1097:
	s_cbranch_execz .LBB31_1103
	s_branch .LBB31_1105
.LBB31_1098:
                                        ; implicit-def: $vgpr14
                                        ; implicit-def: $vgpr6
	s_branch .LBB31_1103
.LBB31_1099:
	s_mov_b32 s3, s2
	v_pk_mov_b32 v[6:7], s[2:3], s[2:3] op_sel:[0,1]
                                        ; implicit-def: $vgpr14
	v_mov_b32_e32 v0, v8
	s_and_b32 s8, s38, 3
	s_cmp_eq_u32 s8, 0
	s_cbranch_scc1 .LBB31_1097
.LBB31_1100:
	s_lshl_b32 s3, s2, 3
	s_add_u32 s3, s3, s34
	s_addc_u32 s7, 0, s35
	s_add_u32 s6, s3, 0xc4
	s_addc_u32 s7, s7, 0
	s_mul_i32 s2, s2, 12
	s_add_u32 s2, s34, s2
	s_addc_u32 s3, 0, s35
.LBB31_1101:                            ; =>This Inner Loop Header: Depth=1
	s_load_dwordx2 s[10:11], s[2:3], 0x4
	s_load_dword s9, s[2:3], 0xc
	s_load_dwordx2 s[12:13], s[6:7], 0x0
	s_add_u32 s2, s2, 12
	s_addc_u32 s3, s3, 0
	s_waitcnt lgkmcnt(0)
	v_mul_hi_u32 v1, s11, v0
	v_add_u32_e32 v1, v0, v1
	v_lshrrev_b32_e32 v1, s9, v1
	v_mul_lo_u32 v3, v1, s10
	v_mov_b32_e32 v2, v7
	s_add_u32 s6, s6, 8
	v_sub_u32_e32 v4, v0, v3
	s_addc_u32 s7, s7, 0
	s_add_i32 s8, s8, -1
	v_mad_u64_u32 v[2:3], s[10:11], v4, s13, v[2:3]
	v_mad_u64_u32 v[6:7], s[10:11], v4, s12, v[6:7]
	s_cmp_lg_u32 s8, 0
	v_mov_b32_e32 v0, v1
	v_mov_b32_e32 v7, v2
	s_cbranch_scc1 .LBB31_1101
; %bb.1102:
	v_mov_b32_e32 v14, v7
	s_cbranch_execnz .LBB31_1105
.LBB31_1103:
	s_load_dwordx4 s[8:11], s[34:35], 0x4
	s_load_dwordx2 s[2:3], s[34:35], 0xc4
	s_cmp_lt_u32 s33, 2
	s_waitcnt lgkmcnt(0)
	v_mul_hi_u32 v0, s9, v8
	v_add_u32_e32 v0, v8, v0
	v_lshrrev_b32_e32 v0, s10, v0
	s_waitcnt vmcnt(0)
	v_mul_lo_u32 v1, v0, s8
	v_sub_u32_e32 v1, v8, v1
	v_mul_lo_u32 v14, v1, s3
	v_mul_lo_u32 v6, v1, s2
	s_cbranch_scc1 .LBB31_1105
; %bb.1104:
	s_load_dwordx4 s[8:11], s[34:35], 0x10
	s_load_dwordx2 s[2:3], s[34:35], 0xcc
	s_waitcnt lgkmcnt(0)
	v_mul_hi_u32 v1, s9, v0
	v_add_u32_e32 v1, v0, v1
	v_lshrrev_b32_e32 v1, s10, v1
	v_mul_lo_u32 v1, v1, s8
	v_sub_u32_e32 v0, v0, v1
	v_mad_u64_u32 v[6:7], s[6:7], v0, s2, v[6:7]
	v_mad_u64_u32 v[14:15], s[2:3], v0, s3, v[14:15]
.LBB31_1105:
	s_and_b64 vcc, exec, s[0:1]
	v_add_u32_e32 v0, 0x80, v8
	s_cbranch_vccnz .LBB31_1112
; %bb.1106:
	s_mov_b32 s2, 0
	s_cmp_lg_u32 s33, 0
	v_mov_b32_e32 v12, 0
	v_mov_b32_e32 v4, 0
	s_cbranch_scc0 .LBB31_1111
; %bb.1107:
	s_min_u32 s38, s74, 15
	s_add_i32 s38, s38, 1
	s_cmp_eq_u32 s74, 2
	s_cbranch_scc1 .LBB31_1113
; %bb.1108:
	s_add_u32 s6, s34, 0xc4
	s_addc_u32 s7, s35, 0
	s_and_b32 s2, s38, 28
	s_mov_b32 s3, 0
	v_mov_b32_e32 v4, 0
	s_mov_b64 s[36:37], s[34:35]
	s_waitcnt vmcnt(0)
	v_mov_b32_e32 v1, v0
	v_mov_b32_e32 v12, 0
.LBB31_1109:                            ; =>This Inner Loop Header: Depth=1
	s_load_dwordx8 s[16:23], s[36:37], 0x4
	s_load_dwordx4 s[24:27], s[36:37], 0x24
	s_load_dwordx8 s[8:15], s[6:7], 0x0
	s_add_u32 s36, s36, 48
	s_addc_u32 s37, s37, 0
	s_waitcnt lgkmcnt(0)
	v_mul_hi_u32 v2, s17, v1
	v_add_u32_e32 v2, v1, v2
	v_lshrrev_b32_e32 v2, s18, v2
	v_mul_lo_u32 v3, v2, s16
	v_mul_hi_u32 v5, s20, v2
	v_sub_u32_e32 v1, v1, v3
	v_add_u32_e32 v3, v2, v5
	v_lshrrev_b32_e32 v3, s21, v3
	v_mul_lo_u32 v7, v3, s19
	v_mul_hi_u32 v10, s23, v3
	v_sub_u32_e32 v2, v2, v7
	v_add_u32_e32 v7, v3, v10
	v_mul_lo_u32 v5, v1, s9
	v_mul_lo_u32 v1, v1, s8
	;; [unrolled: 1-line block ×4, first 2 shown]
	v_lshrrev_b32_e32 v7, s24, v7
	v_add3_u32 v2, v1, v4, v2
	v_add3_u32 v4, v5, v12, v10
	v_mul_lo_u32 v1, v7, s22
	v_mul_hi_u32 v5, s26, v7
	v_sub_u32_e32 v1, v3, v1
	v_add_u32_e32 v3, v7, v5
	v_mul_lo_u32 v5, v1, s12
	v_mul_lo_u32 v10, v1, s13
	v_lshrrev_b32_e32 v1, s27, v3
	s_add_i32 s3, s3, 4
	v_mul_lo_u32 v3, v1, s25
	s_add_u32 s6, s6, 32
	v_sub_u32_e32 v3, v7, v3
	s_addc_u32 s7, s7, 0
	v_mul_lo_u32 v7, v3, s14
	v_mul_lo_u32 v3, v3, s15
	s_cmp_lg_u32 s2, s3
	v_add3_u32 v12, v10, v4, v3
	v_add3_u32 v4, v5, v2, v7
	s_cbranch_scc1 .LBB31_1109
; %bb.1110:
	v_mov_b32_e32 v5, v12
	s_and_b32 s8, s38, 3
	s_cmp_eq_u32 s8, 0
	s_cbranch_scc0 .LBB31_1114
.LBB31_1111:
	s_cbranch_execz .LBB31_1117
	s_branch .LBB31_1119
.LBB31_1112:
                                        ; implicit-def: $vgpr12
                                        ; implicit-def: $vgpr4
	s_branch .LBB31_1117
.LBB31_1113:
	s_mov_b32 s3, s2
	v_pk_mov_b32 v[4:5], s[2:3], s[2:3] op_sel:[0,1]
                                        ; implicit-def: $vgpr12
	s_waitcnt vmcnt(0)
	v_mov_b32_e32 v1, v0
	s_and_b32 s8, s38, 3
	s_cmp_eq_u32 s8, 0
	s_cbranch_scc1 .LBB31_1111
.LBB31_1114:
	s_lshl_b32 s3, s2, 3
	s_add_u32 s3, s3, s34
	s_addc_u32 s7, 0, s35
	s_add_u32 s6, s3, 0xc4
	s_addc_u32 s7, s7, 0
	s_mul_i32 s2, s2, 12
	s_add_u32 s2, s34, s2
	s_addc_u32 s3, 0, s35
.LBB31_1115:                            ; =>This Inner Loop Header: Depth=1
	s_load_dwordx2 s[10:11], s[2:3], 0x4
	s_load_dword s9, s[2:3], 0xc
	s_load_dwordx2 s[12:13], s[6:7], 0x0
	s_add_u32 s2, s2, 12
	v_mov_b32_e32 v2, v5
	s_waitcnt lgkmcnt(0)
	v_mul_hi_u32 v3, s11, v1
	v_add_u32_e32 v3, v1, v3
	v_lshrrev_b32_e32 v3, s9, v3
	s_addc_u32 s3, s3, 0
	v_mul_lo_u32 v5, v3, s10
	s_add_u32 s6, s6, 8
	v_sub_u32_e32 v5, v1, v5
	s_addc_u32 s7, s7, 0
	s_add_i32 s8, s8, -1
	v_mov_b32_e32 v1, v3
	v_mad_u64_u32 v[2:3], s[10:11], v5, s13, v[2:3]
	v_mad_u64_u32 v[4:5], s[10:11], v5, s12, v[4:5]
	s_cmp_lg_u32 s8, 0
	v_mov_b32_e32 v5, v2
	s_cbranch_scc1 .LBB31_1115
; %bb.1116:
	v_mov_b32_e32 v12, v5
	s_cbranch_execnz .LBB31_1119
.LBB31_1117:
	s_load_dwordx4 s[8:11], s[34:35], 0x4
	s_load_dwordx2 s[2:3], s[34:35], 0xc4
	s_cmp_lt_u32 s33, 2
	s_waitcnt vmcnt(0) lgkmcnt(0)
	v_mul_hi_u32 v1, s9, v0
	v_add_u32_e32 v1, v0, v1
	v_lshrrev_b32_e32 v1, s10, v1
	v_mul_lo_u32 v2, v1, s8
	v_sub_u32_e32 v0, v0, v2
	v_mul_lo_u32 v12, v0, s3
	v_mul_lo_u32 v4, v0, s2
	s_cbranch_scc1 .LBB31_1119
; %bb.1118:
	s_load_dwordx4 s[8:11], s[34:35], 0x10
	s_load_dwordx2 s[2:3], s[34:35], 0xcc
	s_waitcnt lgkmcnt(0)
	v_mul_hi_u32 v0, s9, v1
	v_add_u32_e32 v0, v1, v0
	v_lshrrev_b32_e32 v0, s10, v0
	v_mul_lo_u32 v0, v0, s8
	v_sub_u32_e32 v0, v1, v0
	v_mad_u64_u32 v[4:5], s[6:7], v0, s2, v[4:5]
	v_mad_u64_u32 v[12:13], s[2:3], v0, s3, v[12:13]
.LBB31_1119:
	s_and_b64 vcc, exec, s[0:1]
	v_add_u32_e32 v0, 0x100, v8
	s_cbranch_vccnz .LBB31_1126
; %bb.1120:
	s_mov_b32 s2, 0
	s_cmp_lg_u32 s33, 0
	v_mov_b32_e32 v10, 0
	v_mov_b32_e32 v2, 0
	s_cbranch_scc0 .LBB31_1125
; %bb.1121:
	s_min_u32 s38, s74, 15
	s_add_i32 s38, s38, 1
	s_cmp_eq_u32 s74, 2
	s_cbranch_scc1 .LBB31_1127
; %bb.1122:
	s_add_u32 s6, s34, 0xc4
	s_addc_u32 s7, s35, 0
	s_and_b32 s2, s38, 28
	s_mov_b32 s3, 0
	v_mov_b32_e32 v2, 0
	s_mov_b64 s[36:37], s[34:35]
	s_waitcnt vmcnt(0)
	v_mov_b32_e32 v1, v0
	v_mov_b32_e32 v10, 0
.LBB31_1123:                            ; =>This Inner Loop Header: Depth=1
	s_load_dwordx8 s[16:23], s[36:37], 0x4
	s_load_dwordx4 s[24:27], s[36:37], 0x24
	s_load_dwordx8 s[8:15], s[6:7], 0x0
	s_add_u32 s36, s36, 48
	s_addc_u32 s37, s37, 0
	s_waitcnt lgkmcnt(0)
	v_mul_hi_u32 v3, s17, v1
	v_add_u32_e32 v3, v1, v3
	v_lshrrev_b32_e32 v3, s18, v3
	v_mul_lo_u32 v5, v3, s16
	v_mul_hi_u32 v7, s20, v3
	v_sub_u32_e32 v1, v1, v5
	v_add_u32_e32 v5, v3, v7
	v_lshrrev_b32_e32 v5, s21, v5
	v_mul_lo_u32 v8, v5, s19
	v_mul_hi_u32 v11, s23, v5
	v_sub_u32_e32 v3, v3, v8
	v_add_u32_e32 v8, v5, v11
	v_mul_lo_u32 v7, v1, s9
	v_mul_lo_u32 v1, v1, s8
	;; [unrolled: 1-line block ×4, first 2 shown]
	v_lshrrev_b32_e32 v8, s24, v8
	v_add3_u32 v2, v1, v2, v3
	v_add3_u32 v3, v7, v10, v11
	v_mul_lo_u32 v1, v8, s22
	v_mul_hi_u32 v7, s26, v8
	v_sub_u32_e32 v1, v5, v1
	v_add_u32_e32 v5, v8, v7
	v_mul_lo_u32 v7, v1, s12
	v_mul_lo_u32 v10, v1, s13
	v_lshrrev_b32_e32 v1, s27, v5
	s_add_i32 s3, s3, 4
	v_mul_lo_u32 v5, v1, s25
	s_add_u32 s6, s6, 32
	v_sub_u32_e32 v5, v8, v5
	s_addc_u32 s7, s7, 0
	v_mul_lo_u32 v8, v5, s14
	v_mul_lo_u32 v5, v5, s15
	s_cmp_lg_u32 s2, s3
	v_add3_u32 v10, v10, v3, v5
	v_add3_u32 v2, v7, v2, v8
	s_cbranch_scc1 .LBB31_1123
; %bb.1124:
	v_mov_b32_e32 v3, v10
	s_and_b32 s8, s38, 3
	s_cmp_eq_u32 s8, 0
	s_cbranch_scc0 .LBB31_1128
.LBB31_1125:
	s_cbranch_execz .LBB31_1131
	s_branch .LBB31_1133
.LBB31_1126:
                                        ; implicit-def: $vgpr10
                                        ; implicit-def: $vgpr2
	s_branch .LBB31_1131
.LBB31_1127:
	s_mov_b32 s3, s2
	v_pk_mov_b32 v[2:3], s[2:3], s[2:3] op_sel:[0,1]
                                        ; implicit-def: $vgpr10
	s_waitcnt vmcnt(0)
	v_mov_b32_e32 v1, v0
	s_and_b32 s8, s38, 3
	s_cmp_eq_u32 s8, 0
	s_cbranch_scc1 .LBB31_1125
.LBB31_1128:
	s_lshl_b32 s3, s2, 3
	s_add_u32 s3, s3, s34
	s_addc_u32 s7, 0, s35
	s_add_u32 s6, s3, 0xc4
	s_addc_u32 s7, s7, 0
	s_mul_i32 s2, s2, 12
	s_add_u32 s2, s34, s2
	s_addc_u32 s3, 0, s35
.LBB31_1129:                            ; =>This Inner Loop Header: Depth=1
	s_load_dwordx2 s[10:11], s[2:3], 0x4
	s_load_dword s9, s[2:3], 0xc
	s_load_dwordx2 s[12:13], s[6:7], 0x0
	v_mov_b32_e32 v8, v3
	s_add_u32 s2, s2, 12
	s_waitcnt lgkmcnt(0)
	v_mul_hi_u32 v3, s11, v1
	v_add_u32_e32 v3, v1, v3
	v_lshrrev_b32_e32 v3, s9, v3
	s_addc_u32 s3, s3, 0
	v_mul_lo_u32 v5, v3, s10
	s_add_u32 s6, s6, 8
	v_sub_u32_e32 v5, v1, v5
	s_addc_u32 s7, s7, 0
	s_add_i32 s8, s8, -1
	v_mov_b32_e32 v1, v3
	v_mad_u64_u32 v[10:11], s[10:11], v5, s13, v[8:9]
	v_mad_u64_u32 v[2:3], s[10:11], v5, s12, v[2:3]
	s_cmp_lg_u32 s8, 0
	v_mov_b32_e32 v3, v10
	s_cbranch_scc1 .LBB31_1129
; %bb.1130:
	v_mov_b32_e32 v10, v3
	s_cbranch_execnz .LBB31_1133
.LBB31_1131:
	s_load_dwordx4 s[8:11], s[34:35], 0x4
	s_load_dwordx2 s[2:3], s[34:35], 0xc4
	s_cmp_lt_u32 s33, 2
	s_waitcnt vmcnt(0) lgkmcnt(0)
	v_mul_hi_u32 v1, s9, v0
	v_add_u32_e32 v1, v0, v1
	v_lshrrev_b32_e32 v1, s10, v1
	v_mul_lo_u32 v2, v1, s8
	v_sub_u32_e32 v0, v0, v2
	v_mul_lo_u32 v10, v0, s3
	v_mul_lo_u32 v2, v0, s2
	s_cbranch_scc1 .LBB31_1133
; %bb.1132:
	s_load_dwordx4 s[8:11], s[34:35], 0x10
	s_load_dwordx2 s[2:3], s[34:35], 0xcc
	s_waitcnt lgkmcnt(0)
	v_mul_hi_u32 v0, s9, v1
	v_add_u32_e32 v0, v1, v0
	v_lshrrev_b32_e32 v0, s10, v0
	v_mul_lo_u32 v0, v0, s8
	v_sub_u32_e32 v0, v1, v0
	v_mad_u64_u32 v[2:3], s[6:7], v0, s2, v[2:3]
	v_mad_u64_u32 v[10:11], s[2:3], v0, s3, v[10:11]
.LBB31_1133:
	s_and_b64 vcc, exec, s[0:1]
	s_cbranch_vccnz .LBB31_1140
; %bb.1134:
	s_mov_b32 s6, 0
	s_cmp_lg_u32 s33, 0
	v_mov_b32_e32 v8, 0
	v_mov_b32_e32 v0, 0
	s_cbranch_scc0 .LBB31_1139
; %bb.1135:
	s_min_u32 s36, s74, 15
	s_add_i32 s36, s36, 1
	s_cmp_eq_u32 s74, 2
	s_cbranch_scc1 .LBB31_1141
; %bb.1136:
	s_add_u32 s24, s34, 0xc4
	s_addc_u32 s25, s35, 0
	s_and_b32 s6, s36, 28
	s_mov_b32 s7, 0
	v_mov_b32_e32 v0, 0
	s_mov_b64 s[26:27], s[34:35]
	v_mov_b32_e32 v3, v9
	v_mov_b32_e32 v8, 0
.LBB31_1137:                            ; =>This Inner Loop Header: Depth=1
	s_load_dwordx8 s[16:23], s[26:27], 0x4
	s_load_dwordx4 s[0:3], s[26:27], 0x24
	s_load_dwordx8 s[8:15], s[24:25], 0x0
	s_add_u32 s26, s26, 48
	s_addc_u32 s27, s27, 0
	s_waitcnt vmcnt(0) lgkmcnt(0)
	v_mul_hi_u32 v1, s17, v3
	v_add_u32_e32 v1, v3, v1
	v_lshrrev_b32_e32 v1, s18, v1
	v_mul_lo_u32 v5, v1, s16
	v_mul_hi_u32 v7, s20, v1
	v_sub_u32_e32 v3, v3, v5
	v_add_u32_e32 v5, v1, v7
	v_lshrrev_b32_e32 v5, s21, v5
	v_mul_lo_u32 v11, v5, s19
	v_mul_hi_u32 v13, s23, v5
	v_sub_u32_e32 v1, v1, v11
	v_add_u32_e32 v11, v5, v13
	v_mul_lo_u32 v7, v3, s9
	v_mul_lo_u32 v3, v3, s8
	;; [unrolled: 1-line block ×4, first 2 shown]
	v_lshrrev_b32_e32 v11, s0, v11
	v_add3_u32 v0, v3, v0, v1
	v_add3_u32 v1, v7, v8, v13
	v_mul_lo_u32 v3, v11, s22
	v_mul_hi_u32 v7, s2, v11
	v_sub_u32_e32 v3, v5, v3
	v_add_u32_e32 v5, v11, v7
	v_mul_lo_u32 v7, v3, s12
	v_mul_lo_u32 v8, v3, s13
	v_lshrrev_b32_e32 v3, s3, v5
	s_add_i32 s7, s7, 4
	v_mul_lo_u32 v5, v3, s1
	s_add_u32 s24, s24, 32
	v_sub_u32_e32 v5, v11, v5
	s_addc_u32 s25, s25, 0
	v_mul_lo_u32 v11, v5, s14
	v_mul_lo_u32 v5, v5, s15
	s_cmp_lg_u32 s6, s7
	v_add3_u32 v8, v8, v1, v5
	v_add3_u32 v0, v7, v0, v11
	s_cbranch_scc1 .LBB31_1137
; %bb.1138:
	v_mov_b32_e32 v1, v8
	s_and_b32 s7, s36, 3
	s_cmp_eq_u32 s7, 0
	s_cbranch_scc0 .LBB31_1142
.LBB31_1139:
	s_cbranch_execz .LBB31_1145
	s_branch .LBB31_1147
.LBB31_1140:
                                        ; implicit-def: $vgpr8
                                        ; implicit-def: $vgpr0
	s_branch .LBB31_1145
.LBB31_1141:
	s_mov_b32 s7, s6
	s_waitcnt vmcnt(0)
	v_pk_mov_b32 v[0:1], s[6:7], s[6:7] op_sel:[0,1]
                                        ; implicit-def: $vgpr8
	v_mov_b32_e32 v3, v9
	s_and_b32 s7, s36, 3
	s_cmp_eq_u32 s7, 0
	s_cbranch_scc1 .LBB31_1139
.LBB31_1142:
	s_lshl_b32 s0, s6, 3
	s_add_u32 s0, s0, s34
	s_addc_u32 s1, 0, s35
	s_add_u32 s0, s0, 0xc4
	s_addc_u32 s1, s1, 0
	s_mul_i32 s2, s6, 12
	s_add_u32 s2, s34, s2
	s_addc_u32 s3, 0, s35
.LBB31_1143:                            ; =>This Inner Loop Header: Depth=1
	s_load_dwordx2 s[8:9], s[2:3], 0x4
	s_load_dword s6, s[2:3], 0xc
	s_load_dwordx2 s[10:11], s[0:1], 0x0
	v_mov_b32_e32 v8, v1
	s_add_u32 s2, s2, 12
	s_waitcnt lgkmcnt(0)
	v_mul_hi_u32 v1, s9, v3
	v_add_u32_e32 v1, v3, v1
	v_lshrrev_b32_e32 v1, s6, v1
	s_addc_u32 s3, s3, 0
	v_mul_lo_u32 v5, v1, s8
	s_add_u32 s0, s0, 8
	v_sub_u32_e32 v5, v3, v5
	s_addc_u32 s1, s1, 0
	s_add_i32 s7, s7, -1
	v_mov_b32_e32 v3, v1
	v_mad_u64_u32 v[16:17], s[8:9], v5, s11, v[8:9]
	v_mad_u64_u32 v[0:1], s[8:9], v5, s10, v[0:1]
	s_cmp_lg_u32 s7, 0
	v_mov_b32_e32 v1, v16
	s_cbranch_scc1 .LBB31_1143
; %bb.1144:
	v_mov_b32_e32 v8, v1
	s_cbranch_execnz .LBB31_1147
.LBB31_1145:
	s_load_dwordx4 s[0:3], s[34:35], 0x4
	s_load_dwordx2 s[6:7], s[34:35], 0xc4
	s_cmp_lt_u32 s33, 2
	s_waitcnt lgkmcnt(0)
	v_mul_hi_u32 v0, s1, v9
	v_add_u32_e32 v0, v9, v0
	s_waitcnt vmcnt(0)
	v_lshrrev_b32_e32 v1, s2, v0
	v_mul_lo_u32 v0, v1, s0
	v_sub_u32_e32 v0, v9, v0
	v_mul_lo_u32 v8, v0, s7
	v_mul_lo_u32 v0, v0, s6
	s_cbranch_scc1 .LBB31_1147
; %bb.1146:
	s_load_dwordx4 s[0:3], s[34:35], 0x10
	s_load_dwordx2 s[6:7], s[34:35], 0xcc
	s_waitcnt lgkmcnt(0)
	v_mul_hi_u32 v3, s1, v1
	v_add_u32_e32 v3, v1, v3
	v_lshrrev_b32_e32 v3, s2, v3
	v_mul_lo_u32 v3, v3, s0
	v_sub_u32_e32 v3, v1, v3
	v_mad_u64_u32 v[0:1], s[0:1], v3, s6, v[0:1]
	v_mad_u64_u32 v[8:9], s[0:1], v3, s7, v[8:9]
.LBB31_1147:
	s_load_dword s18, s[4:5], 0x160
	s_load_dwordx4 s[8:11], s[34:35], 0x148
	s_waitcnt lgkmcnt(0)
	s_lshr_b32 s19, s18, 24
	s_waitcnt vmcnt(0)
	v_mov_b32_e32 v1, s11
	v_add_co_u32_e32 v14, vcc, s10, v14
	v_addc_co_u32_e32 v15, vcc, 0, v1, vcc
	v_cmp_lt_i16_e64 s[0:1], s19, 11
	s_and_b64 vcc, exec, s[0:1]
	s_cbranch_vccnz .LBB31_1154
; %bb.1148:
	v_cmp_gt_i16_e64 s[2:3], s19, 25
	s_mov_b64 s[4:5], 0
	s_and_b64 vcc, exec, s[2:3]
	s_cbranch_vccz .LBB31_1156
; %bb.1149:
	v_cmp_gt_i16_e64 s[2:3], s19, 28
	s_and_b64 vcc, exec, s[2:3]
	s_cbranch_vccz .LBB31_1157
; %bb.1150:
	v_cmp_gt_i16_e64 s[2:3], s19, 43
	;; [unrolled: 4-line block ×3, first 2 shown]
	s_and_b64 vcc, exec, s[2:3]
	s_cbranch_vccz .LBB31_1159
; %bb.1152:
	v_cmp_eq_u16_e64 s[2:3], s19, 46
	s_mov_b64 s[12:13], 0
	s_and_b64 vcc, exec, s[2:3]
	s_cbranch_vccz .LBB31_1162
; %bb.1153:
	global_load_dword v1, v[14:15], off
	s_mov_b64 s[2:3], 0
	s_mov_b64 s[6:7], -1
	s_branch .LBB31_1163
.LBB31_1154:
	s_mov_b64 s[6:7], 0
                                        ; implicit-def: $vgpr1
	s_mov_b64 s[2:3], s[28:29]
	s_cbranch_execnz .LBB31_1226
.LBB31_1155:
	s_andn2_b64 vcc, exec, s[6:7]
	s_cbranch_vccz .LBB31_1271
	s_branch .LBB31_2112
.LBB31_1156:
	s_mov_b64 s[6:7], 0
	s_mov_b64 s[2:3], 0
                                        ; implicit-def: $vgpr1
	s_cbranch_execnz .LBB31_1191
	s_branch .LBB31_1222
.LBB31_1157:
	s_mov_b64 s[12:13], -1
	s_mov_b64 s[6:7], 0
	s_mov_b64 s[2:3], 0
                                        ; implicit-def: $vgpr1
	s_branch .LBB31_1172
.LBB31_1158:
	s_mov_b64 s[6:7], 0
	s_mov_b64 s[2:3], 0
                                        ; implicit-def: $vgpr1
	s_cbranch_execnz .LBB31_1168
	s_branch .LBB31_1171
.LBB31_1159:
	s_mov_b64 s[12:13], -1
	s_mov_b64 s[6:7], 0
	s_mov_b64 s[2:3], 0
                                        ; implicit-def: $vgpr1
	s_branch .LBB31_1163
.LBB31_1160:
	s_or_saveexec_b64 s[14:15], s[14:15]
                                        ; implicit-def: $sgpr16
	s_xor_b64 exec, exec, s[14:15]
	s_cbranch_execz .LBB31_1003
.LBB31_1161:
	s_mov_b32 s16, 0x46000000
	v_add_f32_e64 v4, |v6|, s16
	v_and_b32_e32 v4, 0xff, v4
	v_cmp_ne_u32_e32 vcc, 0, v4
	s_andn2_b64 s[12:13], s[12:13], exec
	s_and_b64 s[18:19], vcc, exec
	s_mov_b32 s16, 0
	s_or_b64 s[12:13], s[12:13], s[18:19]
	s_or_b64 exec, exec, s[14:15]
	v_mov_b32_e32 v7, s16
	s_and_saveexec_b64 s[14:15], s[12:13]
	s_cbranch_execnz .LBB31_1004
	s_branch .LBB31_1005
.LBB31_1162:
	s_mov_b64 s[2:3], -1
                                        ; implicit-def: $vgpr1
	s_mov_b64 s[6:7], 0
.LBB31_1163:
	s_and_b64 vcc, exec, s[12:13]
	s_cbranch_vccz .LBB31_1166
; %bb.1164:
	v_cmp_eq_u16_e64 s[2:3], s19, 44
	s_and_b64 vcc, exec, s[2:3]
	s_cbranch_vccz .LBB31_1167
; %bb.1165:
	global_load_ubyte v1, v[14:15], off
	s_movk_i32 s6, 0xff
	v_mov_b32_e32 v3, 0x7f800001
	v_mov_b32_e32 v5, 0x400000
	;; [unrolled: 1-line block ×3, first 2 shown]
	s_mov_b64 s[2:3], 0
	s_waitcnt vmcnt(0)
	v_lshlrev_b32_e32 v9, 23, v1
	v_cmp_ne_u32_e32 vcc, s6, v1
	v_cndmask_b32_e32 v3, v3, v9, vcc
	v_cmp_ne_u32_e32 vcc, 0, v1
	v_cndmask_b32_e32 v1, v5, v3, vcc
	v_add_u32_e32 v3, 0x7fff, v1
	v_lshrrev_b32_e32 v3, 16, v3
	v_cmp_o_f32_e32 vcc, v1, v1
	v_cndmask_b32_e32 v1, v7, v3, vcc
	s_mov_b64 s[6:7], -1
.LBB31_1166:
	s_branch .LBB31_1171
.LBB31_1167:
	s_mov_b64 s[2:3], -1
                                        ; implicit-def: $vgpr1
	s_branch .LBB31_1171
.LBB31_1168:
	v_cmp_eq_u16_e64 s[2:3], s19, 29
	s_and_b64 vcc, exec, s[2:3]
	s_cbranch_vccz .LBB31_1170
; %bb.1169:
	global_load_dwordx2 v[16:17], v[14:15], off
	s_movk_i32 s6, 0x7fff
	s_mov_b64 s[2:3], 0
	s_mov_b64 s[12:13], 0
	s_waitcnt vmcnt(0)
	v_ffbh_u32_e32 v1, v17
	v_min_u32_e32 v1, 32, v1
	v_lshlrev_b64 v[16:17], v1, v[16:17]
	v_min_u32_e32 v3, 1, v16
	v_or_b32_e32 v3, v17, v3
	v_cvt_f32_u32_e32 v3, v3
	v_sub_u32_e32 v1, 32, v1
	v_ldexp_f32 v1, v3, v1
	v_bfe_u32 v3, v1, 16, 1
	v_add3_u32 v1, v1, v3, s6
	v_lshrrev_b32_e32 v1, 16, v1
	s_mov_b64 s[6:7], -1
	s_branch .LBB31_1172
.LBB31_1170:
	s_mov_b64 s[2:3], -1
                                        ; implicit-def: $vgpr1
.LBB31_1171:
	s_mov_b64 s[12:13], 0
.LBB31_1172:
	s_and_b64 vcc, exec, s[12:13]
	s_cbranch_vccz .LBB31_1190
; %bb.1173:
	v_cmp_lt_i16_e64 s[6:7], s19, 27
	s_and_b64 vcc, exec, s[6:7]
	s_cbranch_vccnz .LBB31_1176
; %bb.1174:
	v_cmp_gt_i16_e64 s[6:7], s19, 27
	s_and_b64 vcc, exec, s[6:7]
	s_cbranch_vccz .LBB31_1177
; %bb.1175:
	global_load_dword v1, v[14:15], off
	s_movk_i32 s6, 0x7fff
	s_waitcnt vmcnt(0)
	v_cvt_f32_u32_e32 v1, v1
	v_bfe_u32 v3, v1, 16, 1
	v_add3_u32 v1, v1, v3, s6
	v_lshrrev_b32_e32 v1, 16, v1
	s_mov_b64 s[6:7], 0
	s_branch .LBB31_1178
.LBB31_1176:
	s_mov_b64 s[6:7], -1
                                        ; implicit-def: $vgpr1
	s_branch .LBB31_1181
.LBB31_1177:
	s_mov_b64 s[6:7], -1
                                        ; implicit-def: $vgpr1
.LBB31_1178:
	s_andn2_b64 vcc, exec, s[6:7]
	s_cbranch_vccnz .LBB31_1180
; %bb.1179:
	global_load_ushort v1, v[14:15], off
	s_movk_i32 s6, 0x7fff
	s_waitcnt vmcnt(0)
	v_cvt_f32_u32_e32 v1, v1
	v_bfe_u32 v3, v1, 16, 1
	v_add3_u32 v1, v1, v3, s6
	v_lshrrev_b32_e32 v1, 16, v1
.LBB31_1180:
	s_mov_b64 s[6:7], 0
.LBB31_1181:
	s_andn2_b64 vcc, exec, s[6:7]
	s_cbranch_vccnz .LBB31_1189
; %bb.1182:
	global_load_ubyte v1, v[14:15], off
	s_movk_i32 s6, 0x7f
                                        ; implicit-def: $sgpr16
	s_waitcnt vmcnt(0)
	v_cmp_lt_i16_e32 vcc, s6, v1
	s_mov_b64 s[6:7], 0
	s_and_saveexec_b64 s[12:13], vcc
	s_xor_b64 s[12:13], exec, s[12:13]
	s_cbranch_execz .LBB31_1202
; %bb.1183:
	s_movk_i32 s6, 0x80
	v_cmp_eq_u16_e32 vcc, s6, v1
	s_mov_b64 s[6:7], -1
                                        ; implicit-def: $sgpr16
	s_and_saveexec_b64 s[14:15], vcc
; %bb.1184:
	s_mov_b32 s16, 0x7f800001
	s_xor_b64 s[6:7], exec, -1
; %bb.1185:
	s_or_b64 exec, exec, s[14:15]
	s_and_b64 s[6:7], s[6:7], exec
	s_or_saveexec_b64 s[12:13], s[12:13]
	v_mov_b32_e32 v3, s16
	s_xor_b64 exec, exec, s[12:13]
	s_cbranch_execnz .LBB31_1203
.LBB31_1186:
	s_or_b64 exec, exec, s[12:13]
	s_and_saveexec_b64 s[12:13], s[6:7]
	s_cbranch_execz .LBB31_1188
.LBB31_1187:
	v_lshlrev_b32_e32 v3, 24, v1
	v_and_b32_e32 v1, 0xffff, v1
	v_and_b32_e32 v5, 7, v1
	v_ffbh_u32_e32 v9, v5
	v_min_u32_e32 v9, 32, v9
	v_subrev_u32_e32 v11, 28, v9
	v_bfe_u32 v7, v1, 3, 4
	v_lshlrev_b32_e32 v1, v11, v1
	v_sub_u32_e32 v9, 29, v9
	v_and_b32_e32 v1, 7, v1
	v_cmp_eq_u32_e32 vcc, 0, v7
	v_cndmask_b32_e32 v7, v7, v9, vcc
	v_cndmask_b32_e32 v1, v5, v1, vcc
	v_mov_b32_e32 v5, 0x3b800000
	v_lshlrev_b32_e32 v1, 20, v1
	v_and_b32_e32 v3, 0x80000000, v3
	v_lshl_add_u32 v5, v7, 23, v5
	v_or3_b32 v3, v3, v5, v1
.LBB31_1188:
	s_or_b64 exec, exec, s[12:13]
	v_bfe_u32 v1, v3, 16, 1
	s_movk_i32 s6, 0x7fff
	v_add3_u32 v1, v3, v1, s6
	v_lshrrev_b32_e32 v1, 16, v1
	v_mov_b32_e32 v5, 0x7fc0
	v_cmp_o_f32_e32 vcc, v3, v3
	v_cndmask_b32_e32 v1, v5, v1, vcc
.LBB31_1189:
	s_mov_b64 s[6:7], -1
.LBB31_1190:
	s_branch .LBB31_1222
.LBB31_1191:
	v_cmp_gt_i16_e64 s[4:5], s19, 22
	s_and_b64 vcc, exec, s[4:5]
	s_cbranch_vccz .LBB31_1201
; %bb.1192:
	v_cmp_lt_i16_e64 s[4:5], s19, 24
	s_and_b64 vcc, exec, s[4:5]
	s_cbranch_vccnz .LBB31_1204
; %bb.1193:
	v_cmp_gt_i16_e64 s[4:5], s19, 24
	s_and_b64 vcc, exec, s[4:5]
	s_cbranch_vccz .LBB31_1205
; %bb.1194:
	global_load_ubyte v1, v[14:15], off
	s_movk_i32 s4, 0x7f
                                        ; implicit-def: $sgpr14
	s_waitcnt vmcnt(0)
	v_cmp_lt_i16_e32 vcc, s4, v1
	s_mov_b64 s[4:5], 0
	s_and_saveexec_b64 s[6:7], vcc
	s_xor_b64 s[6:7], exec, s[6:7]
	s_cbranch_execz .LBB31_1216
; %bb.1195:
	s_movk_i32 s4, 0x80
	v_cmp_eq_u16_e32 vcc, s4, v1
	s_mov_b64 s[4:5], -1
                                        ; implicit-def: $sgpr14
	s_and_saveexec_b64 s[12:13], vcc
; %bb.1196:
	s_mov_b32 s14, 0x7f800001
	s_xor_b64 s[4:5], exec, -1
; %bb.1197:
	s_or_b64 exec, exec, s[12:13]
	s_and_b64 s[4:5], s[4:5], exec
	s_or_saveexec_b64 s[6:7], s[6:7]
	v_mov_b32_e32 v3, s14
	s_xor_b64 exec, exec, s[6:7]
	s_cbranch_execnz .LBB31_1217
.LBB31_1198:
	s_or_b64 exec, exec, s[6:7]
	s_and_saveexec_b64 s[6:7], s[4:5]
	s_cbranch_execz .LBB31_1200
.LBB31_1199:
	v_lshlrev_b32_e32 v3, 24, v1
	v_and_b32_e32 v1, 0xffff, v1
	v_and_b32_e32 v5, 3, v1
	v_ffbh_u32_e32 v9, v5
	v_min_u32_e32 v9, 32, v9
	v_subrev_u32_e32 v11, 29, v9
	v_bfe_u32 v7, v1, 2, 5
	v_lshlrev_b32_e32 v1, v11, v1
	v_sub_u32_e32 v9, 30, v9
	v_and_b32_e32 v1, 3, v1
	v_cmp_eq_u32_e32 vcc, 0, v7
	v_cndmask_b32_e32 v7, v7, v9, vcc
	v_cndmask_b32_e32 v1, v5, v1, vcc
	v_mov_b32_e32 v5, 0x37800000
	v_lshlrev_b32_e32 v1, 21, v1
	v_and_b32_e32 v3, 0x80000000, v3
	v_lshl_add_u32 v5, v7, 23, v5
	v_or3_b32 v3, v3, v5, v1
.LBB31_1200:
	s_or_b64 exec, exec, s[6:7]
	v_bfe_u32 v1, v3, 16, 1
	s_movk_i32 s4, 0x7fff
	v_add3_u32 v1, v3, v1, s4
	v_lshrrev_b32_e32 v1, 16, v1
	v_mov_b32_e32 v5, 0x7fc0
	v_cmp_o_f32_e32 vcc, v3, v3
	v_cndmask_b32_e32 v1, v5, v1, vcc
	s_mov_b64 s[4:5], 0
	s_branch .LBB31_1206
.LBB31_1201:
                                        ; implicit-def: $vgpr1
	s_mov_b64 s[4:5], 0
	s_branch .LBB31_1212
.LBB31_1202:
	s_or_saveexec_b64 s[12:13], s[12:13]
	v_mov_b32_e32 v3, s16
	s_xor_b64 exec, exec, s[12:13]
	s_cbranch_execz .LBB31_1186
.LBB31_1203:
	v_cmp_ne_u16_e32 vcc, 0, v1
	s_andn2_b64 s[6:7], s[6:7], exec
	s_and_b64 s[14:15], vcc, exec
	v_mov_b32_e32 v3, 0
	s_or_b64 s[6:7], s[6:7], s[14:15]
	s_or_b64 exec, exec, s[12:13]
	s_and_saveexec_b64 s[12:13], s[6:7]
	s_cbranch_execnz .LBB31_1187
	s_branch .LBB31_1188
.LBB31_1204:
	s_mov_b64 s[4:5], -1
                                        ; implicit-def: $vgpr1
	s_branch .LBB31_1209
.LBB31_1205:
	s_mov_b64 s[4:5], -1
                                        ; implicit-def: $vgpr1
.LBB31_1206:
	s_and_b64 vcc, exec, s[4:5]
	s_cbranch_vccz .LBB31_1208
; %bb.1207:
	global_load_ubyte v1, v[14:15], off
	s_mov_b32 s4, 0x7f800000
	s_brev_b32 s5, 1
	s_movk_i32 s6, 0x7fff
	v_mov_b32_e32 v3, 0x7fc0
	s_waitcnt vmcnt(0)
	v_lshlrev_b32_e32 v1, 24, v1
	v_and_b32_e32 v5, 0x7f000000, v1
	v_ffbh_u32_e32 v7, v5
	v_min_u32_e32 v7, 32, v7
	v_sub_u32_e64 v7, v7, 4 clamp
	v_lshlrev_b32_e32 v11, v7, v5
	v_lshlrev_b32_e32 v7, 23, v7
	v_lshrrev_b32_e32 v11, 4, v11
	v_add_u32_e32 v9, 0x1000000, v5
	v_sub_u32_e32 v7, v11, v7
	v_ashrrev_i32_e32 v9, 8, v9
	v_add_u32_e32 v7, 0x3c000000, v7
	v_and_or_b32 v7, v9, s4, v7
	v_cmp_ne_u32_e32 vcc, 0, v5
	v_cndmask_b32_e32 v5, 0, v7, vcc
	v_and_or_b32 v1, v1, s5, v5
	v_bfe_u32 v5, v5, 16, 1
	v_add3_u32 v5, v1, v5, s6
	v_lshrrev_b32_e32 v5, 16, v5
	v_cmp_o_f32_e32 vcc, v1, v1
	v_cndmask_b32_e32 v1, v3, v5, vcc
.LBB31_1208:
	s_mov_b64 s[4:5], 0
.LBB31_1209:
	s_andn2_b64 vcc, exec, s[4:5]
	s_cbranch_vccnz .LBB31_1211
; %bb.1210:
	global_load_ubyte v1, v[14:15], off
	s_movk_i32 s4, 0x7f00
	s_brev_b32 s5, 16
	s_brev_b32 s6, 1
	s_movk_i32 s7, 0x7fff
	v_mov_b32_e32 v3, 0x7fc0
	s_waitcnt vmcnt(0)
	v_lshlrev_b16_e32 v5, 8, v1
	v_lshlrev_b32_e32 v1, 25, v1
	v_lshrrev_b32_e32 v7, 4, v1
	v_and_or_b32 v9, v5, s4, 0.5
	v_or_b32_e32 v7, 0x70000000, v7
	v_add_f32_e32 v9, -0.5, v9
	v_mul_f32_e32 v7, 0x7800000, v7
	v_cmp_gt_u32_e32 vcc, s5, v1
	v_bfe_i32 v5, v5, 0, 16
	v_cndmask_b32_e32 v1, v7, v9, vcc
	v_and_or_b32 v5, v5, s6, v1
	v_bfe_u32 v1, v1, 16, 1
	v_add3_u32 v1, v5, v1, s7
	v_lshrrev_b32_e32 v1, 16, v1
	v_cmp_o_f32_e32 vcc, v5, v5
	v_cndmask_b32_e32 v1, v3, v1, vcc
.LBB31_1211:
	s_mov_b64 s[6:7], -1
	s_mov_b64 s[4:5], 0
	s_cbranch_execnz .LBB31_1222
.LBB31_1212:
	v_cmp_gt_i16_e64 s[4:5], s19, 14
	s_and_b64 vcc, exec, s[4:5]
	s_cbranch_vccz .LBB31_1215
; %bb.1213:
	v_cmp_eq_u16_e64 s[2:3], s19, 15
	s_and_b64 vcc, exec, s[2:3]
	s_cbranch_vccz .LBB31_1218
; %bb.1214:
	global_load_ushort v1, v[14:15], off
	s_mov_b64 s[2:3], 0
	s_mov_b64 s[6:7], -1
	s_branch .LBB31_1219
.LBB31_1215:
	s_mov_b64 s[12:13], -1
                                        ; implicit-def: $vgpr1
	s_branch .LBB31_1220
.LBB31_1216:
	s_or_saveexec_b64 s[6:7], s[6:7]
	v_mov_b32_e32 v3, s14
	s_xor_b64 exec, exec, s[6:7]
	s_cbranch_execz .LBB31_1198
.LBB31_1217:
	v_cmp_ne_u16_e32 vcc, 0, v1
	s_andn2_b64 s[4:5], s[4:5], exec
	s_and_b64 s[12:13], vcc, exec
	v_mov_b32_e32 v3, 0
	s_or_b64 s[4:5], s[4:5], s[12:13]
	s_or_b64 exec, exec, s[6:7]
	s_and_saveexec_b64 s[6:7], s[4:5]
	s_cbranch_execnz .LBB31_1199
	s_branch .LBB31_1200
.LBB31_1218:
	s_mov_b64 s[2:3], -1
                                        ; implicit-def: $vgpr1
.LBB31_1219:
	s_mov_b64 s[12:13], 0
.LBB31_1220:
	s_mov_b64 s[4:5], 0
	s_and_b64 vcc, exec, s[12:13]
	s_cbranch_vccz .LBB31_1222
; %bb.1221:
	v_cmp_ne_u16_e64 s[2:3], s19, 11
	s_mov_b64 s[4:5], -1
                                        ; implicit-def: $vgpr1
.LBB31_1222:
	s_and_b64 vcc, exec, s[2:3]
	s_mov_b64 s[2:3], s[28:29]
	s_cbranch_vccnz .LBB31_1283
; %bb.1223:
	s_andn2_b64 vcc, exec, s[4:5]
	s_cbranch_vccnz .LBB31_1225
.LBB31_1224:
	global_load_ubyte v1, v[14:15], off
	s_mov_b64 s[6:7], -1
	s_waitcnt vmcnt(0)
	v_cmp_ne_u16_e32 vcc, 0, v1
	v_cndmask_b32_e64 v1, 0, 1.0, vcc
	v_lshrrev_b32_e32 v1, 16, v1
.LBB31_1225:
	s_branch .LBB31_1155
.LBB31_1226:
	v_cmp_lt_i16_e64 s[4:5], s19, 5
	s_and_b64 vcc, exec, s[4:5]
	s_cbranch_vccnz .LBB31_1231
; %bb.1227:
	v_cmp_lt_i16_e64 s[4:5], s19, 8
	s_and_b64 vcc, exec, s[4:5]
	s_cbranch_vccnz .LBB31_1232
; %bb.1228:
	;; [unrolled: 4-line block ×3, first 2 shown]
	v_cmp_gt_i16_e64 s[4:5], s19, 9
	s_and_b64 vcc, exec, s[4:5]
	s_cbranch_vccz .LBB31_1234
; %bb.1230:
	global_load_dwordx2 v[16:17], v[14:15], off
	s_movk_i32 s4, 0x7fff
	s_waitcnt vmcnt(1)
	v_mov_b32_e32 v1, 0x7fc0
	s_waitcnt vmcnt(0)
	v_cvt_f32_f64_e32 v3, v[16:17]
	v_bfe_u32 v5, v3, 16, 1
	v_add3_u32 v5, v3, v5, s4
	v_lshrrev_b32_e32 v5, 16, v5
	v_cmp_o_f32_e32 vcc, v3, v3
	v_cndmask_b32_e32 v1, v1, v5, vcc
	s_mov_b64 s[4:5], 0
	s_branch .LBB31_1235
.LBB31_1231:
                                        ; implicit-def: $vgpr1
	s_branch .LBB31_1252
.LBB31_1232:
                                        ; implicit-def: $vgpr1
	s_branch .LBB31_1241
.LBB31_1233:
	s_mov_b64 s[4:5], -1
                                        ; implicit-def: $vgpr1
	s_branch .LBB31_1238
.LBB31_1234:
	s_mov_b64 s[4:5], -1
                                        ; implicit-def: $vgpr1
.LBB31_1235:
	s_andn2_b64 vcc, exec, s[4:5]
	s_cbranch_vccnz .LBB31_1237
; %bb.1236:
	global_load_dword v1, v[14:15], off
	s_movk_i32 s4, 0x7fff
	v_mov_b32_e32 v3, 0x7fc0
	s_waitcnt vmcnt(0)
	v_bfe_u32 v5, v1, 16, 1
	v_add3_u32 v5, v1, v5, s4
	v_lshrrev_b32_e32 v5, 16, v5
	v_cmp_o_f32_e32 vcc, v1, v1
	v_cndmask_b32_e32 v1, v3, v5, vcc
.LBB31_1237:
	s_mov_b64 s[4:5], 0
.LBB31_1238:
	s_andn2_b64 vcc, exec, s[4:5]
	s_cbranch_vccnz .LBB31_1240
; %bb.1239:
	global_load_dword v1, v[14:15], off
	s_movk_i32 s4, 0x7fff
	v_mov_b32_e32 v5, 0x7fc0
	s_waitcnt vmcnt(0)
	v_cvt_f32_f16_e32 v3, v1
	v_cmp_o_f16_e32 vcc, v1, v1
	v_bfe_u32 v7, v3, 16, 1
	v_add3_u32 v3, v3, v7, s4
	v_lshrrev_b32_e32 v3, 16, v3
	v_cndmask_b32_e32 v1, v5, v3, vcc
.LBB31_1240:
	s_cbranch_execnz .LBB31_1251
.LBB31_1241:
	v_cmp_lt_i16_e64 s[4:5], s19, 6
	s_and_b64 vcc, exec, s[4:5]
	s_cbranch_vccnz .LBB31_1244
; %bb.1242:
	v_cmp_gt_i16_e64 s[4:5], s19, 6
	s_and_b64 vcc, exec, s[4:5]
	s_cbranch_vccz .LBB31_1245
; %bb.1243:
	global_load_dwordx2 v[16:17], v[14:15], off
	s_movk_i32 s4, 0x7fff
	s_waitcnt vmcnt(1)
	v_mov_b32_e32 v1, 0x7fc0
	s_waitcnt vmcnt(0)
	v_cvt_f32_f64_e32 v3, v[16:17]
	v_bfe_u32 v5, v3, 16, 1
	v_add3_u32 v5, v3, v5, s4
	v_lshrrev_b32_e32 v5, 16, v5
	v_cmp_o_f32_e32 vcc, v3, v3
	v_cndmask_b32_e32 v1, v1, v5, vcc
	s_mov_b64 s[4:5], 0
	s_branch .LBB31_1246
.LBB31_1244:
	s_mov_b64 s[4:5], -1
                                        ; implicit-def: $vgpr1
	s_branch .LBB31_1249
.LBB31_1245:
	s_mov_b64 s[4:5], -1
                                        ; implicit-def: $vgpr1
.LBB31_1246:
	s_andn2_b64 vcc, exec, s[4:5]
	s_cbranch_vccnz .LBB31_1248
; %bb.1247:
	global_load_dword v1, v[14:15], off
	s_movk_i32 s4, 0x7fff
	v_mov_b32_e32 v3, 0x7fc0
	s_waitcnt vmcnt(0)
	v_bfe_u32 v5, v1, 16, 1
	v_add3_u32 v5, v1, v5, s4
	v_lshrrev_b32_e32 v5, 16, v5
	v_cmp_o_f32_e32 vcc, v1, v1
	v_cndmask_b32_e32 v1, v3, v5, vcc
.LBB31_1248:
	s_mov_b64 s[4:5], 0
.LBB31_1249:
	s_andn2_b64 vcc, exec, s[4:5]
	s_cbranch_vccnz .LBB31_1251
; %bb.1250:
	global_load_ushort v1, v[14:15], off
	s_movk_i32 s4, 0x7fff
	v_mov_b32_e32 v5, 0x7fc0
	s_waitcnt vmcnt(0)
	v_cvt_f32_f16_e32 v3, v1
	v_cmp_o_f16_e32 vcc, v1, v1
	v_bfe_u32 v7, v3, 16, 1
	v_add3_u32 v3, v3, v7, s4
	v_lshrrev_b32_e32 v3, 16, v3
	v_cndmask_b32_e32 v1, v5, v3, vcc
.LBB31_1251:
	s_cbranch_execnz .LBB31_1270
.LBB31_1252:
	v_cmp_lt_i16_e64 s[4:5], s19, 2
	s_and_b64 vcc, exec, s[4:5]
	s_cbranch_vccnz .LBB31_1256
; %bb.1253:
	v_cmp_lt_i16_e64 s[4:5], s19, 3
	s_and_b64 vcc, exec, s[4:5]
	s_cbranch_vccnz .LBB31_1257
; %bb.1254:
	v_cmp_gt_i16_e64 s[4:5], s19, 3
	s_and_b64 vcc, exec, s[4:5]
	s_cbranch_vccz .LBB31_1258
; %bb.1255:
	global_load_dwordx2 v[16:17], v[14:15], off
	s_movk_i32 s4, 0x7fff
	s_waitcnt vmcnt(0)
	v_xor_b32_e32 v3, v16, v17
	v_ffbh_i32_e32 v1, v17
	v_ashrrev_i32_e32 v3, 31, v3
	v_add_u32_e32 v1, -1, v1
	v_add_u32_e32 v3, 32, v3
	v_min_u32_e32 v1, v1, v3
	v_lshlrev_b64 v[16:17], v1, v[16:17]
	v_min_u32_e32 v3, 1, v16
	v_or_b32_e32 v3, v17, v3
	v_cvt_f32_i32_e32 v3, v3
	v_sub_u32_e32 v1, 32, v1
	v_ldexp_f32 v1, v3, v1
	v_bfe_u32 v3, v1, 16, 1
	v_add3_u32 v1, v1, v3, s4
	v_lshrrev_b32_e32 v1, 16, v1
	s_mov_b64 s[4:5], 0
	s_branch .LBB31_1259
.LBB31_1256:
                                        ; implicit-def: $vgpr1
	s_branch .LBB31_1265
.LBB31_1257:
	s_mov_b64 s[4:5], -1
                                        ; implicit-def: $vgpr1
	s_branch .LBB31_1262
.LBB31_1258:
	s_mov_b64 s[4:5], -1
                                        ; implicit-def: $vgpr1
.LBB31_1259:
	s_andn2_b64 vcc, exec, s[4:5]
	s_cbranch_vccnz .LBB31_1261
; %bb.1260:
	global_load_dword v1, v[14:15], off
	s_movk_i32 s4, 0x7fff
	s_waitcnt vmcnt(0)
	v_cvt_f32_i32_e32 v1, v1
	v_bfe_u32 v3, v1, 16, 1
	v_add3_u32 v1, v1, v3, s4
	v_lshrrev_b32_e32 v1, 16, v1
.LBB31_1261:
	s_mov_b64 s[4:5], 0
.LBB31_1262:
	s_andn2_b64 vcc, exec, s[4:5]
	s_cbranch_vccnz .LBB31_1264
; %bb.1263:
	global_load_sshort v1, v[14:15], off
	s_movk_i32 s4, 0x7fff
	s_waitcnt vmcnt(0)
	v_cvt_f32_i32_e32 v1, v1
	v_bfe_u32 v3, v1, 16, 1
	v_add3_u32 v1, v1, v3, s4
	v_lshrrev_b32_e32 v1, 16, v1
.LBB31_1264:
	s_cbranch_execnz .LBB31_1270
.LBB31_1265:
	v_cmp_gt_i16_e64 s[4:5], s19, 0
	s_and_b64 vcc, exec, s[4:5]
	s_cbranch_vccz .LBB31_1267
; %bb.1266:
	global_load_sbyte v1, v[14:15], off
	s_movk_i32 s4, 0x7fff
	s_waitcnt vmcnt(0)
	v_cvt_f32_i32_e32 v1, v1
	v_bfe_u32 v3, v1, 16, 1
	v_add3_u32 v1, v1, v3, s4
	v_lshrrev_b32_e32 v1, 16, v1
	s_mov_b64 s[4:5], 0
	s_branch .LBB31_1268
.LBB31_1267:
	s_mov_b64 s[4:5], -1
                                        ; implicit-def: $vgpr1
.LBB31_1268:
	s_andn2_b64 vcc, exec, s[4:5]
	s_cbranch_vccnz .LBB31_1270
; %bb.1269:
	global_load_ubyte v1, v[14:15], off
	s_movk_i32 s4, 0x7fff
	s_waitcnt vmcnt(0)
	v_cvt_f32_ubyte0_e32 v1, v1
	v_bfe_u32 v3, v1, 16, 1
	v_add3_u32 v1, v1, v3, s4
	v_lshrrev_b32_e32 v1, 16, v1
.LBB31_1270:
.LBB31_1271:
	v_mov_b32_e32 v3, s11
	v_add_co_u32_e32 v12, vcc, s10, v12
	v_addc_co_u32_e32 v13, vcc, 0, v3, vcc
	s_and_b64 vcc, exec, s[0:1]
	s_cbranch_vccnz .LBB31_1278
; %bb.1272:
	v_cmp_gt_i16_e64 s[4:5], s19, 25
	s_mov_b64 s[6:7], 0
	s_and_b64 vcc, exec, s[4:5]
	s_cbranch_vccz .LBB31_1280
; %bb.1273:
	v_cmp_gt_i16_e64 s[4:5], s19, 28
	s_and_b64 vcc, exec, s[4:5]
	s_cbranch_vccz .LBB31_1281
; %bb.1274:
	v_cmp_gt_i16_e64 s[4:5], s19, 43
	;; [unrolled: 4-line block ×3, first 2 shown]
	s_and_b64 vcc, exec, s[4:5]
	s_cbranch_vccz .LBB31_1284
; %bb.1276:
	v_cmp_eq_u16_e64 s[4:5], s19, 46
	s_mov_b64 s[14:15], 0
	s_and_b64 vcc, exec, s[4:5]
	s_cbranch_vccz .LBB31_1287
; %bb.1277:
	global_load_dword v3, v[12:13], off
	s_mov_b64 s[4:5], 0
	s_mov_b64 s[12:13], -1
	s_branch .LBB31_1288
.LBB31_1278:
	s_mov_b64 s[12:13], 0
                                        ; implicit-def: $vgpr3
	s_cbranch_execnz .LBB31_1353
.LBB31_1279:
	s_andn2_b64 vcc, exec, s[12:13]
	s_cbranch_vccnz .LBB31_2112
	s_branch .LBB31_1400
.LBB31_1280:
	s_mov_b64 s[12:13], 0
	s_mov_b64 s[4:5], 0
                                        ; implicit-def: $vgpr3
	s_cbranch_execnz .LBB31_1317
	s_branch .LBB31_1349
.LBB31_1281:
	s_mov_b64 s[14:15], -1
	s_mov_b64 s[12:13], 0
	s_mov_b64 s[4:5], 0
                                        ; implicit-def: $vgpr3
	s_branch .LBB31_1298
.LBB31_1282:
	s_mov_b64 s[14:15], -1
	s_mov_b64 s[12:13], 0
	s_mov_b64 s[4:5], 0
                                        ; implicit-def: $vgpr3
	s_branch .LBB31_1293
.LBB31_1283:
	s_or_b64 s[2:3], s[28:29], exec
	s_trap 2
                                        ; implicit-def: $vgpr1
	s_cbranch_execz .LBB31_1224
	s_branch .LBB31_1225
.LBB31_1284:
	s_mov_b64 s[14:15], -1
	s_mov_b64 s[12:13], 0
	s_mov_b64 s[4:5], 0
                                        ; implicit-def: $vgpr3
	s_branch .LBB31_1288
.LBB31_1285:
	s_or_saveexec_b64 s[16:17], s[16:17]
                                        ; implicit-def: $sgpr18
	s_xor_b64 exec, exec, s[16:17]
	s_cbranch_execz .LBB31_1015
.LBB31_1286:
	s_mov_b32 s18, 0x42800000
	v_add_f32_e64 v4, |v6|, s18
	v_and_b32_e32 v4, 0xff, v4
	v_cmp_ne_u32_e32 vcc, 0, v4
	s_andn2_b64 s[14:15], s[14:15], exec
	s_and_b64 s[20:21], vcc, exec
	s_mov_b32 s18, 0
	s_or_b64 s[14:15], s[14:15], s[20:21]
	s_or_b64 exec, exec, s[16:17]
	v_mov_b32_e32 v7, s18
	s_and_saveexec_b64 s[16:17], s[14:15]
	s_cbranch_execnz .LBB31_1016
	s_branch .LBB31_1017
.LBB31_1287:
	s_mov_b64 s[4:5], -1
                                        ; implicit-def: $vgpr3
	s_mov_b64 s[12:13], 0
.LBB31_1288:
	s_and_b64 vcc, exec, s[14:15]
	s_cbranch_vccz .LBB31_1292
; %bb.1289:
	v_cmp_eq_u16_e64 s[4:5], s19, 44
	s_and_b64 vcc, exec, s[4:5]
	s_cbranch_vccz .LBB31_1291
; %bb.1290:
	global_load_ubyte v3, v[12:13], off
	s_movk_i32 s12, 0xff
	v_mov_b32_e32 v5, 0x7f800001
	v_mov_b32_e32 v7, 0x400000
	;; [unrolled: 1-line block ×3, first 2 shown]
	s_mov_b64 s[4:5], 0
	s_waitcnt vmcnt(0)
	v_lshlrev_b32_e32 v11, 23, v3
	v_cmp_ne_u32_e32 vcc, s12, v3
	v_cndmask_b32_e32 v5, v5, v11, vcc
	v_cmp_ne_u32_e32 vcc, 0, v3
	v_cndmask_b32_e32 v3, v7, v5, vcc
	v_add_u32_e32 v5, 0x7fff, v3
	v_lshrrev_b32_e32 v5, 16, v5
	v_cmp_o_f32_e32 vcc, v3, v3
	v_cndmask_b32_e32 v3, v9, v5, vcc
	s_mov_b64 s[12:13], -1
	s_branch .LBB31_1292
.LBB31_1291:
	s_mov_b64 s[4:5], -1
                                        ; implicit-def: $vgpr3
.LBB31_1292:
	s_mov_b64 s[14:15], 0
.LBB31_1293:
	s_and_b64 vcc, exec, s[14:15]
	s_cbranch_vccz .LBB31_1297
; %bb.1294:
	v_cmp_eq_u16_e64 s[4:5], s19, 29
	s_and_b64 vcc, exec, s[4:5]
	s_cbranch_vccz .LBB31_1296
; %bb.1295:
	global_load_dwordx2 v[14:15], v[12:13], off
	s_movk_i32 s12, 0x7fff
	s_mov_b64 s[4:5], 0
	s_mov_b64 s[14:15], 0
	s_waitcnt vmcnt(0)
	v_ffbh_u32_e32 v3, v15
	v_min_u32_e32 v3, 32, v3
	v_lshlrev_b64 v[14:15], v3, v[14:15]
	v_min_u32_e32 v5, 1, v14
	v_or_b32_e32 v5, v15, v5
	v_cvt_f32_u32_e32 v5, v5
	v_sub_u32_e32 v3, 32, v3
	v_ldexp_f32 v3, v5, v3
	v_bfe_u32 v5, v3, 16, 1
	v_add3_u32 v3, v3, v5, s12
	v_lshrrev_b32_e32 v3, 16, v3
	s_mov_b64 s[12:13], -1
	s_branch .LBB31_1298
.LBB31_1296:
	s_mov_b64 s[4:5], -1
                                        ; implicit-def: $vgpr3
.LBB31_1297:
	s_mov_b64 s[14:15], 0
.LBB31_1298:
	s_and_b64 vcc, exec, s[14:15]
	s_cbranch_vccz .LBB31_1316
; %bb.1299:
	v_cmp_lt_i16_e64 s[12:13], s19, 27
	s_and_b64 vcc, exec, s[12:13]
	s_cbranch_vccnz .LBB31_1302
; %bb.1300:
	v_cmp_gt_i16_e64 s[12:13], s19, 27
	s_and_b64 vcc, exec, s[12:13]
	s_cbranch_vccz .LBB31_1303
; %bb.1301:
	global_load_dword v3, v[12:13], off
	s_movk_i32 s12, 0x7fff
	s_waitcnt vmcnt(0)
	v_cvt_f32_u32_e32 v3, v3
	v_bfe_u32 v5, v3, 16, 1
	v_add3_u32 v3, v3, v5, s12
	v_lshrrev_b32_e32 v3, 16, v3
	s_mov_b64 s[12:13], 0
	s_branch .LBB31_1304
.LBB31_1302:
	s_mov_b64 s[12:13], -1
                                        ; implicit-def: $vgpr3
	s_branch .LBB31_1307
.LBB31_1303:
	s_mov_b64 s[12:13], -1
                                        ; implicit-def: $vgpr3
.LBB31_1304:
	s_andn2_b64 vcc, exec, s[12:13]
	s_cbranch_vccnz .LBB31_1306
; %bb.1305:
	global_load_ushort v3, v[12:13], off
	s_movk_i32 s12, 0x7fff
	s_waitcnt vmcnt(0)
	v_cvt_f32_u32_e32 v3, v3
	v_bfe_u32 v5, v3, 16, 1
	v_add3_u32 v3, v3, v5, s12
	v_lshrrev_b32_e32 v3, 16, v3
.LBB31_1306:
	s_mov_b64 s[12:13], 0
.LBB31_1307:
	s_andn2_b64 vcc, exec, s[12:13]
	s_cbranch_vccnz .LBB31_1315
; %bb.1308:
	global_load_ubyte v3, v[12:13], off
	s_movk_i32 s12, 0x7f
                                        ; implicit-def: $sgpr20
	s_waitcnt vmcnt(0)
	v_cmp_lt_i16_e32 vcc, s12, v3
	s_mov_b64 s[12:13], 0
	s_and_saveexec_b64 s[14:15], vcc
	s_xor_b64 s[14:15], exec, s[14:15]
	s_cbranch_execz .LBB31_1328
; %bb.1309:
	s_movk_i32 s12, 0x80
	v_cmp_eq_u16_e32 vcc, s12, v3
	s_mov_b64 s[12:13], -1
                                        ; implicit-def: $sgpr20
	s_and_saveexec_b64 s[16:17], vcc
; %bb.1310:
	s_mov_b32 s20, 0x7f800001
	s_xor_b64 s[12:13], exec, -1
; %bb.1311:
	s_or_b64 exec, exec, s[16:17]
	s_and_b64 s[12:13], s[12:13], exec
	s_or_saveexec_b64 s[14:15], s[14:15]
	v_mov_b32_e32 v5, s20
	s_xor_b64 exec, exec, s[14:15]
	s_cbranch_execnz .LBB31_1329
.LBB31_1312:
	s_or_b64 exec, exec, s[14:15]
	s_and_saveexec_b64 s[14:15], s[12:13]
	s_cbranch_execz .LBB31_1314
.LBB31_1313:
	v_lshlrev_b32_e32 v5, 24, v3
	v_and_b32_e32 v3, 0xffff, v3
	v_and_b32_e32 v7, 7, v3
	v_ffbh_u32_e32 v11, v7
	v_min_u32_e32 v11, 32, v11
	v_subrev_u32_e32 v14, 28, v11
	v_bfe_u32 v9, v3, 3, 4
	v_lshlrev_b32_e32 v3, v14, v3
	v_sub_u32_e32 v11, 29, v11
	v_and_b32_e32 v3, 7, v3
	v_cmp_eq_u32_e32 vcc, 0, v9
	v_cndmask_b32_e32 v9, v9, v11, vcc
	v_cndmask_b32_e32 v3, v7, v3, vcc
	v_mov_b32_e32 v7, 0x3b800000
	v_lshlrev_b32_e32 v3, 20, v3
	v_and_b32_e32 v5, 0x80000000, v5
	v_lshl_add_u32 v7, v9, 23, v7
	v_or3_b32 v5, v5, v7, v3
.LBB31_1314:
	s_or_b64 exec, exec, s[14:15]
	v_bfe_u32 v3, v5, 16, 1
	s_movk_i32 s12, 0x7fff
	v_add3_u32 v3, v5, v3, s12
	v_lshrrev_b32_e32 v3, 16, v3
	v_mov_b32_e32 v7, 0x7fc0
	v_cmp_o_f32_e32 vcc, v5, v5
	v_cndmask_b32_e32 v3, v7, v3, vcc
.LBB31_1315:
	s_mov_b64 s[12:13], -1
.LBB31_1316:
	s_branch .LBB31_1349
.LBB31_1317:
	v_cmp_gt_i16_e64 s[6:7], s19, 22
	s_and_b64 vcc, exec, s[6:7]
	s_cbranch_vccz .LBB31_1327
; %bb.1318:
	v_cmp_lt_i16_e64 s[6:7], s19, 24
	s_and_b64 vcc, exec, s[6:7]
	s_cbranch_vccnz .LBB31_1330
; %bb.1319:
	v_cmp_gt_i16_e64 s[6:7], s19, 24
	s_and_b64 vcc, exec, s[6:7]
	s_cbranch_vccz .LBB31_1331
; %bb.1320:
	global_load_ubyte v3, v[12:13], off
	s_movk_i32 s6, 0x7f
                                        ; implicit-def: $sgpr16
	s_waitcnt vmcnt(0)
	v_cmp_lt_i16_e32 vcc, s6, v3
	s_mov_b64 s[6:7], 0
	s_and_saveexec_b64 s[12:13], vcc
	s_xor_b64 s[12:13], exec, s[12:13]
	s_cbranch_execz .LBB31_1343
; %bb.1321:
	s_movk_i32 s6, 0x80
	v_cmp_eq_u16_e32 vcc, s6, v3
	s_mov_b64 s[6:7], -1
                                        ; implicit-def: $sgpr16
	s_and_saveexec_b64 s[14:15], vcc
; %bb.1322:
	s_mov_b32 s16, 0x7f800001
	s_xor_b64 s[6:7], exec, -1
; %bb.1323:
	s_or_b64 exec, exec, s[14:15]
	s_and_b64 s[6:7], s[6:7], exec
	s_or_saveexec_b64 s[12:13], s[12:13]
	v_mov_b32_e32 v5, s16
	s_xor_b64 exec, exec, s[12:13]
	s_cbranch_execnz .LBB31_1344
.LBB31_1324:
	s_or_b64 exec, exec, s[12:13]
	s_and_saveexec_b64 s[12:13], s[6:7]
	s_cbranch_execz .LBB31_1326
.LBB31_1325:
	v_lshlrev_b32_e32 v5, 24, v3
	v_and_b32_e32 v3, 0xffff, v3
	v_and_b32_e32 v7, 3, v3
	v_ffbh_u32_e32 v11, v7
	v_min_u32_e32 v11, 32, v11
	v_subrev_u32_e32 v14, 29, v11
	v_bfe_u32 v9, v3, 2, 5
	v_lshlrev_b32_e32 v3, v14, v3
	v_sub_u32_e32 v11, 30, v11
	v_and_b32_e32 v3, 3, v3
	v_cmp_eq_u32_e32 vcc, 0, v9
	v_cndmask_b32_e32 v9, v9, v11, vcc
	v_cndmask_b32_e32 v3, v7, v3, vcc
	v_mov_b32_e32 v7, 0x37800000
	v_lshlrev_b32_e32 v3, 21, v3
	v_and_b32_e32 v5, 0x80000000, v5
	v_lshl_add_u32 v7, v9, 23, v7
	v_or3_b32 v5, v5, v7, v3
.LBB31_1326:
	s_or_b64 exec, exec, s[12:13]
	v_bfe_u32 v3, v5, 16, 1
	s_movk_i32 s6, 0x7fff
	v_add3_u32 v3, v5, v3, s6
	v_lshrrev_b32_e32 v3, 16, v3
	v_mov_b32_e32 v7, 0x7fc0
	v_cmp_o_f32_e32 vcc, v5, v5
	v_cndmask_b32_e32 v3, v7, v3, vcc
	s_mov_b64 s[6:7], 0
	s_branch .LBB31_1332
.LBB31_1327:
	s_mov_b64 s[6:7], -1
                                        ; implicit-def: $vgpr3
	s_branch .LBB31_1338
.LBB31_1328:
	s_or_saveexec_b64 s[14:15], s[14:15]
	v_mov_b32_e32 v5, s20
	s_xor_b64 exec, exec, s[14:15]
	s_cbranch_execz .LBB31_1312
.LBB31_1329:
	v_cmp_ne_u16_e32 vcc, 0, v3
	s_andn2_b64 s[12:13], s[12:13], exec
	s_and_b64 s[16:17], vcc, exec
	v_mov_b32_e32 v5, 0
	s_or_b64 s[12:13], s[12:13], s[16:17]
	s_or_b64 exec, exec, s[14:15]
	s_and_saveexec_b64 s[14:15], s[12:13]
	s_cbranch_execnz .LBB31_1313
	s_branch .LBB31_1314
.LBB31_1330:
	s_mov_b64 s[6:7], -1
                                        ; implicit-def: $vgpr3
	s_branch .LBB31_1335
.LBB31_1331:
	s_mov_b64 s[6:7], -1
                                        ; implicit-def: $vgpr3
.LBB31_1332:
	s_and_b64 vcc, exec, s[6:7]
	s_cbranch_vccz .LBB31_1334
; %bb.1333:
	global_load_ubyte v3, v[12:13], off
	s_mov_b32 s6, 0x7f800000
	s_brev_b32 s7, 1
	s_movk_i32 s12, 0x7fff
	v_mov_b32_e32 v5, 0x7fc0
	s_waitcnt vmcnt(0)
	v_lshlrev_b32_e32 v3, 24, v3
	v_and_b32_e32 v7, 0x7f000000, v3
	v_ffbh_u32_e32 v9, v7
	v_min_u32_e32 v9, 32, v9
	v_sub_u32_e64 v9, v9, 4 clamp
	v_lshlrev_b32_e32 v14, v9, v7
	v_lshlrev_b32_e32 v9, 23, v9
	v_lshrrev_b32_e32 v14, 4, v14
	v_add_u32_e32 v11, 0x1000000, v7
	v_sub_u32_e32 v9, v14, v9
	v_ashrrev_i32_e32 v11, 8, v11
	v_add_u32_e32 v9, 0x3c000000, v9
	v_and_or_b32 v9, v11, s6, v9
	v_cmp_ne_u32_e32 vcc, 0, v7
	v_cndmask_b32_e32 v7, 0, v9, vcc
	v_and_or_b32 v3, v3, s7, v7
	v_bfe_u32 v7, v7, 16, 1
	v_add3_u32 v7, v3, v7, s12
	v_lshrrev_b32_e32 v7, 16, v7
	v_cmp_o_f32_e32 vcc, v3, v3
	v_cndmask_b32_e32 v3, v5, v7, vcc
.LBB31_1334:
	s_mov_b64 s[6:7], 0
.LBB31_1335:
	s_andn2_b64 vcc, exec, s[6:7]
	s_cbranch_vccnz .LBB31_1337
; %bb.1336:
	global_load_ubyte v3, v[12:13], off
	s_movk_i32 s6, 0x7f00
	s_brev_b32 s7, 16
	s_brev_b32 s12, 1
	s_movk_i32 s13, 0x7fff
	v_mov_b32_e32 v5, 0x7fc0
	s_waitcnt vmcnt(0)
	v_lshlrev_b16_e32 v7, 8, v3
	v_lshlrev_b32_e32 v3, 25, v3
	v_lshrrev_b32_e32 v9, 4, v3
	v_and_or_b32 v11, v7, s6, 0.5
	v_or_b32_e32 v9, 0x70000000, v9
	v_add_f32_e32 v11, -0.5, v11
	v_mul_f32_e32 v9, 0x7800000, v9
	v_cmp_gt_u32_e32 vcc, s7, v3
	v_bfe_i32 v7, v7, 0, 16
	v_cndmask_b32_e32 v3, v9, v11, vcc
	v_and_or_b32 v7, v7, s12, v3
	v_bfe_u32 v3, v3, 16, 1
	v_add3_u32 v3, v7, v3, s13
	v_lshrrev_b32_e32 v3, 16, v3
	v_cmp_o_f32_e32 vcc, v7, v7
	v_cndmask_b32_e32 v3, v5, v3, vcc
.LBB31_1337:
	s_mov_b64 s[6:7], 0
	s_mov_b64 s[12:13], -1
.LBB31_1338:
	s_andn2_b64 vcc, exec, s[6:7]
	s_mov_b64 s[6:7], 0
	s_cbranch_vccnz .LBB31_1349
; %bb.1339:
	v_cmp_gt_i16_e64 s[6:7], s19, 14
	s_and_b64 vcc, exec, s[6:7]
	s_cbranch_vccz .LBB31_1342
; %bb.1340:
	v_cmp_eq_u16_e64 s[4:5], s19, 15
	s_and_b64 vcc, exec, s[4:5]
	s_cbranch_vccz .LBB31_1345
; %bb.1341:
	global_load_ushort v3, v[12:13], off
	s_mov_b64 s[4:5], 0
	s_mov_b64 s[12:13], -1
	s_branch .LBB31_1346
.LBB31_1342:
	s_mov_b64 s[14:15], -1
                                        ; implicit-def: $vgpr3
	s_branch .LBB31_1347
.LBB31_1343:
	s_or_saveexec_b64 s[12:13], s[12:13]
	v_mov_b32_e32 v5, s16
	s_xor_b64 exec, exec, s[12:13]
	s_cbranch_execz .LBB31_1324
.LBB31_1344:
	v_cmp_ne_u16_e32 vcc, 0, v3
	s_andn2_b64 s[6:7], s[6:7], exec
	s_and_b64 s[14:15], vcc, exec
	v_mov_b32_e32 v5, 0
	s_or_b64 s[6:7], s[6:7], s[14:15]
	s_or_b64 exec, exec, s[12:13]
	s_and_saveexec_b64 s[12:13], s[6:7]
	s_cbranch_execnz .LBB31_1325
	s_branch .LBB31_1326
.LBB31_1345:
	s_mov_b64 s[4:5], -1
                                        ; implicit-def: $vgpr3
.LBB31_1346:
	s_mov_b64 s[14:15], 0
.LBB31_1347:
	s_mov_b64 s[6:7], 0
	s_and_b64 vcc, exec, s[14:15]
	s_cbranch_vccz .LBB31_1349
; %bb.1348:
	v_cmp_ne_u16_e64 s[4:5], s19, 11
	s_mov_b64 s[6:7], -1
                                        ; implicit-def: $vgpr3
.LBB31_1349:
	s_and_b64 vcc, exec, s[4:5]
	s_cbranch_vccnz .LBB31_1412
; %bb.1350:
	s_andn2_b64 vcc, exec, s[6:7]
	s_cbranch_vccnz .LBB31_1352
.LBB31_1351:
	global_load_ubyte v3, v[12:13], off
	s_mov_b64 s[12:13], -1
	s_waitcnt vmcnt(0)
	v_cmp_ne_u16_e32 vcc, 0, v3
	v_cndmask_b32_e64 v3, 0, 1.0, vcc
	v_lshrrev_b32_e32 v3, 16, v3
.LBB31_1352:
	s_branch .LBB31_1279
.LBB31_1353:
	v_cmp_lt_i16_e64 s[4:5], s19, 5
	s_and_b64 vcc, exec, s[4:5]
	s_cbranch_vccnz .LBB31_1358
; %bb.1354:
	v_cmp_lt_i16_e64 s[4:5], s19, 8
	s_and_b64 vcc, exec, s[4:5]
	s_cbranch_vccnz .LBB31_1359
; %bb.1355:
	;; [unrolled: 4-line block ×3, first 2 shown]
	v_cmp_gt_i16_e64 s[4:5], s19, 9
	s_and_b64 vcc, exec, s[4:5]
	s_cbranch_vccz .LBB31_1361
; %bb.1357:
	global_load_dwordx2 v[14:15], v[12:13], off
	s_movk_i32 s4, 0x7fff
	s_waitcnt vmcnt(1)
	v_mov_b32_e32 v3, 0x7fc0
	s_waitcnt vmcnt(0)
	v_cvt_f32_f64_e32 v5, v[14:15]
	v_bfe_u32 v7, v5, 16, 1
	v_add3_u32 v7, v5, v7, s4
	v_lshrrev_b32_e32 v7, 16, v7
	v_cmp_o_f32_e32 vcc, v5, v5
	v_cndmask_b32_e32 v3, v3, v7, vcc
	s_mov_b64 s[4:5], 0
	s_branch .LBB31_1362
.LBB31_1358:
                                        ; implicit-def: $vgpr3
	s_branch .LBB31_1380
.LBB31_1359:
	s_mov_b64 s[4:5], -1
                                        ; implicit-def: $vgpr3
	s_branch .LBB31_1368
.LBB31_1360:
	s_mov_b64 s[4:5], -1
                                        ; implicit-def: $vgpr3
	s_branch .LBB31_1365
.LBB31_1361:
	s_mov_b64 s[4:5], -1
                                        ; implicit-def: $vgpr3
.LBB31_1362:
	s_andn2_b64 vcc, exec, s[4:5]
	s_cbranch_vccnz .LBB31_1364
; %bb.1363:
	global_load_dword v3, v[12:13], off
	s_movk_i32 s4, 0x7fff
	v_mov_b32_e32 v5, 0x7fc0
	s_waitcnt vmcnt(0)
	v_bfe_u32 v7, v3, 16, 1
	v_add3_u32 v7, v3, v7, s4
	v_lshrrev_b32_e32 v7, 16, v7
	v_cmp_o_f32_e32 vcc, v3, v3
	v_cndmask_b32_e32 v3, v5, v7, vcc
.LBB31_1364:
	s_mov_b64 s[4:5], 0
.LBB31_1365:
	s_andn2_b64 vcc, exec, s[4:5]
	s_cbranch_vccnz .LBB31_1367
; %bb.1366:
	global_load_dword v3, v[12:13], off
	s_movk_i32 s4, 0x7fff
	v_mov_b32_e32 v7, 0x7fc0
	s_waitcnt vmcnt(0)
	v_cvt_f32_f16_e32 v5, v3
	v_cmp_o_f16_e32 vcc, v3, v3
	v_bfe_u32 v9, v5, 16, 1
	v_add3_u32 v5, v5, v9, s4
	v_lshrrev_b32_e32 v5, 16, v5
	v_cndmask_b32_e32 v3, v7, v5, vcc
.LBB31_1367:
	s_mov_b64 s[4:5], 0
.LBB31_1368:
	s_andn2_b64 vcc, exec, s[4:5]
	s_cbranch_vccnz .LBB31_1379
; %bb.1369:
	v_cmp_lt_i16_e64 s[4:5], s19, 6
	s_and_b64 vcc, exec, s[4:5]
	s_cbranch_vccnz .LBB31_1372
; %bb.1370:
	v_cmp_gt_i16_e64 s[4:5], s19, 6
	s_and_b64 vcc, exec, s[4:5]
	s_cbranch_vccz .LBB31_1373
; %bb.1371:
	global_load_dwordx2 v[14:15], v[12:13], off
	s_movk_i32 s4, 0x7fff
	s_waitcnt vmcnt(1)
	v_mov_b32_e32 v3, 0x7fc0
	s_waitcnt vmcnt(0)
	v_cvt_f32_f64_e32 v5, v[14:15]
	v_bfe_u32 v7, v5, 16, 1
	v_add3_u32 v7, v5, v7, s4
	v_lshrrev_b32_e32 v7, 16, v7
	v_cmp_o_f32_e32 vcc, v5, v5
	v_cndmask_b32_e32 v3, v3, v7, vcc
	s_mov_b64 s[4:5], 0
	s_branch .LBB31_1374
.LBB31_1372:
	s_mov_b64 s[4:5], -1
                                        ; implicit-def: $vgpr3
	s_branch .LBB31_1377
.LBB31_1373:
	s_mov_b64 s[4:5], -1
                                        ; implicit-def: $vgpr3
.LBB31_1374:
	s_andn2_b64 vcc, exec, s[4:5]
	s_cbranch_vccnz .LBB31_1376
; %bb.1375:
	global_load_dword v3, v[12:13], off
	s_movk_i32 s4, 0x7fff
	v_mov_b32_e32 v5, 0x7fc0
	s_waitcnt vmcnt(0)
	v_bfe_u32 v7, v3, 16, 1
	v_add3_u32 v7, v3, v7, s4
	v_lshrrev_b32_e32 v7, 16, v7
	v_cmp_o_f32_e32 vcc, v3, v3
	v_cndmask_b32_e32 v3, v5, v7, vcc
.LBB31_1376:
	s_mov_b64 s[4:5], 0
.LBB31_1377:
	s_andn2_b64 vcc, exec, s[4:5]
	s_cbranch_vccnz .LBB31_1379
; %bb.1378:
	global_load_ushort v3, v[12:13], off
	s_movk_i32 s4, 0x7fff
	v_mov_b32_e32 v7, 0x7fc0
	s_waitcnt vmcnt(0)
	v_cvt_f32_f16_e32 v5, v3
	v_cmp_o_f16_e32 vcc, v3, v3
	v_bfe_u32 v9, v5, 16, 1
	v_add3_u32 v5, v5, v9, s4
	v_lshrrev_b32_e32 v5, 16, v5
	v_cndmask_b32_e32 v3, v7, v5, vcc
.LBB31_1379:
	s_cbranch_execnz .LBB31_1399
.LBB31_1380:
	v_cmp_lt_i16_e64 s[4:5], s19, 2
	s_and_b64 vcc, exec, s[4:5]
	s_cbranch_vccnz .LBB31_1384
; %bb.1381:
	v_cmp_lt_i16_e64 s[4:5], s19, 3
	s_and_b64 vcc, exec, s[4:5]
	s_cbranch_vccnz .LBB31_1385
; %bb.1382:
	v_cmp_gt_i16_e64 s[4:5], s19, 3
	s_and_b64 vcc, exec, s[4:5]
	s_cbranch_vccz .LBB31_1386
; %bb.1383:
	global_load_dwordx2 v[14:15], v[12:13], off
	s_movk_i32 s4, 0x7fff
	s_waitcnt vmcnt(0)
	v_xor_b32_e32 v5, v14, v15
	v_ffbh_i32_e32 v3, v15
	v_ashrrev_i32_e32 v5, 31, v5
	v_add_u32_e32 v3, -1, v3
	v_add_u32_e32 v5, 32, v5
	v_min_u32_e32 v3, v3, v5
	v_lshlrev_b64 v[14:15], v3, v[14:15]
	v_min_u32_e32 v5, 1, v14
	v_or_b32_e32 v5, v15, v5
	v_cvt_f32_i32_e32 v5, v5
	v_sub_u32_e32 v3, 32, v3
	v_ldexp_f32 v3, v5, v3
	v_bfe_u32 v5, v3, 16, 1
	v_add3_u32 v3, v3, v5, s4
	v_lshrrev_b32_e32 v3, 16, v3
	s_mov_b64 s[4:5], 0
	s_branch .LBB31_1387
.LBB31_1384:
	s_mov_b64 s[4:5], -1
                                        ; implicit-def: $vgpr3
	s_branch .LBB31_1393
.LBB31_1385:
	s_mov_b64 s[4:5], -1
                                        ; implicit-def: $vgpr3
	s_branch .LBB31_1390
.LBB31_1386:
	s_mov_b64 s[4:5], -1
                                        ; implicit-def: $vgpr3
.LBB31_1387:
	s_andn2_b64 vcc, exec, s[4:5]
	s_cbranch_vccnz .LBB31_1389
; %bb.1388:
	global_load_dword v3, v[12:13], off
	s_movk_i32 s4, 0x7fff
	s_waitcnt vmcnt(0)
	v_cvt_f32_i32_e32 v3, v3
	v_bfe_u32 v5, v3, 16, 1
	v_add3_u32 v3, v3, v5, s4
	v_lshrrev_b32_e32 v3, 16, v3
.LBB31_1389:
	s_mov_b64 s[4:5], 0
.LBB31_1390:
	s_andn2_b64 vcc, exec, s[4:5]
	s_cbranch_vccnz .LBB31_1392
; %bb.1391:
	global_load_sshort v3, v[12:13], off
	s_movk_i32 s4, 0x7fff
	s_waitcnt vmcnt(0)
	v_cvt_f32_i32_e32 v3, v3
	v_bfe_u32 v5, v3, 16, 1
	v_add3_u32 v3, v3, v5, s4
	v_lshrrev_b32_e32 v3, 16, v3
.LBB31_1392:
	s_mov_b64 s[4:5], 0
.LBB31_1393:
	s_andn2_b64 vcc, exec, s[4:5]
	s_cbranch_vccnz .LBB31_1399
; %bb.1394:
	v_cmp_gt_i16_e64 s[4:5], s19, 0
	s_and_b64 vcc, exec, s[4:5]
	s_cbranch_vccz .LBB31_1396
; %bb.1395:
	global_load_sbyte v3, v[12:13], off
	s_movk_i32 s4, 0x7fff
	s_waitcnt vmcnt(0)
	v_cvt_f32_i32_e32 v3, v3
	v_bfe_u32 v5, v3, 16, 1
	v_add3_u32 v3, v3, v5, s4
	v_lshrrev_b32_e32 v3, 16, v3
	s_mov_b64 s[4:5], 0
	s_branch .LBB31_1397
.LBB31_1396:
	s_mov_b64 s[4:5], -1
                                        ; implicit-def: $vgpr3
.LBB31_1397:
	s_andn2_b64 vcc, exec, s[4:5]
	s_cbranch_vccnz .LBB31_1399
; %bb.1398:
	global_load_ubyte v3, v[12:13], off
	s_movk_i32 s4, 0x7fff
	s_waitcnt vmcnt(0)
	v_cvt_f32_ubyte0_e32 v3, v3
	v_bfe_u32 v5, v3, 16, 1
	v_add3_u32 v3, v3, v5, s4
	v_lshrrev_b32_e32 v3, 16, v3
.LBB31_1399:
.LBB31_1400:
	v_mov_b32_e32 v5, s11
	v_add_co_u32_e32 v10, vcc, s10, v10
	v_addc_co_u32_e32 v11, vcc, 0, v5, vcc
	s_and_b64 vcc, exec, s[0:1]
	s_cbranch_vccnz .LBB31_1407
; %bb.1401:
	v_cmp_gt_i16_e64 s[4:5], s19, 25
	s_mov_b64 s[6:7], 0
	s_and_b64 vcc, exec, s[4:5]
	s_cbranch_vccz .LBB31_1409
; %bb.1402:
	v_cmp_gt_i16_e64 s[4:5], s19, 28
	s_and_b64 vcc, exec, s[4:5]
	s_cbranch_vccz .LBB31_1410
; %bb.1403:
	v_cmp_gt_i16_e64 s[4:5], s19, 43
	;; [unrolled: 4-line block ×3, first 2 shown]
	s_and_b64 vcc, exec, s[4:5]
	s_cbranch_vccz .LBB31_1413
; %bb.1405:
	v_cmp_eq_u16_e64 s[4:5], s19, 46
	s_mov_b64 s[14:15], 0
	s_and_b64 vcc, exec, s[4:5]
	s_cbranch_vccz .LBB31_1414
; %bb.1406:
	global_load_dword v12, v[10:11], off
	s_mov_b64 s[4:5], 0
	s_mov_b64 s[12:13], -1
	s_branch .LBB31_1415
.LBB31_1407:
	s_mov_b64 s[12:13], 0
                                        ; implicit-def: $vgpr12
	s_cbranch_execnz .LBB31_1481
.LBB31_1408:
	s_andn2_b64 vcc, exec, s[12:13]
	s_cbranch_vccnz .LBB31_2112
	s_branch .LBB31_1529
.LBB31_1409:
	s_mov_b64 s[14:15], -1
	s_mov_b64 s[12:13], 0
	s_mov_b64 s[4:5], 0
                                        ; implicit-def: $vgpr12
	s_branch .LBB31_1444
.LBB31_1410:
	s_mov_b64 s[14:15], -1
	s_mov_b64 s[12:13], 0
	s_mov_b64 s[4:5], 0
                                        ; implicit-def: $vgpr12
	s_branch .LBB31_1425
.LBB31_1411:
	s_mov_b64 s[14:15], -1
	s_mov_b64 s[12:13], 0
	s_mov_b64 s[4:5], 0
                                        ; implicit-def: $vgpr12
	s_branch .LBB31_1420
.LBB31_1412:
	s_trap 2
	s_or_b64 s[2:3], s[2:3], exec
                                        ; implicit-def: $vgpr3
	s_cbranch_execz .LBB31_1351
	s_branch .LBB31_1352
.LBB31_1413:
	s_mov_b64 s[14:15], -1
	s_mov_b64 s[12:13], 0
	s_mov_b64 s[4:5], 0
                                        ; implicit-def: $vgpr12
	s_branch .LBB31_1415
.LBB31_1414:
	s_mov_b64 s[4:5], -1
                                        ; implicit-def: $vgpr12
	s_mov_b64 s[12:13], 0
.LBB31_1415:
	s_and_b64 vcc, exec, s[14:15]
	s_cbranch_vccz .LBB31_1419
; %bb.1416:
	v_cmp_eq_u16_e64 s[4:5], s19, 44
	s_and_b64 vcc, exec, s[4:5]
	s_cbranch_vccz .LBB31_1418
; %bb.1417:
	global_load_ubyte v5, v[10:11], off
	s_movk_i32 s12, 0xff
	v_mov_b32_e32 v7, 0x7f800001
	v_mov_b32_e32 v9, 0x400000
	s_waitcnt vmcnt(1)
	v_mov_b32_e32 v12, 0x7fc0
	s_mov_b64 s[4:5], 0
	s_waitcnt vmcnt(0)
	v_lshlrev_b32_e32 v13, 23, v5
	v_cmp_ne_u32_e32 vcc, s12, v5
	v_cndmask_b32_e32 v7, v7, v13, vcc
	v_cmp_ne_u32_e32 vcc, 0, v5
	v_cndmask_b32_e32 v5, v9, v7, vcc
	v_add_u32_e32 v7, 0x7fff, v5
	v_lshrrev_b32_e32 v7, 16, v7
	v_cmp_o_f32_e32 vcc, v5, v5
	v_cndmask_b32_e32 v12, v12, v7, vcc
	s_mov_b64 s[12:13], -1
	s_branch .LBB31_1419
.LBB31_1418:
	s_mov_b64 s[4:5], -1
                                        ; implicit-def: $vgpr12
.LBB31_1419:
	s_mov_b64 s[14:15], 0
.LBB31_1420:
	s_and_b64 vcc, exec, s[14:15]
	s_cbranch_vccz .LBB31_1424
; %bb.1421:
	v_cmp_eq_u16_e64 s[4:5], s19, 29
	s_and_b64 vcc, exec, s[4:5]
	s_cbranch_vccz .LBB31_1423
; %bb.1422:
	global_load_dwordx2 v[12:13], v[10:11], off
	s_movk_i32 s12, 0x7fff
	s_mov_b64 s[4:5], 0
	s_mov_b64 s[14:15], 0
	s_waitcnt vmcnt(0)
	v_ffbh_u32_e32 v5, v13
	v_min_u32_e32 v5, 32, v5
	v_lshlrev_b64 v[12:13], v5, v[12:13]
	v_min_u32_e32 v7, 1, v12
	v_or_b32_e32 v7, v13, v7
	v_cvt_f32_u32_e32 v7, v7
	v_sub_u32_e32 v5, 32, v5
	v_ldexp_f32 v5, v7, v5
	v_bfe_u32 v7, v5, 16, 1
	v_add3_u32 v5, v5, v7, s12
	v_lshrrev_b32_e32 v12, 16, v5
	s_mov_b64 s[12:13], -1
	s_branch .LBB31_1425
.LBB31_1423:
	s_mov_b64 s[4:5], -1
                                        ; implicit-def: $vgpr12
.LBB31_1424:
	s_mov_b64 s[14:15], 0
.LBB31_1425:
	s_and_b64 vcc, exec, s[14:15]
	s_cbranch_vccz .LBB31_1443
; %bb.1426:
	v_cmp_lt_i16_e64 s[12:13], s19, 27
	s_and_b64 vcc, exec, s[12:13]
	s_cbranch_vccnz .LBB31_1429
; %bb.1427:
	v_cmp_gt_i16_e64 s[12:13], s19, 27
	s_and_b64 vcc, exec, s[12:13]
	s_cbranch_vccz .LBB31_1430
; %bb.1428:
	global_load_dword v5, v[10:11], off
	s_movk_i32 s12, 0x7fff
	s_waitcnt vmcnt(0)
	v_cvt_f32_u32_e32 v5, v5
	v_bfe_u32 v7, v5, 16, 1
	v_add3_u32 v5, v5, v7, s12
	v_lshrrev_b32_e32 v12, 16, v5
	s_mov_b64 s[12:13], 0
	s_branch .LBB31_1431
.LBB31_1429:
	s_mov_b64 s[12:13], -1
                                        ; implicit-def: $vgpr12
	s_branch .LBB31_1434
.LBB31_1430:
	s_mov_b64 s[12:13], -1
                                        ; implicit-def: $vgpr12
.LBB31_1431:
	s_andn2_b64 vcc, exec, s[12:13]
	s_cbranch_vccnz .LBB31_1433
; %bb.1432:
	global_load_ushort v5, v[10:11], off
	s_movk_i32 s12, 0x7fff
	s_waitcnt vmcnt(0)
	v_cvt_f32_u32_e32 v5, v5
	v_bfe_u32 v7, v5, 16, 1
	v_add3_u32 v5, v5, v7, s12
	v_lshrrev_b32_e32 v12, 16, v5
.LBB31_1433:
	s_mov_b64 s[12:13], 0
.LBB31_1434:
	s_andn2_b64 vcc, exec, s[12:13]
	s_cbranch_vccnz .LBB31_1442
; %bb.1435:
	global_load_ubyte v5, v[10:11], off
	s_movk_i32 s12, 0x7f
                                        ; implicit-def: $sgpr20
	s_waitcnt vmcnt(0)
	v_cmp_lt_i16_e32 vcc, s12, v5
	s_mov_b64 s[12:13], 0
	s_and_saveexec_b64 s[14:15], vcc
	s_xor_b64 s[14:15], exec, s[14:15]
	s_cbranch_execz .LBB31_1456
; %bb.1436:
	s_movk_i32 s12, 0x80
	v_cmp_eq_u16_e32 vcc, s12, v5
	s_mov_b64 s[12:13], -1
                                        ; implicit-def: $sgpr20
	s_and_saveexec_b64 s[16:17], vcc
; %bb.1437:
	s_mov_b32 s20, 0x7f800001
	s_xor_b64 s[12:13], exec, -1
; %bb.1438:
	s_or_b64 exec, exec, s[16:17]
	s_and_b64 s[12:13], s[12:13], exec
	s_or_saveexec_b64 s[14:15], s[14:15]
	v_mov_b32_e32 v7, s20
	s_xor_b64 exec, exec, s[14:15]
	s_cbranch_execnz .LBB31_1457
.LBB31_1439:
	s_or_b64 exec, exec, s[14:15]
	s_and_saveexec_b64 s[14:15], s[12:13]
	s_cbranch_execz .LBB31_1441
.LBB31_1440:
	v_lshlrev_b32_e32 v7, 24, v5
	v_and_b32_e32 v5, 0xffff, v5
	v_and_b32_e32 v9, 7, v5
	v_ffbh_u32_e32 v13, v9
	v_min_u32_e32 v13, 32, v13
	v_subrev_u32_e32 v14, 28, v13
	v_bfe_u32 v12, v5, 3, 4
	v_lshlrev_b32_e32 v5, v14, v5
	v_sub_u32_e32 v13, 29, v13
	v_and_b32_e32 v5, 7, v5
	v_cmp_eq_u32_e32 vcc, 0, v12
	v_cndmask_b32_e32 v12, v12, v13, vcc
	v_cndmask_b32_e32 v5, v9, v5, vcc
	v_mov_b32_e32 v9, 0x3b800000
	v_lshlrev_b32_e32 v5, 20, v5
	v_and_b32_e32 v7, 0x80000000, v7
	v_lshl_add_u32 v9, v12, 23, v9
	v_or3_b32 v7, v7, v9, v5
.LBB31_1441:
	s_or_b64 exec, exec, s[14:15]
	v_bfe_u32 v5, v7, 16, 1
	s_movk_i32 s12, 0x7fff
	v_add3_u32 v5, v7, v5, s12
	v_lshrrev_b32_e32 v5, 16, v5
	v_mov_b32_e32 v9, 0x7fc0
	v_cmp_o_f32_e32 vcc, v7, v7
	v_cndmask_b32_e32 v12, v9, v5, vcc
.LBB31_1442:
	s_mov_b64 s[12:13], -1
.LBB31_1443:
	s_mov_b64 s[14:15], 0
.LBB31_1444:
	s_and_b64 vcc, exec, s[14:15]
	s_cbranch_vccz .LBB31_1477
; %bb.1445:
	v_cmp_gt_i16_e64 s[6:7], s19, 22
	s_and_b64 vcc, exec, s[6:7]
	s_cbranch_vccz .LBB31_1455
; %bb.1446:
	v_cmp_lt_i16_e64 s[6:7], s19, 24
	s_and_b64 vcc, exec, s[6:7]
	s_cbranch_vccnz .LBB31_1458
; %bb.1447:
	v_cmp_gt_i16_e64 s[6:7], s19, 24
	s_and_b64 vcc, exec, s[6:7]
	s_cbranch_vccz .LBB31_1459
; %bb.1448:
	global_load_ubyte v5, v[10:11], off
	s_movk_i32 s6, 0x7f
                                        ; implicit-def: $sgpr16
	s_waitcnt vmcnt(0)
	v_cmp_lt_i16_e32 vcc, s6, v5
	s_mov_b64 s[6:7], 0
	s_and_saveexec_b64 s[12:13], vcc
	s_xor_b64 s[12:13], exec, s[12:13]
	s_cbranch_execz .LBB31_1471
; %bb.1449:
	s_movk_i32 s6, 0x80
	v_cmp_eq_u16_e32 vcc, s6, v5
	s_mov_b64 s[6:7], -1
                                        ; implicit-def: $sgpr16
	s_and_saveexec_b64 s[14:15], vcc
; %bb.1450:
	s_mov_b32 s16, 0x7f800001
	s_xor_b64 s[6:7], exec, -1
; %bb.1451:
	s_or_b64 exec, exec, s[14:15]
	s_and_b64 s[6:7], s[6:7], exec
	s_or_saveexec_b64 s[12:13], s[12:13]
	v_mov_b32_e32 v7, s16
	s_xor_b64 exec, exec, s[12:13]
	s_cbranch_execnz .LBB31_1472
.LBB31_1452:
	s_or_b64 exec, exec, s[12:13]
	s_and_saveexec_b64 s[12:13], s[6:7]
	s_cbranch_execz .LBB31_1454
.LBB31_1453:
	v_lshlrev_b32_e32 v7, 24, v5
	v_and_b32_e32 v5, 0xffff, v5
	v_and_b32_e32 v9, 3, v5
	v_ffbh_u32_e32 v13, v9
	v_min_u32_e32 v13, 32, v13
	v_subrev_u32_e32 v14, 29, v13
	v_bfe_u32 v12, v5, 2, 5
	v_lshlrev_b32_e32 v5, v14, v5
	v_sub_u32_e32 v13, 30, v13
	v_and_b32_e32 v5, 3, v5
	v_cmp_eq_u32_e32 vcc, 0, v12
	v_cndmask_b32_e32 v12, v12, v13, vcc
	v_cndmask_b32_e32 v5, v9, v5, vcc
	v_mov_b32_e32 v9, 0x37800000
	v_lshlrev_b32_e32 v5, 21, v5
	v_and_b32_e32 v7, 0x80000000, v7
	v_lshl_add_u32 v9, v12, 23, v9
	v_or3_b32 v7, v7, v9, v5
.LBB31_1454:
	s_or_b64 exec, exec, s[12:13]
	v_bfe_u32 v5, v7, 16, 1
	s_movk_i32 s6, 0x7fff
	v_add3_u32 v5, v7, v5, s6
	v_lshrrev_b32_e32 v5, 16, v5
	v_mov_b32_e32 v9, 0x7fc0
	v_cmp_o_f32_e32 vcc, v7, v7
	v_cndmask_b32_e32 v12, v9, v5, vcc
	s_mov_b64 s[6:7], 0
	s_branch .LBB31_1460
.LBB31_1455:
	s_mov_b64 s[6:7], -1
                                        ; implicit-def: $vgpr12
	s_branch .LBB31_1466
.LBB31_1456:
	s_or_saveexec_b64 s[14:15], s[14:15]
	v_mov_b32_e32 v7, s20
	s_xor_b64 exec, exec, s[14:15]
	s_cbranch_execz .LBB31_1439
.LBB31_1457:
	v_cmp_ne_u16_e32 vcc, 0, v5
	s_andn2_b64 s[12:13], s[12:13], exec
	s_and_b64 s[16:17], vcc, exec
	v_mov_b32_e32 v7, 0
	s_or_b64 s[12:13], s[12:13], s[16:17]
	s_or_b64 exec, exec, s[14:15]
	s_and_saveexec_b64 s[14:15], s[12:13]
	s_cbranch_execnz .LBB31_1440
	s_branch .LBB31_1441
.LBB31_1458:
	s_mov_b64 s[6:7], -1
                                        ; implicit-def: $vgpr12
	s_branch .LBB31_1463
.LBB31_1459:
	s_mov_b64 s[6:7], -1
                                        ; implicit-def: $vgpr12
.LBB31_1460:
	s_and_b64 vcc, exec, s[6:7]
	s_cbranch_vccz .LBB31_1462
; %bb.1461:
	global_load_ubyte v5, v[10:11], off
	s_mov_b32 s6, 0x7f800000
	s_brev_b32 s7, 1
	s_movk_i32 s12, 0x7fff
	v_mov_b32_e32 v7, 0x7fc0
	s_waitcnt vmcnt(0)
	v_lshlrev_b32_e32 v5, 24, v5
	v_and_b32_e32 v9, 0x7f000000, v5
	v_ffbh_u32_e32 v12, v9
	v_min_u32_e32 v12, 32, v12
	v_sub_u32_e64 v12, v12, 4 clamp
	v_lshlrev_b32_e32 v14, v12, v9
	v_lshlrev_b32_e32 v12, 23, v12
	v_lshrrev_b32_e32 v14, 4, v14
	v_add_u32_e32 v13, 0x1000000, v9
	v_sub_u32_e32 v12, v14, v12
	v_ashrrev_i32_e32 v13, 8, v13
	v_add_u32_e32 v12, 0x3c000000, v12
	v_and_or_b32 v12, v13, s6, v12
	v_cmp_ne_u32_e32 vcc, 0, v9
	v_cndmask_b32_e32 v9, 0, v12, vcc
	v_and_or_b32 v5, v5, s7, v9
	v_bfe_u32 v9, v9, 16, 1
	v_add3_u32 v9, v5, v9, s12
	v_lshrrev_b32_e32 v9, 16, v9
	v_cmp_o_f32_e32 vcc, v5, v5
	v_cndmask_b32_e32 v12, v7, v9, vcc
.LBB31_1462:
	s_mov_b64 s[6:7], 0
.LBB31_1463:
	s_andn2_b64 vcc, exec, s[6:7]
	s_cbranch_vccnz .LBB31_1465
; %bb.1464:
	global_load_ubyte v5, v[10:11], off
	s_movk_i32 s6, 0x7f00
	s_brev_b32 s7, 16
	s_brev_b32 s12, 1
	s_movk_i32 s13, 0x7fff
	v_mov_b32_e32 v7, 0x7fc0
	s_waitcnt vmcnt(0)
	v_lshlrev_b16_e32 v9, 8, v5
	v_lshlrev_b32_e32 v5, 25, v5
	v_lshrrev_b32_e32 v12, 4, v5
	v_and_or_b32 v13, v9, s6, 0.5
	v_or_b32_e32 v12, 0x70000000, v12
	v_add_f32_e32 v13, -0.5, v13
	v_mul_f32_e32 v12, 0x7800000, v12
	v_cmp_gt_u32_e32 vcc, s7, v5
	v_bfe_i32 v9, v9, 0, 16
	v_cndmask_b32_e32 v5, v12, v13, vcc
	v_and_or_b32 v9, v9, s12, v5
	v_bfe_u32 v5, v5, 16, 1
	v_add3_u32 v5, v9, v5, s13
	v_lshrrev_b32_e32 v5, 16, v5
	v_cmp_o_f32_e32 vcc, v9, v9
	v_cndmask_b32_e32 v12, v7, v5, vcc
.LBB31_1465:
	s_mov_b64 s[6:7], 0
	s_mov_b64 s[12:13], -1
.LBB31_1466:
	s_andn2_b64 vcc, exec, s[6:7]
	s_mov_b64 s[6:7], 0
	s_cbranch_vccnz .LBB31_1477
; %bb.1467:
	v_cmp_gt_i16_e64 s[6:7], s19, 14
	s_and_b64 vcc, exec, s[6:7]
	s_cbranch_vccz .LBB31_1470
; %bb.1468:
	v_cmp_eq_u16_e64 s[4:5], s19, 15
	s_and_b64 vcc, exec, s[4:5]
	s_cbranch_vccz .LBB31_1473
; %bb.1469:
	global_load_ushort v12, v[10:11], off
	s_mov_b64 s[4:5], 0
	s_mov_b64 s[12:13], -1
	s_branch .LBB31_1474
.LBB31_1470:
	s_mov_b64 s[14:15], -1
                                        ; implicit-def: $vgpr12
	s_branch .LBB31_1475
.LBB31_1471:
	s_or_saveexec_b64 s[12:13], s[12:13]
	v_mov_b32_e32 v7, s16
	s_xor_b64 exec, exec, s[12:13]
	s_cbranch_execz .LBB31_1452
.LBB31_1472:
	v_cmp_ne_u16_e32 vcc, 0, v5
	s_andn2_b64 s[6:7], s[6:7], exec
	s_and_b64 s[14:15], vcc, exec
	v_mov_b32_e32 v7, 0
	s_or_b64 s[6:7], s[6:7], s[14:15]
	s_or_b64 exec, exec, s[12:13]
	s_and_saveexec_b64 s[12:13], s[6:7]
	s_cbranch_execnz .LBB31_1453
	s_branch .LBB31_1454
.LBB31_1473:
	s_mov_b64 s[4:5], -1
                                        ; implicit-def: $vgpr12
.LBB31_1474:
	s_mov_b64 s[14:15], 0
.LBB31_1475:
	s_mov_b64 s[6:7], 0
	s_and_b64 vcc, exec, s[14:15]
	s_cbranch_vccz .LBB31_1477
; %bb.1476:
	v_cmp_ne_u16_e64 s[4:5], s19, 11
	s_mov_b64 s[6:7], -1
                                        ; implicit-def: $vgpr12
.LBB31_1477:
	s_and_b64 vcc, exec, s[4:5]
	s_cbranch_vccnz .LBB31_1540
; %bb.1478:
	s_andn2_b64 vcc, exec, s[6:7]
	s_cbranch_vccnz .LBB31_1480
.LBB31_1479:
	global_load_ubyte v5, v[10:11], off
	s_mov_b64 s[12:13], -1
	s_waitcnt vmcnt(0)
	v_cmp_ne_u16_e32 vcc, 0, v5
	v_cndmask_b32_e64 v5, 0, 1.0, vcc
	v_lshrrev_b32_e32 v12, 16, v5
.LBB31_1480:
	s_branch .LBB31_1408
.LBB31_1481:
	v_cmp_lt_i16_e64 s[4:5], s19, 5
	s_and_b64 vcc, exec, s[4:5]
	s_cbranch_vccnz .LBB31_1486
; %bb.1482:
	v_cmp_lt_i16_e64 s[4:5], s19, 8
	s_and_b64 vcc, exec, s[4:5]
	s_cbranch_vccnz .LBB31_1487
; %bb.1483:
	;; [unrolled: 4-line block ×3, first 2 shown]
	v_cmp_gt_i16_e64 s[4:5], s19, 9
	s_and_b64 vcc, exec, s[4:5]
	s_cbranch_vccz .LBB31_1489
; %bb.1485:
	global_load_dwordx2 v[12:13], v[10:11], off
	s_movk_i32 s4, 0x7fff
	v_mov_b32_e32 v5, 0x7fc0
	s_waitcnt vmcnt(0)
	v_cvt_f32_f64_e32 v7, v[12:13]
	v_bfe_u32 v9, v7, 16, 1
	v_add3_u32 v9, v7, v9, s4
	v_lshrrev_b32_e32 v9, 16, v9
	v_cmp_o_f32_e32 vcc, v7, v7
	v_cndmask_b32_e32 v12, v5, v9, vcc
	s_mov_b64 s[4:5], 0
	s_branch .LBB31_1490
.LBB31_1486:
	s_mov_b64 s[4:5], -1
                                        ; implicit-def: $vgpr12
	s_branch .LBB31_1508
.LBB31_1487:
	s_mov_b64 s[4:5], -1
                                        ; implicit-def: $vgpr12
	s_branch .LBB31_1496
.LBB31_1488:
	s_mov_b64 s[4:5], -1
                                        ; implicit-def: $vgpr12
	s_branch .LBB31_1493
.LBB31_1489:
	s_mov_b64 s[4:5], -1
                                        ; implicit-def: $vgpr12
.LBB31_1490:
	s_andn2_b64 vcc, exec, s[4:5]
	s_cbranch_vccnz .LBB31_1492
; %bb.1491:
	global_load_dword v5, v[10:11], off
	s_movk_i32 s4, 0x7fff
	v_mov_b32_e32 v7, 0x7fc0
	s_waitcnt vmcnt(0)
	v_bfe_u32 v9, v5, 16, 1
	v_add3_u32 v9, v5, v9, s4
	v_lshrrev_b32_e32 v9, 16, v9
	v_cmp_o_f32_e32 vcc, v5, v5
	v_cndmask_b32_e32 v12, v7, v9, vcc
.LBB31_1492:
	s_mov_b64 s[4:5], 0
.LBB31_1493:
	s_andn2_b64 vcc, exec, s[4:5]
	s_cbranch_vccnz .LBB31_1495
; %bb.1494:
	global_load_dword v5, v[10:11], off
	s_movk_i32 s4, 0x7fff
	v_mov_b32_e32 v9, 0x7fc0
	s_waitcnt vmcnt(0)
	v_cvt_f32_f16_e32 v7, v5
	v_cmp_o_f16_e32 vcc, v5, v5
	v_bfe_u32 v12, v7, 16, 1
	v_add3_u32 v7, v7, v12, s4
	v_lshrrev_b32_e32 v7, 16, v7
	v_cndmask_b32_e32 v12, v9, v7, vcc
.LBB31_1495:
	s_mov_b64 s[4:5], 0
.LBB31_1496:
	s_andn2_b64 vcc, exec, s[4:5]
	s_cbranch_vccnz .LBB31_1507
; %bb.1497:
	v_cmp_lt_i16_e64 s[4:5], s19, 6
	s_and_b64 vcc, exec, s[4:5]
	s_cbranch_vccnz .LBB31_1500
; %bb.1498:
	v_cmp_gt_i16_e64 s[4:5], s19, 6
	s_and_b64 vcc, exec, s[4:5]
	s_cbranch_vccz .LBB31_1501
; %bb.1499:
	global_load_dwordx2 v[12:13], v[10:11], off
	s_movk_i32 s4, 0x7fff
	v_mov_b32_e32 v5, 0x7fc0
	s_waitcnt vmcnt(0)
	v_cvt_f32_f64_e32 v7, v[12:13]
	v_bfe_u32 v9, v7, 16, 1
	v_add3_u32 v9, v7, v9, s4
	v_lshrrev_b32_e32 v9, 16, v9
	v_cmp_o_f32_e32 vcc, v7, v7
	v_cndmask_b32_e32 v12, v5, v9, vcc
	s_mov_b64 s[4:5], 0
	s_branch .LBB31_1502
.LBB31_1500:
	s_mov_b64 s[4:5], -1
                                        ; implicit-def: $vgpr12
	s_branch .LBB31_1505
.LBB31_1501:
	s_mov_b64 s[4:5], -1
                                        ; implicit-def: $vgpr12
.LBB31_1502:
	s_andn2_b64 vcc, exec, s[4:5]
	s_cbranch_vccnz .LBB31_1504
; %bb.1503:
	global_load_dword v5, v[10:11], off
	s_movk_i32 s4, 0x7fff
	v_mov_b32_e32 v7, 0x7fc0
	s_waitcnt vmcnt(0)
	v_bfe_u32 v9, v5, 16, 1
	v_add3_u32 v9, v5, v9, s4
	v_lshrrev_b32_e32 v9, 16, v9
	v_cmp_o_f32_e32 vcc, v5, v5
	v_cndmask_b32_e32 v12, v7, v9, vcc
.LBB31_1504:
	s_mov_b64 s[4:5], 0
.LBB31_1505:
	s_andn2_b64 vcc, exec, s[4:5]
	s_cbranch_vccnz .LBB31_1507
; %bb.1506:
	global_load_ushort v5, v[10:11], off
	s_movk_i32 s4, 0x7fff
	v_mov_b32_e32 v9, 0x7fc0
	s_waitcnt vmcnt(0)
	v_cvt_f32_f16_e32 v7, v5
	v_cmp_o_f16_e32 vcc, v5, v5
	v_bfe_u32 v12, v7, 16, 1
	v_add3_u32 v7, v7, v12, s4
	v_lshrrev_b32_e32 v7, 16, v7
	v_cndmask_b32_e32 v12, v9, v7, vcc
.LBB31_1507:
	s_mov_b64 s[4:5], 0
.LBB31_1508:
	s_andn2_b64 vcc, exec, s[4:5]
	s_cbranch_vccnz .LBB31_1528
; %bb.1509:
	v_cmp_lt_i16_e64 s[4:5], s19, 2
	s_and_b64 vcc, exec, s[4:5]
	s_cbranch_vccnz .LBB31_1513
; %bb.1510:
	v_cmp_lt_i16_e64 s[4:5], s19, 3
	s_and_b64 vcc, exec, s[4:5]
	s_cbranch_vccnz .LBB31_1514
; %bb.1511:
	v_cmp_gt_i16_e64 s[4:5], s19, 3
	s_and_b64 vcc, exec, s[4:5]
	s_cbranch_vccz .LBB31_1515
; %bb.1512:
	global_load_dwordx2 v[12:13], v[10:11], off
	s_movk_i32 s4, 0x7fff
	s_waitcnt vmcnt(0)
	v_xor_b32_e32 v7, v12, v13
	v_ffbh_i32_e32 v5, v13
	v_ashrrev_i32_e32 v7, 31, v7
	v_add_u32_e32 v5, -1, v5
	v_add_u32_e32 v7, 32, v7
	v_min_u32_e32 v5, v5, v7
	v_lshlrev_b64 v[12:13], v5, v[12:13]
	v_min_u32_e32 v7, 1, v12
	v_or_b32_e32 v7, v13, v7
	v_cvt_f32_i32_e32 v7, v7
	v_sub_u32_e32 v5, 32, v5
	v_ldexp_f32 v5, v7, v5
	v_bfe_u32 v7, v5, 16, 1
	v_add3_u32 v5, v5, v7, s4
	v_lshrrev_b32_e32 v12, 16, v5
	s_mov_b64 s[4:5], 0
	s_branch .LBB31_1516
.LBB31_1513:
	s_mov_b64 s[4:5], -1
                                        ; implicit-def: $vgpr12
	s_branch .LBB31_1522
.LBB31_1514:
	s_mov_b64 s[4:5], -1
                                        ; implicit-def: $vgpr12
	s_branch .LBB31_1519
.LBB31_1515:
	s_mov_b64 s[4:5], -1
                                        ; implicit-def: $vgpr12
.LBB31_1516:
	s_andn2_b64 vcc, exec, s[4:5]
	s_cbranch_vccnz .LBB31_1518
; %bb.1517:
	global_load_dword v5, v[10:11], off
	s_movk_i32 s4, 0x7fff
	s_waitcnt vmcnt(0)
	v_cvt_f32_i32_e32 v5, v5
	v_bfe_u32 v7, v5, 16, 1
	v_add3_u32 v5, v5, v7, s4
	v_lshrrev_b32_e32 v12, 16, v5
.LBB31_1518:
	s_mov_b64 s[4:5], 0
.LBB31_1519:
	s_andn2_b64 vcc, exec, s[4:5]
	s_cbranch_vccnz .LBB31_1521
; %bb.1520:
	global_load_sshort v5, v[10:11], off
	s_movk_i32 s4, 0x7fff
	s_waitcnt vmcnt(0)
	v_cvt_f32_i32_e32 v5, v5
	v_bfe_u32 v7, v5, 16, 1
	v_add3_u32 v5, v5, v7, s4
	v_lshrrev_b32_e32 v12, 16, v5
.LBB31_1521:
	s_mov_b64 s[4:5], 0
.LBB31_1522:
	s_andn2_b64 vcc, exec, s[4:5]
	s_cbranch_vccnz .LBB31_1528
; %bb.1523:
	v_cmp_gt_i16_e64 s[4:5], s19, 0
	s_and_b64 vcc, exec, s[4:5]
	s_cbranch_vccz .LBB31_1525
; %bb.1524:
	global_load_sbyte v5, v[10:11], off
	s_movk_i32 s4, 0x7fff
	s_waitcnt vmcnt(0)
	v_cvt_f32_i32_e32 v5, v5
	v_bfe_u32 v7, v5, 16, 1
	v_add3_u32 v5, v5, v7, s4
	v_lshrrev_b32_e32 v12, 16, v5
	s_mov_b64 s[4:5], 0
	s_branch .LBB31_1526
.LBB31_1525:
	s_mov_b64 s[4:5], -1
                                        ; implicit-def: $vgpr12
.LBB31_1526:
	s_andn2_b64 vcc, exec, s[4:5]
	s_cbranch_vccnz .LBB31_1528
; %bb.1527:
	global_load_ubyte v5, v[10:11], off
	s_movk_i32 s4, 0x7fff
	s_waitcnt vmcnt(0)
	v_cvt_f32_ubyte0_e32 v5, v5
	v_bfe_u32 v7, v5, 16, 1
	v_add3_u32 v5, v5, v7, s4
	v_lshrrev_b32_e32 v12, 16, v5
.LBB31_1528:
.LBB31_1529:
	v_mov_b32_e32 v5, s11
	v_add_co_u32_e32 v8, vcc, s10, v8
	v_addc_co_u32_e32 v9, vcc, 0, v5, vcc
	s_and_b64 vcc, exec, s[0:1]
	s_cbranch_vccnz .LBB31_1536
; %bb.1530:
	v_cmp_gt_i16_e64 s[0:1], s19, 25
	s_mov_b64 s[4:5], 0
	s_and_b64 vcc, exec, s[0:1]
	s_cbranch_vccz .LBB31_1537
; %bb.1531:
	v_cmp_gt_i16_e64 s[0:1], s19, 28
	s_and_b64 vcc, exec, s[0:1]
	s_cbranch_vccz .LBB31_1538
; %bb.1532:
	v_cmp_gt_i16_e64 s[0:1], s19, 43
	;; [unrolled: 4-line block ×3, first 2 shown]
	s_and_b64 vcc, exec, s[0:1]
	s_cbranch_vccz .LBB31_1541
; %bb.1534:
	v_cmp_eq_u16_e64 s[0:1], s19, 46
	s_mov_b64 s[10:11], 0
	s_and_b64 vcc, exec, s[0:1]
	s_cbranch_vccz .LBB31_1542
; %bb.1535:
	global_load_dword v10, v[8:9], off
	s_mov_b64 s[0:1], 0
	s_mov_b64 s[6:7], -1
	s_branch .LBB31_1543
.LBB31_1536:
	s_mov_b64 s[0:1], -1
	s_mov_b64 s[6:7], 0
                                        ; implicit-def: $vgpr10
	s_branch .LBB31_1609
.LBB31_1537:
	s_mov_b64 s[10:11], -1
	s_mov_b64 s[6:7], 0
	s_mov_b64 s[0:1], 0
                                        ; implicit-def: $vgpr10
	s_branch .LBB31_1572
.LBB31_1538:
	s_mov_b64 s[10:11], -1
	s_mov_b64 s[6:7], 0
	s_mov_b64 s[0:1], 0
                                        ; implicit-def: $vgpr10
	s_branch .LBB31_1553
.LBB31_1539:
	s_mov_b64 s[10:11], -1
	s_mov_b64 s[6:7], 0
	s_mov_b64 s[0:1], 0
                                        ; implicit-def: $vgpr10
	s_branch .LBB31_1548
.LBB31_1540:
	s_trap 2
	s_or_b64 s[2:3], s[2:3], exec
                                        ; implicit-def: $vgpr12
	s_cbranch_execz .LBB31_1479
	s_branch .LBB31_1480
.LBB31_1541:
	s_mov_b64 s[10:11], -1
	s_mov_b64 s[6:7], 0
	s_mov_b64 s[0:1], 0
                                        ; implicit-def: $vgpr10
	s_branch .LBB31_1543
.LBB31_1542:
	s_mov_b64 s[0:1], -1
                                        ; implicit-def: $vgpr10
	s_mov_b64 s[6:7], 0
.LBB31_1543:
	s_and_b64 vcc, exec, s[10:11]
	s_cbranch_vccz .LBB31_1547
; %bb.1544:
	v_cmp_eq_u16_e64 s[0:1], s19, 44
	s_and_b64 vcc, exec, s[0:1]
	s_cbranch_vccz .LBB31_1546
; %bb.1545:
	global_load_ubyte v5, v[8:9], off
	s_movk_i32 s6, 0xff
	v_mov_b32_e32 v7, 0x7f800001
	s_waitcnt vmcnt(1)
	v_mov_b32_e32 v10, 0x400000
	v_mov_b32_e32 v11, 0x7fc0
	s_mov_b64 s[0:1], 0
	s_waitcnt vmcnt(0)
	v_lshlrev_b32_e32 v13, 23, v5
	v_cmp_ne_u32_e32 vcc, s6, v5
	v_cndmask_b32_e32 v7, v7, v13, vcc
	v_cmp_ne_u32_e32 vcc, 0, v5
	v_cndmask_b32_e32 v5, v10, v7, vcc
	v_add_u32_e32 v7, 0x7fff, v5
	v_lshrrev_b32_e32 v7, 16, v7
	v_cmp_o_f32_e32 vcc, v5, v5
	v_cndmask_b32_e32 v10, v11, v7, vcc
	s_mov_b64 s[6:7], -1
	s_branch .LBB31_1547
.LBB31_1546:
	s_mov_b64 s[0:1], -1
                                        ; implicit-def: $vgpr10
.LBB31_1547:
	s_mov_b64 s[10:11], 0
.LBB31_1548:
	s_and_b64 vcc, exec, s[10:11]
	s_cbranch_vccz .LBB31_1552
; %bb.1549:
	v_cmp_eq_u16_e64 s[0:1], s19, 29
	s_and_b64 vcc, exec, s[0:1]
	s_cbranch_vccz .LBB31_1551
; %bb.1550:
	global_load_dwordx2 v[10:11], v[8:9], off
	s_movk_i32 s6, 0x7fff
	s_mov_b64 s[0:1], 0
	s_mov_b64 s[10:11], 0
	s_waitcnt vmcnt(0)
	v_ffbh_u32_e32 v5, v11
	v_min_u32_e32 v5, 32, v5
	v_lshlrev_b64 v[10:11], v5, v[10:11]
	v_min_u32_e32 v7, 1, v10
	v_or_b32_e32 v7, v11, v7
	v_cvt_f32_u32_e32 v7, v7
	v_sub_u32_e32 v5, 32, v5
	v_ldexp_f32 v5, v7, v5
	v_bfe_u32 v7, v5, 16, 1
	v_add3_u32 v5, v5, v7, s6
	v_lshrrev_b32_e32 v10, 16, v5
	s_mov_b64 s[6:7], -1
	s_branch .LBB31_1553
.LBB31_1551:
	s_mov_b64 s[0:1], -1
                                        ; implicit-def: $vgpr10
.LBB31_1552:
	s_mov_b64 s[10:11], 0
.LBB31_1553:
	s_and_b64 vcc, exec, s[10:11]
	s_cbranch_vccz .LBB31_1571
; %bb.1554:
	v_cmp_lt_i16_e64 s[6:7], s19, 27
	s_and_b64 vcc, exec, s[6:7]
	s_cbranch_vccnz .LBB31_1557
; %bb.1555:
	v_cmp_gt_i16_e64 s[6:7], s19, 27
	s_and_b64 vcc, exec, s[6:7]
	s_cbranch_vccz .LBB31_1558
; %bb.1556:
	global_load_dword v5, v[8:9], off
	s_movk_i32 s6, 0x7fff
	s_waitcnt vmcnt(0)
	v_cvt_f32_u32_e32 v5, v5
	v_bfe_u32 v7, v5, 16, 1
	v_add3_u32 v5, v5, v7, s6
	v_lshrrev_b32_e32 v10, 16, v5
	s_mov_b64 s[6:7], 0
	s_branch .LBB31_1559
.LBB31_1557:
	s_mov_b64 s[6:7], -1
                                        ; implicit-def: $vgpr10
	s_branch .LBB31_1562
.LBB31_1558:
	s_mov_b64 s[6:7], -1
                                        ; implicit-def: $vgpr10
.LBB31_1559:
	s_andn2_b64 vcc, exec, s[6:7]
	s_cbranch_vccnz .LBB31_1561
; %bb.1560:
	global_load_ushort v5, v[8:9], off
	s_movk_i32 s6, 0x7fff
	s_waitcnt vmcnt(0)
	v_cvt_f32_u32_e32 v5, v5
	v_bfe_u32 v7, v5, 16, 1
	v_add3_u32 v5, v5, v7, s6
	v_lshrrev_b32_e32 v10, 16, v5
.LBB31_1561:
	s_mov_b64 s[6:7], 0
.LBB31_1562:
	s_andn2_b64 vcc, exec, s[6:7]
	s_cbranch_vccnz .LBB31_1570
; %bb.1563:
	global_load_ubyte v5, v[8:9], off
	s_movk_i32 s6, 0x7f
                                        ; implicit-def: $sgpr14
	s_waitcnt vmcnt(0)
	v_cmp_lt_i16_e32 vcc, s6, v5
	s_mov_b64 s[6:7], 0
	s_and_saveexec_b64 s[10:11], vcc
	s_xor_b64 s[10:11], exec, s[10:11]
	s_cbranch_execz .LBB31_1584
; %bb.1564:
	s_movk_i32 s6, 0x80
	v_cmp_eq_u16_e32 vcc, s6, v5
	s_mov_b64 s[6:7], -1
                                        ; implicit-def: $sgpr14
	s_and_saveexec_b64 s[12:13], vcc
; %bb.1565:
	s_mov_b32 s14, 0x7f800001
	s_xor_b64 s[6:7], exec, -1
; %bb.1566:
	s_or_b64 exec, exec, s[12:13]
	s_and_b64 s[6:7], s[6:7], exec
	s_or_saveexec_b64 s[10:11], s[10:11]
	v_mov_b32_e32 v7, s14
	s_xor_b64 exec, exec, s[10:11]
	s_cbranch_execnz .LBB31_1585
.LBB31_1567:
	s_or_b64 exec, exec, s[10:11]
	s_and_saveexec_b64 s[10:11], s[6:7]
	s_cbranch_execz .LBB31_1569
.LBB31_1568:
	v_lshlrev_b32_e32 v7, 24, v5
	v_and_b32_e32 v5, 0xffff, v5
	v_and_b32_e32 v10, 7, v5
	v_ffbh_u32_e32 v13, v10
	v_min_u32_e32 v13, 32, v13
	v_subrev_u32_e32 v14, 28, v13
	v_bfe_u32 v11, v5, 3, 4
	v_lshlrev_b32_e32 v5, v14, v5
	v_sub_u32_e32 v13, 29, v13
	v_and_b32_e32 v5, 7, v5
	v_cmp_eq_u32_e32 vcc, 0, v11
	v_cndmask_b32_e32 v11, v11, v13, vcc
	v_cndmask_b32_e32 v5, v10, v5, vcc
	v_mov_b32_e32 v10, 0x3b800000
	v_lshlrev_b32_e32 v5, 20, v5
	v_and_b32_e32 v7, 0x80000000, v7
	v_lshl_add_u32 v10, v11, 23, v10
	v_or3_b32 v7, v7, v10, v5
.LBB31_1569:
	s_or_b64 exec, exec, s[10:11]
	v_bfe_u32 v5, v7, 16, 1
	s_movk_i32 s6, 0x7fff
	v_add3_u32 v5, v7, v5, s6
	v_lshrrev_b32_e32 v5, 16, v5
	v_mov_b32_e32 v10, 0x7fc0
	v_cmp_o_f32_e32 vcc, v7, v7
	v_cndmask_b32_e32 v10, v10, v5, vcc
.LBB31_1570:
	s_mov_b64 s[6:7], -1
.LBB31_1571:
	s_mov_b64 s[10:11], 0
.LBB31_1572:
	s_and_b64 vcc, exec, s[10:11]
	s_cbranch_vccz .LBB31_1605
; %bb.1573:
	v_cmp_gt_i16_e64 s[4:5], s19, 22
	s_and_b64 vcc, exec, s[4:5]
	s_cbranch_vccz .LBB31_1583
; %bb.1574:
	v_cmp_lt_i16_e64 s[4:5], s19, 24
	s_and_b64 vcc, exec, s[4:5]
	s_cbranch_vccnz .LBB31_1586
; %bb.1575:
	v_cmp_gt_i16_e64 s[4:5], s19, 24
	s_and_b64 vcc, exec, s[4:5]
	s_cbranch_vccz .LBB31_1587
; %bb.1576:
	global_load_ubyte v5, v[8:9], off
	s_movk_i32 s4, 0x7f
                                        ; implicit-def: $sgpr12
	s_waitcnt vmcnt(0)
	v_cmp_lt_i16_e32 vcc, s4, v5
	s_mov_b64 s[4:5], 0
	s_and_saveexec_b64 s[6:7], vcc
	s_xor_b64 s[6:7], exec, s[6:7]
	s_cbranch_execz .LBB31_1599
; %bb.1577:
	s_movk_i32 s4, 0x80
	v_cmp_eq_u16_e32 vcc, s4, v5
	s_mov_b64 s[4:5], -1
                                        ; implicit-def: $sgpr12
	s_and_saveexec_b64 s[10:11], vcc
; %bb.1578:
	s_mov_b32 s12, 0x7f800001
	s_xor_b64 s[4:5], exec, -1
; %bb.1579:
	s_or_b64 exec, exec, s[10:11]
	s_and_b64 s[4:5], s[4:5], exec
	s_or_saveexec_b64 s[6:7], s[6:7]
	v_mov_b32_e32 v7, s12
	s_xor_b64 exec, exec, s[6:7]
	s_cbranch_execnz .LBB31_1600
.LBB31_1580:
	s_or_b64 exec, exec, s[6:7]
	s_and_saveexec_b64 s[6:7], s[4:5]
	s_cbranch_execz .LBB31_1582
.LBB31_1581:
	v_lshlrev_b32_e32 v7, 24, v5
	v_and_b32_e32 v5, 0xffff, v5
	v_and_b32_e32 v10, 3, v5
	v_ffbh_u32_e32 v13, v10
	v_min_u32_e32 v13, 32, v13
	v_subrev_u32_e32 v14, 29, v13
	v_bfe_u32 v11, v5, 2, 5
	v_lshlrev_b32_e32 v5, v14, v5
	v_sub_u32_e32 v13, 30, v13
	v_and_b32_e32 v5, 3, v5
	v_cmp_eq_u32_e32 vcc, 0, v11
	v_cndmask_b32_e32 v11, v11, v13, vcc
	v_cndmask_b32_e32 v5, v10, v5, vcc
	v_mov_b32_e32 v10, 0x37800000
	v_lshlrev_b32_e32 v5, 21, v5
	v_and_b32_e32 v7, 0x80000000, v7
	v_lshl_add_u32 v10, v11, 23, v10
	v_or3_b32 v7, v7, v10, v5
.LBB31_1582:
	s_or_b64 exec, exec, s[6:7]
	v_bfe_u32 v5, v7, 16, 1
	s_movk_i32 s4, 0x7fff
	v_add3_u32 v5, v7, v5, s4
	v_lshrrev_b32_e32 v5, 16, v5
	v_mov_b32_e32 v10, 0x7fc0
	v_cmp_o_f32_e32 vcc, v7, v7
	v_cndmask_b32_e32 v10, v10, v5, vcc
	s_mov_b64 s[4:5], 0
	s_branch .LBB31_1588
.LBB31_1583:
	s_mov_b64 s[4:5], -1
                                        ; implicit-def: $vgpr10
	s_branch .LBB31_1594
.LBB31_1584:
	s_or_saveexec_b64 s[10:11], s[10:11]
	v_mov_b32_e32 v7, s14
	s_xor_b64 exec, exec, s[10:11]
	s_cbranch_execz .LBB31_1567
.LBB31_1585:
	v_cmp_ne_u16_e32 vcc, 0, v5
	s_andn2_b64 s[6:7], s[6:7], exec
	s_and_b64 s[12:13], vcc, exec
	v_mov_b32_e32 v7, 0
	s_or_b64 s[6:7], s[6:7], s[12:13]
	s_or_b64 exec, exec, s[10:11]
	s_and_saveexec_b64 s[10:11], s[6:7]
	s_cbranch_execnz .LBB31_1568
	s_branch .LBB31_1569
.LBB31_1586:
	s_mov_b64 s[4:5], -1
                                        ; implicit-def: $vgpr10
	s_branch .LBB31_1591
.LBB31_1587:
	s_mov_b64 s[4:5], -1
                                        ; implicit-def: $vgpr10
.LBB31_1588:
	s_and_b64 vcc, exec, s[4:5]
	s_cbranch_vccz .LBB31_1590
; %bb.1589:
	global_load_ubyte v5, v[8:9], off
	s_mov_b32 s4, 0x7f800000
	s_brev_b32 s5, 1
	s_movk_i32 s6, 0x7fff
	v_mov_b32_e32 v7, 0x7fc0
	s_waitcnt vmcnt(0)
	v_lshlrev_b32_e32 v5, 24, v5
	v_and_b32_e32 v10, 0x7f000000, v5
	v_ffbh_u32_e32 v11, v10
	v_min_u32_e32 v11, 32, v11
	v_sub_u32_e64 v11, v11, 4 clamp
	v_lshlrev_b32_e32 v14, v11, v10
	v_lshlrev_b32_e32 v11, 23, v11
	v_lshrrev_b32_e32 v14, 4, v14
	v_add_u32_e32 v13, 0x1000000, v10
	v_sub_u32_e32 v11, v14, v11
	v_ashrrev_i32_e32 v13, 8, v13
	v_add_u32_e32 v11, 0x3c000000, v11
	v_and_or_b32 v11, v13, s4, v11
	v_cmp_ne_u32_e32 vcc, 0, v10
	v_cndmask_b32_e32 v10, 0, v11, vcc
	v_and_or_b32 v5, v5, s5, v10
	v_bfe_u32 v10, v10, 16, 1
	v_add3_u32 v10, v5, v10, s6
	v_lshrrev_b32_e32 v10, 16, v10
	v_cmp_o_f32_e32 vcc, v5, v5
	v_cndmask_b32_e32 v10, v7, v10, vcc
.LBB31_1590:
	s_mov_b64 s[4:5], 0
.LBB31_1591:
	s_andn2_b64 vcc, exec, s[4:5]
	s_cbranch_vccnz .LBB31_1593
; %bb.1592:
	global_load_ubyte v5, v[8:9], off
	s_movk_i32 s4, 0x7f00
	s_brev_b32 s5, 16
	s_brev_b32 s6, 1
	s_movk_i32 s7, 0x7fff
	v_mov_b32_e32 v7, 0x7fc0
	s_waitcnt vmcnt(0)
	v_lshlrev_b16_e32 v10, 8, v5
	v_lshlrev_b32_e32 v5, 25, v5
	v_lshrrev_b32_e32 v11, 4, v5
	v_and_or_b32 v13, v10, s4, 0.5
	v_or_b32_e32 v11, 0x70000000, v11
	v_add_f32_e32 v13, -0.5, v13
	v_mul_f32_e32 v11, 0x7800000, v11
	v_cmp_gt_u32_e32 vcc, s5, v5
	v_bfe_i32 v10, v10, 0, 16
	v_cndmask_b32_e32 v5, v11, v13, vcc
	v_and_or_b32 v10, v10, s6, v5
	v_bfe_u32 v5, v5, 16, 1
	v_add3_u32 v5, v10, v5, s7
	v_lshrrev_b32_e32 v5, 16, v5
	v_cmp_o_f32_e32 vcc, v10, v10
	v_cndmask_b32_e32 v10, v7, v5, vcc
.LBB31_1593:
	s_mov_b64 s[4:5], 0
	s_mov_b64 s[6:7], -1
.LBB31_1594:
	s_andn2_b64 vcc, exec, s[4:5]
	s_mov_b64 s[4:5], 0
	s_cbranch_vccnz .LBB31_1605
; %bb.1595:
	v_cmp_gt_i16_e64 s[4:5], s19, 14
	s_and_b64 vcc, exec, s[4:5]
	s_cbranch_vccz .LBB31_1598
; %bb.1596:
	v_cmp_eq_u16_e64 s[0:1], s19, 15
	s_and_b64 vcc, exec, s[0:1]
	s_cbranch_vccz .LBB31_1601
; %bb.1597:
	global_load_ushort v10, v[8:9], off
	s_mov_b64 s[0:1], 0
	s_mov_b64 s[6:7], -1
	s_branch .LBB31_1602
.LBB31_1598:
	s_mov_b64 s[10:11], -1
                                        ; implicit-def: $vgpr10
	s_branch .LBB31_1603
.LBB31_1599:
	s_or_saveexec_b64 s[6:7], s[6:7]
	v_mov_b32_e32 v7, s12
	s_xor_b64 exec, exec, s[6:7]
	s_cbranch_execz .LBB31_1580
.LBB31_1600:
	v_cmp_ne_u16_e32 vcc, 0, v5
	s_andn2_b64 s[4:5], s[4:5], exec
	s_and_b64 s[10:11], vcc, exec
	v_mov_b32_e32 v7, 0
	s_or_b64 s[4:5], s[4:5], s[10:11]
	s_or_b64 exec, exec, s[6:7]
	s_and_saveexec_b64 s[6:7], s[4:5]
	s_cbranch_execnz .LBB31_1581
	s_branch .LBB31_1582
.LBB31_1601:
	s_mov_b64 s[0:1], -1
                                        ; implicit-def: $vgpr10
.LBB31_1602:
	s_mov_b64 s[10:11], 0
.LBB31_1603:
	s_mov_b64 s[4:5], 0
	s_and_b64 vcc, exec, s[10:11]
	s_cbranch_vccz .LBB31_1605
; %bb.1604:
	v_cmp_ne_u16_e64 s[0:1], s19, 11
	s_mov_b64 s[4:5], -1
                                        ; implicit-def: $vgpr10
.LBB31_1605:
	s_and_b64 vcc, exec, s[0:1]
	s_cbranch_vccnz .LBB31_1669
; %bb.1606:
	s_andn2_b64 vcc, exec, s[4:5]
	s_cbranch_vccnz .LBB31_1608
.LBB31_1607:
	global_load_ubyte v5, v[8:9], off
	s_mov_b64 s[6:7], -1
	s_waitcnt vmcnt(0)
	v_cmp_ne_u16_e32 vcc, 0, v5
	v_cndmask_b32_e64 v5, 0, 1.0, vcc
	v_lshrrev_b32_e32 v10, 16, v5
.LBB31_1608:
	s_mov_b64 s[0:1], 0
.LBB31_1609:
	s_and_b64 vcc, exec, s[0:1]
	s_cbranch_vccz .LBB31_1658
; %bb.1610:
	v_cmp_lt_i16_e64 s[0:1], s19, 5
	s_and_b64 vcc, exec, s[0:1]
	s_cbranch_vccnz .LBB31_1615
; %bb.1611:
	v_cmp_lt_i16_e64 s[0:1], s19, 8
	s_and_b64 vcc, exec, s[0:1]
	s_cbranch_vccnz .LBB31_1616
	;; [unrolled: 4-line block ×3, first 2 shown]
; %bb.1613:
	v_cmp_gt_i16_e64 s[0:1], s19, 9
	s_and_b64 vcc, exec, s[0:1]
	s_cbranch_vccz .LBB31_1618
; %bb.1614:
	global_load_dwordx2 v[10:11], v[8:9], off
	s_movk_i32 s0, 0x7fff
	v_mov_b32_e32 v5, 0x7fc0
	s_waitcnt vmcnt(0)
	v_cvt_f32_f64_e32 v7, v[10:11]
	v_bfe_u32 v10, v7, 16, 1
	v_add3_u32 v10, v7, v10, s0
	v_lshrrev_b32_e32 v10, 16, v10
	v_cmp_o_f32_e32 vcc, v7, v7
	v_cndmask_b32_e32 v10, v5, v10, vcc
	s_mov_b64 s[0:1], 0
	s_branch .LBB31_1619
.LBB31_1615:
	s_mov_b64 s[0:1], -1
                                        ; implicit-def: $vgpr10
	s_branch .LBB31_1637
.LBB31_1616:
	s_mov_b64 s[0:1], -1
                                        ; implicit-def: $vgpr10
	s_branch .LBB31_1625
.LBB31_1617:
	s_mov_b64 s[0:1], -1
                                        ; implicit-def: $vgpr10
	s_branch .LBB31_1622
.LBB31_1618:
	s_mov_b64 s[0:1], -1
                                        ; implicit-def: $vgpr10
.LBB31_1619:
	s_andn2_b64 vcc, exec, s[0:1]
	s_cbranch_vccnz .LBB31_1621
; %bb.1620:
	global_load_dword v5, v[8:9], off
	s_movk_i32 s0, 0x7fff
	v_mov_b32_e32 v7, 0x7fc0
	s_waitcnt vmcnt(0)
	v_bfe_u32 v10, v5, 16, 1
	v_add3_u32 v10, v5, v10, s0
	v_lshrrev_b32_e32 v10, 16, v10
	v_cmp_o_f32_e32 vcc, v5, v5
	v_cndmask_b32_e32 v10, v7, v10, vcc
.LBB31_1621:
	s_mov_b64 s[0:1], 0
.LBB31_1622:
	s_andn2_b64 vcc, exec, s[0:1]
	s_cbranch_vccnz .LBB31_1624
; %bb.1623:
	global_load_dword v5, v[8:9], off
	s_movk_i32 s0, 0x7fff
	s_waitcnt vmcnt(1)
	v_mov_b32_e32 v10, 0x7fc0
	s_waitcnt vmcnt(0)
	v_cvt_f32_f16_e32 v7, v5
	v_cmp_o_f16_e32 vcc, v5, v5
	v_bfe_u32 v11, v7, 16, 1
	v_add3_u32 v7, v7, v11, s0
	v_lshrrev_b32_e32 v7, 16, v7
	v_cndmask_b32_e32 v10, v10, v7, vcc
.LBB31_1624:
	s_mov_b64 s[0:1], 0
.LBB31_1625:
	s_andn2_b64 vcc, exec, s[0:1]
	s_cbranch_vccnz .LBB31_1636
; %bb.1626:
	v_cmp_lt_i16_e64 s[0:1], s19, 6
	s_and_b64 vcc, exec, s[0:1]
	s_cbranch_vccnz .LBB31_1629
; %bb.1627:
	v_cmp_gt_i16_e64 s[0:1], s19, 6
	s_and_b64 vcc, exec, s[0:1]
	s_cbranch_vccz .LBB31_1630
; %bb.1628:
	global_load_dwordx2 v[10:11], v[8:9], off
	s_movk_i32 s0, 0x7fff
	v_mov_b32_e32 v5, 0x7fc0
	s_waitcnt vmcnt(0)
	v_cvt_f32_f64_e32 v7, v[10:11]
	v_bfe_u32 v10, v7, 16, 1
	v_add3_u32 v10, v7, v10, s0
	v_lshrrev_b32_e32 v10, 16, v10
	v_cmp_o_f32_e32 vcc, v7, v7
	v_cndmask_b32_e32 v10, v5, v10, vcc
	s_mov_b64 s[0:1], 0
	s_branch .LBB31_1631
.LBB31_1629:
	s_mov_b64 s[0:1], -1
                                        ; implicit-def: $vgpr10
	s_branch .LBB31_1634
.LBB31_1630:
	s_mov_b64 s[0:1], -1
                                        ; implicit-def: $vgpr10
.LBB31_1631:
	s_andn2_b64 vcc, exec, s[0:1]
	s_cbranch_vccnz .LBB31_1633
; %bb.1632:
	global_load_dword v5, v[8:9], off
	s_movk_i32 s0, 0x7fff
	v_mov_b32_e32 v7, 0x7fc0
	s_waitcnt vmcnt(0)
	v_bfe_u32 v10, v5, 16, 1
	v_add3_u32 v10, v5, v10, s0
	v_lshrrev_b32_e32 v10, 16, v10
	v_cmp_o_f32_e32 vcc, v5, v5
	v_cndmask_b32_e32 v10, v7, v10, vcc
.LBB31_1633:
	s_mov_b64 s[0:1], 0
.LBB31_1634:
	s_andn2_b64 vcc, exec, s[0:1]
	s_cbranch_vccnz .LBB31_1636
; %bb.1635:
	global_load_ushort v5, v[8:9], off
	s_movk_i32 s0, 0x7fff
	s_waitcnt vmcnt(1)
	v_mov_b32_e32 v10, 0x7fc0
	s_waitcnt vmcnt(0)
	v_cvt_f32_f16_e32 v7, v5
	v_cmp_o_f16_e32 vcc, v5, v5
	v_bfe_u32 v11, v7, 16, 1
	v_add3_u32 v7, v7, v11, s0
	v_lshrrev_b32_e32 v7, 16, v7
	v_cndmask_b32_e32 v10, v10, v7, vcc
.LBB31_1636:
	s_mov_b64 s[0:1], 0
.LBB31_1637:
	s_andn2_b64 vcc, exec, s[0:1]
	s_cbranch_vccnz .LBB31_1657
; %bb.1638:
	v_cmp_lt_i16_e64 s[0:1], s19, 2
	s_and_b64 vcc, exec, s[0:1]
	s_cbranch_vccnz .LBB31_1642
; %bb.1639:
	v_cmp_lt_i16_e64 s[0:1], s19, 3
	s_and_b64 vcc, exec, s[0:1]
	s_cbranch_vccnz .LBB31_1643
; %bb.1640:
	v_cmp_gt_i16_e64 s[0:1], s19, 3
	s_and_b64 vcc, exec, s[0:1]
	s_cbranch_vccz .LBB31_1644
; %bb.1641:
	global_load_dwordx2 v[10:11], v[8:9], off
	s_movk_i32 s0, 0x7fff
	s_waitcnt vmcnt(0)
	v_xor_b32_e32 v7, v10, v11
	v_ffbh_i32_e32 v5, v11
	v_ashrrev_i32_e32 v7, 31, v7
	v_add_u32_e32 v5, -1, v5
	v_add_u32_e32 v7, 32, v7
	v_min_u32_e32 v5, v5, v7
	v_lshlrev_b64 v[10:11], v5, v[10:11]
	v_min_u32_e32 v7, 1, v10
	v_or_b32_e32 v7, v11, v7
	v_cvt_f32_i32_e32 v7, v7
	v_sub_u32_e32 v5, 32, v5
	v_ldexp_f32 v5, v7, v5
	v_bfe_u32 v7, v5, 16, 1
	v_add3_u32 v5, v5, v7, s0
	v_lshrrev_b32_e32 v10, 16, v5
	s_mov_b64 s[0:1], 0
	s_branch .LBB31_1645
.LBB31_1642:
	s_mov_b64 s[0:1], -1
                                        ; implicit-def: $vgpr10
	s_branch .LBB31_1651
.LBB31_1643:
	s_mov_b64 s[0:1], -1
                                        ; implicit-def: $vgpr10
	s_branch .LBB31_1648
.LBB31_1644:
	s_mov_b64 s[0:1], -1
                                        ; implicit-def: $vgpr10
.LBB31_1645:
	s_andn2_b64 vcc, exec, s[0:1]
	s_cbranch_vccnz .LBB31_1647
; %bb.1646:
	global_load_dword v5, v[8:9], off
	s_movk_i32 s0, 0x7fff
	s_waitcnt vmcnt(0)
	v_cvt_f32_i32_e32 v5, v5
	v_bfe_u32 v7, v5, 16, 1
	v_add3_u32 v5, v5, v7, s0
	v_lshrrev_b32_e32 v10, 16, v5
.LBB31_1647:
	s_mov_b64 s[0:1], 0
.LBB31_1648:
	s_andn2_b64 vcc, exec, s[0:1]
	s_cbranch_vccnz .LBB31_1650
; %bb.1649:
	global_load_sshort v5, v[8:9], off
	s_movk_i32 s0, 0x7fff
	s_waitcnt vmcnt(0)
	v_cvt_f32_i32_e32 v5, v5
	v_bfe_u32 v7, v5, 16, 1
	v_add3_u32 v5, v5, v7, s0
	v_lshrrev_b32_e32 v10, 16, v5
.LBB31_1650:
	s_mov_b64 s[0:1], 0
.LBB31_1651:
	s_andn2_b64 vcc, exec, s[0:1]
	s_cbranch_vccnz .LBB31_1657
; %bb.1652:
	v_cmp_gt_i16_e64 s[0:1], s19, 0
	s_and_b64 vcc, exec, s[0:1]
	s_cbranch_vccz .LBB31_1654
; %bb.1653:
	global_load_sbyte v5, v[8:9], off
	s_movk_i32 s0, 0x7fff
	s_waitcnt vmcnt(0)
	v_cvt_f32_i32_e32 v5, v5
	v_bfe_u32 v7, v5, 16, 1
	v_add3_u32 v5, v5, v7, s0
	v_lshrrev_b32_e32 v10, 16, v5
	s_mov_b64 s[0:1], 0
	s_branch .LBB31_1655
.LBB31_1654:
	s_mov_b64 s[0:1], -1
                                        ; implicit-def: $vgpr10
.LBB31_1655:
	s_andn2_b64 vcc, exec, s[0:1]
	s_cbranch_vccnz .LBB31_1657
; %bb.1656:
	global_load_ubyte v5, v[8:9], off
	s_movk_i32 s0, 0x7fff
	s_waitcnt vmcnt(0)
	v_cvt_f32_ubyte0_e32 v5, v5
	v_bfe_u32 v7, v5, 16, 1
	v_add3_u32 v5, v5, v7, s0
	v_lshrrev_b32_e32 v10, 16, v5
.LBB31_1657:
	s_mov_b64 s[6:7], -1
.LBB31_1658:
	s_andn2_b64 vcc, exec, s[6:7]
	s_cbranch_vccnz .LBB31_2112
; %bb.1659:
	s_load_dword s0, s[34:35], 0x158
	v_mov_b32_e32 v5, 0x7fc00000
	s_waitcnt vmcnt(0)
	v_lshlrev_b32_e32 v7, 16, v1
	s_lshr_b32 s14, s18, 16
	s_waitcnt lgkmcnt(0)
	s_lshl_b32 s15, s0, 16
	s_xor_b32 s0, s15, 0x80000000
	s_bfe_u32 s1, s0, 0x10010
	s_add_i32 s0, s0, s1
	s_addk_i32 s0, 0x7fff
	s_and_b32 s0, s0, 0xffff0000
	v_mov_b32_e32 v8, s0
	v_cmp_o_f32_e64 vcc, s15, s15
	v_cndmask_b32_e32 v8, v5, v8, vcc
	v_cmp_nle_f32_e32 vcc, v8, v7
	v_cmp_nge_f32_e64 s[0:1], s15, v7
	s_or_b64 vcc, s[0:1], vcc
	v_cndmask_b32_e32 v1, 0, v1, vcc
	v_mov_b32_e32 v5, s9
	v_add_co_u32_e32 v6, vcc, s8, v6
	v_addc_co_u32_e32 v7, vcc, 0, v5, vcc
	v_mov_b32_e32 v5, 11
	v_cmp_lt_i16_sdwa s[0:1], s14, v5 src0_sel:BYTE_0 src1_sel:DWORD
	s_and_b64 vcc, exec, s[0:1]
	s_cbranch_vccnz .LBB31_1666
; %bb.1660:
	v_mov_b32_e32 v5, 25
	v_cmp_gt_i16_sdwa s[0:1], s14, v5 src0_sel:BYTE_0 src1_sel:DWORD
	s_mov_b64 s[10:11], -1
	s_mov_b64 s[4:5], 0
	s_and_b64 vcc, exec, s[0:1]
	s_mov_b64 s[6:7], 0
	s_mov_b64 s[0:1], 0
	s_cbranch_vccz .LBB31_1698
; %bb.1661:
	v_mov_b32_e32 v5, 28
	v_cmp_gt_i16_sdwa s[0:1], s14, v5 src0_sel:BYTE_0 src1_sel:DWORD
	s_and_b64 vcc, exec, s[0:1]
	s_cbranch_vccz .LBB31_1667
; %bb.1662:
	v_mov_b32_e32 v5, 43
	v_cmp_gt_i16_sdwa s[0:1], s14, v5 src0_sel:BYTE_0 src1_sel:DWORD
	s_and_b64 vcc, exec, s[0:1]
	;; [unrolled: 5-line block ×3, first 2 shown]
	s_cbranch_vccz .LBB31_1670
; %bb.1664:
	v_mov_b32_e32 v5, 46
	v_cmp_eq_u16_sdwa s[6:7], s14, v5 src0_sel:BYTE_0 src1_sel:DWORD
	s_mov_b64 s[0:1], -1
	s_mov_b64 s[10:11], 0
	s_and_b64 vcc, exec, s[6:7]
	s_mov_b64 s[6:7], 0
	s_cbranch_vccz .LBB31_1671
; %bb.1665:
	v_and_b32_e32 v5, 0xffff, v1
	global_store_dword v[6:7], v5, off
	s_mov_b64 s[0:1], 0
	s_mov_b64 s[6:7], -1
	s_branch .LBB31_1671
.LBB31_1666:
	s_mov_b64 s[0:1], -1
	s_mov_b64 s[6:7], 0
	s_branch .LBB31_1742
.LBB31_1667:
	s_mov_b64 s[0:1], 0
	s_branch .LBB31_1681
.LBB31_1668:
	s_mov_b64 s[0:1], 0
	s_branch .LBB31_1677
.LBB31_1669:
	s_trap 2
	s_or_b64 s[2:3], s[2:3], exec
                                        ; implicit-def: $vgpr10
	s_cbranch_execz .LBB31_1607
	s_branch .LBB31_1608
.LBB31_1670:
	s_mov_b64 s[0:1], 0
.LBB31_1671:
	s_and_b64 vcc, exec, s[10:11]
	s_cbranch_vccz .LBB31_1676
; %bb.1672:
	v_mov_b32_e32 v5, 44
	v_cmp_eq_u16_sdwa s[10:11], s14, v5 src0_sel:BYTE_0 src1_sel:DWORD
	s_mov_b64 s[0:1], -1
	s_and_b64 vcc, exec, s[10:11]
	s_cbranch_vccz .LBB31_1676
; %bb.1673:
	v_and_b32_e32 v9, 0xffff, v1
	v_bfe_u32 v5, v9, 7, 8
	s_movk_i32 s0, 0xff
	v_cmp_ne_u32_e32 vcc, s0, v5
	v_mov_b32_e32 v11, 0xff
	s_and_saveexec_b64 s[6:7], vcc
; %bb.1674:
	v_lshlrev_b32_e32 v13, 16, v9
	s_mov_b32 s0, 0x3f0000
	v_lshrrev_b32_e32 v11, 7, v9
	v_and_b32_e32 v9, 64, v9
	v_and_or_b32 v5, v13, s0, v5
	v_cmp_ne_u32_e32 vcc, 0, v9
	v_cmp_ne_u32_e64 s[0:1], 0, v5
	s_and_b64 s[0:1], vcc, s[0:1]
	v_cndmask_b32_e64 v5, 0, 1, s[0:1]
	v_add_u32_e32 v11, v11, v5
; %bb.1675:
	s_or_b64 exec, exec, s[6:7]
	s_mov_b64 s[0:1], 0
	s_mov_b64 s[6:7], -1
	global_store_byte v[6:7], v11, off
.LBB31_1676:
	s_mov_b64 s[10:11], 0
.LBB31_1677:
	s_and_b64 vcc, exec, s[10:11]
	s_cbranch_vccz .LBB31_1680
; %bb.1678:
	v_mov_b32_e32 v5, 29
	v_cmp_eq_u16_sdwa s[10:11], s14, v5 src0_sel:BYTE_0 src1_sel:DWORD
	s_mov_b64 s[0:1], -1
	s_and_b64 vcc, exec, s[10:11]
	s_cbranch_vccz .LBB31_1680
; %bb.1679:
	v_lshlrev_b32_e32 v5, 16, v1
	v_trunc_f32_e32 v5, v5
	v_mul_f32_e32 v9, 0x2f800000, v5
	v_floor_f32_e32 v9, v9
	v_fmac_f32_e32 v5, 0xcf800000, v9
	v_cvt_u32_f32_e32 v15, v9
	v_cvt_u32_f32_e32 v14, v5
	s_mov_b64 s[0:1], 0
	s_mov_b64 s[6:7], -1
	s_mov_b64 s[10:11], 0
	global_store_dwordx2 v[6:7], v[14:15], off
	s_branch .LBB31_1681
.LBB31_1680:
	s_mov_b64 s[10:11], 0
.LBB31_1681:
	s_and_b64 vcc, exec, s[10:11]
	s_cbranch_vccz .LBB31_1697
; %bb.1682:
	v_mov_b32_e32 v5, 27
	v_cmp_lt_i16_sdwa s[10:11], s14, v5 src0_sel:BYTE_0 src1_sel:DWORD
	s_mov_b64 s[6:7], -1
	s_and_b64 vcc, exec, s[10:11]
	s_cbranch_vccnz .LBB31_1688
; %bb.1683:
	v_cmp_gt_i16_sdwa s[10:11], s14, v5 src0_sel:BYTE_0 src1_sel:DWORD
	s_and_b64 vcc, exec, s[10:11]
	s_cbranch_vccz .LBB31_1685
; %bb.1684:
	v_lshlrev_b32_e32 v5, 16, v1
	v_cvt_u32_f32_e32 v5, v5
	s_mov_b64 s[6:7], 0
	global_store_dword v[6:7], v5, off
.LBB31_1685:
	s_andn2_b64 vcc, exec, s[6:7]
	s_cbranch_vccnz .LBB31_1687
; %bb.1686:
	v_lshlrev_b32_e32 v5, 16, v1
	v_cvt_u32_f32_e32 v5, v5
	global_store_short v[6:7], v5, off
.LBB31_1687:
	s_mov_b64 s[6:7], 0
.LBB31_1688:
	s_andn2_b64 vcc, exec, s[6:7]
	s_cbranch_vccnz .LBB31_1696
; %bb.1689:
	v_lshlrev_b32_e32 v11, 16, v1
	v_and_b32_e32 v9, 0x7fffffff, v11
	s_mov_b32 s6, 0x43800000
	v_cmp_gt_u32_e32 vcc, s6, v9
	v_mov_b32_e32 v13, 0x80
	s_and_saveexec_b64 s[6:7], vcc
	s_cbranch_execz .LBB31_1695
; %bb.1690:
	s_mov_b32 s10, 0x3bffffff
	v_and_b32_e32 v5, 0xffff, v1
	v_cmp_lt_u32_e32 vcc, s10, v9
	s_mov_b64 s[10:11], 0
                                        ; implicit-def: $vgpr9
	s_and_saveexec_b64 s[12:13], vcc
	s_xor_b64 s[12:13], exec, s[12:13]
	s_cbranch_execz .LBB31_1791
; %bb.1691:
	v_bfe_u32 v9, v5, 4, 1
	s_mov_b32 s16, 0x487ffff
	v_add3_u32 v9, v11, v9, s16
	s_mov_b64 s[10:11], exec
	v_lshrrev_b32_e32 v9, 20, v9
                                        ; implicit-def: $vgpr11
	s_or_saveexec_b64 s[12:13], s[12:13]
                                        ; implicit-def: $sgpr16
	s_xor_b64 exec, exec, s[12:13]
	s_cbranch_execnz .LBB31_1792
.LBB31_1692:
	s_or_b64 exec, exec, s[12:13]
	v_mov_b32_e32 v13, s16
	s_and_saveexec_b64 s[12:13], s[10:11]
.LBB31_1693:
	v_lshrrev_b32_e32 v5, 8, v5
	s_movk_i32 s10, 0x80
	v_and_or_b32 v13, v5, s10, v9
.LBB31_1694:
	s_or_b64 exec, exec, s[12:13]
.LBB31_1695:
	s_or_b64 exec, exec, s[6:7]
	global_store_byte v[6:7], v13, off
.LBB31_1696:
	s_mov_b64 s[6:7], -1
.LBB31_1697:
	s_mov_b64 s[10:11], 0
.LBB31_1698:
	s_and_b64 vcc, exec, s[10:11]
	s_cbranch_vccz .LBB31_1738
; %bb.1699:
	v_mov_b32_e32 v5, 22
	v_cmp_gt_i16_sdwa s[10:11], s14, v5 src0_sel:BYTE_0 src1_sel:DWORD
	s_mov_b64 s[4:5], -1
	s_and_b64 vcc, exec, s[10:11]
	s_cbranch_vccz .LBB31_1731
; %bb.1700:
	v_mov_b32_e32 v5, 24
	v_cmp_lt_i16_sdwa s[6:7], s14, v5 src0_sel:BYTE_0 src1_sel:DWORD
	s_and_b64 vcc, exec, s[6:7]
	s_cbranch_vccnz .LBB31_1720
; %bb.1701:
	v_cmp_gt_i16_sdwa s[6:7], s14, v5 src0_sel:BYTE_0 src1_sel:DWORD
	s_and_b64 vcc, exec, s[6:7]
	s_cbranch_vccz .LBB31_1709
; %bb.1702:
	v_lshlrev_b32_e32 v11, 16, v1
	v_and_b32_e32 v9, 0x7fffffff, v11
	s_mov_b32 s4, 0x47800000
	v_cmp_gt_u32_e32 vcc, s4, v9
	v_mov_b32_e32 v13, 0x80
	s_and_saveexec_b64 s[4:5], vcc
	s_cbranch_execz .LBB31_1708
; %bb.1703:
	s_mov_b32 s6, 0x37ffffff
	v_and_b32_e32 v5, 0xffff, v1
	v_cmp_lt_u32_e32 vcc, s6, v9
	s_mov_b64 s[6:7], 0
                                        ; implicit-def: $vgpr9
	s_and_saveexec_b64 s[10:11], vcc
	s_xor_b64 s[10:11], exec, s[10:11]
	s_cbranch_execz .LBB31_1795
; %bb.1704:
	v_bfe_u32 v9, v5, 5, 1
	s_mov_b32 s12, 0x88fffff
	v_add3_u32 v9, v11, v9, s12
	s_mov_b64 s[6:7], exec
	v_lshrrev_b32_e32 v9, 21, v9
                                        ; implicit-def: $vgpr11
	s_or_saveexec_b64 s[10:11], s[10:11]
                                        ; implicit-def: $sgpr12
	s_xor_b64 exec, exec, s[10:11]
	s_cbranch_execnz .LBB31_1796
.LBB31_1705:
	s_or_b64 exec, exec, s[10:11]
	v_mov_b32_e32 v13, s12
	s_and_saveexec_b64 s[10:11], s[6:7]
.LBB31_1706:
	v_lshrrev_b32_e32 v5, 8, v5
	s_movk_i32 s6, 0x80
	v_and_or_b32 v13, v5, s6, v9
.LBB31_1707:
	s_or_b64 exec, exec, s[10:11]
.LBB31_1708:
	s_or_b64 exec, exec, s[4:5]
	s_mov_b64 s[4:5], 0
	global_store_byte v[6:7], v13, off
.LBB31_1709:
	s_and_b64 vcc, exec, s[4:5]
	s_cbranch_vccz .LBB31_1719
; %bb.1710:
	v_lshlrev_b32_e32 v11, 16, v1
	v_and_b32_e32 v13, 0x7fffffff, v11
	s_mov_b32 s4, 0x43f00000
	v_and_b32_e32 v5, 0xffff, v1
	v_cmp_gt_u32_e32 vcc, s4, v13
                                        ; implicit-def: $vgpr9
	s_and_saveexec_b64 s[4:5], vcc
	s_xor_b64 s[4:5], exec, s[4:5]
	s_cbranch_execz .LBB31_1716
; %bb.1711:
	s_mov_b32 s6, 0x3c7fffff
	v_cmp_lt_u32_e32 vcc, s6, v13
                                        ; implicit-def: $vgpr9
	s_and_saveexec_b64 s[6:7], vcc
	s_xor_b64 s[6:7], exec, s[6:7]
; %bb.1712:
	v_bfe_u32 v9, v5, 4, 1
	s_mov_b32 s10, 0x407ffff
	v_add3_u32 v9, v11, v9, s10
	v_lshrrev_b32_e32 v11, 20, v9
	v_and_b32_e32 v9, 0xff00000, v9
	s_mov_b32 s10, 0x7f00000
	v_mov_b32_e32 v13, 0x7e
	v_cmp_ne_u32_e32 vcc, s10, v9
	v_cndmask_b32_e32 v9, v13, v11, vcc
                                        ; implicit-def: $vgpr11
; %bb.1713:
	s_andn2_saveexec_b64 s[6:7], s[6:7]
; %bb.1714:
	s_mov_b32 s10, 0x46800000
	v_add_f32_e64 v9, |v11|, s10
; %bb.1715:
	s_or_b64 exec, exec, s[6:7]
                                        ; implicit-def: $vgpr13
.LBB31_1716:
	s_andn2_saveexec_b64 s[4:5], s[4:5]
; %bb.1717:
	s_mov_b32 s6, 0x7f800000
	v_mov_b32_e32 v9, 0x7e
	v_mov_b32_e32 v11, 0x7f
	v_cmp_lt_u32_e32 vcc, s6, v13
	v_cndmask_b32_e32 v9, v9, v11, vcc
; %bb.1718:
	s_or_b64 exec, exec, s[4:5]
	v_lshrrev_b32_e32 v5, 8, v5
	s_movk_i32 s4, 0x80
	v_and_or_b32 v5, v5, s4, v9
	global_store_byte v[6:7], v5, off
.LBB31_1719:
	s_mov_b64 s[4:5], 0
.LBB31_1720:
	s_andn2_b64 vcc, exec, s[4:5]
	s_cbranch_vccnz .LBB31_1730
; %bb.1721:
	v_lshlrev_b32_e32 v11, 16, v1
	v_and_b32_e32 v13, 0x7fffffff, v11
	s_mov_b32 s4, 0x47800000
	v_and_b32_e32 v5, 0xffff, v1
	v_cmp_gt_u32_e32 vcc, s4, v13
                                        ; implicit-def: $vgpr9
	s_and_saveexec_b64 s[4:5], vcc
	s_xor_b64 s[4:5], exec, s[4:5]
	s_cbranch_execz .LBB31_1727
; %bb.1722:
	s_mov_b32 s6, 0x387fffff
	v_cmp_lt_u32_e32 vcc, s6, v13
                                        ; implicit-def: $vgpr9
	s_and_saveexec_b64 s[6:7], vcc
	s_xor_b64 s[6:7], exec, s[6:7]
; %bb.1723:
	v_bfe_u32 v9, v5, 5, 1
	s_mov_b32 s10, 0x80fffff
	v_add3_u32 v9, v11, v9, s10
	v_lshrrev_b32_e32 v9, 21, v9
                                        ; implicit-def: $vgpr11
; %bb.1724:
	s_andn2_saveexec_b64 s[6:7], s[6:7]
; %bb.1725:
	s_mov_b32 s10, 0x43000000
	v_add_f32_e64 v9, |v11|, s10
; %bb.1726:
	s_or_b64 exec, exec, s[6:7]
                                        ; implicit-def: $vgpr13
.LBB31_1727:
	s_andn2_saveexec_b64 s[4:5], s[4:5]
; %bb.1728:
	s_mov_b32 s6, 0x7f800000
	v_mov_b32_e32 v9, 0x7c
	v_mov_b32_e32 v11, 0x7f
	v_cmp_lt_u32_e32 vcc, s6, v13
	v_cndmask_b32_e32 v9, v9, v11, vcc
; %bb.1729:
	s_or_b64 exec, exec, s[4:5]
	v_lshrrev_b32_e32 v5, 8, v5
	s_movk_i32 s4, 0x80
	v_and_or_b32 v5, v5, s4, v9
	global_store_byte v[6:7], v5, off
.LBB31_1730:
	s_mov_b64 s[4:5], 0
	s_mov_b64 s[6:7], -1
.LBB31_1731:
	s_andn2_b64 vcc, exec, s[4:5]
	s_mov_b64 s[4:5], 0
	s_cbranch_vccnz .LBB31_1738
; %bb.1732:
	v_mov_b32_e32 v5, 14
	v_cmp_gt_i16_sdwa s[4:5], s14, v5 src0_sel:BYTE_0 src1_sel:DWORD
	s_mov_b64 s[10:11], -1
	s_and_b64 vcc, exec, s[4:5]
	s_cbranch_vccz .LBB31_1736
; %bb.1733:
	v_mov_b32_e32 v5, 15
	v_cmp_eq_u16_sdwa s[4:5], s14, v5 src0_sel:BYTE_0 src1_sel:DWORD
	s_mov_b64 s[0:1], -1
	s_and_b64 vcc, exec, s[4:5]
	s_cbranch_vccz .LBB31_1735
; %bb.1734:
	global_store_short v[6:7], v1, off
	s_mov_b64 s[0:1], 0
	s_mov_b64 s[6:7], -1
.LBB31_1735:
	s_mov_b64 s[10:11], 0
.LBB31_1736:
	s_mov_b64 s[4:5], 0
	s_and_b64 vcc, exec, s[10:11]
	s_cbranch_vccz .LBB31_1738
; %bb.1737:
	v_mov_b32_e32 v5, 11
	v_cmp_ne_u16_sdwa s[0:1], s14, v5 src0_sel:BYTE_0 src1_sel:DWORD
	s_mov_b64 s[4:5], -1
.LBB31_1738:
	s_and_b64 vcc, exec, s[0:1]
	s_cbranch_vccnz .LBB31_1794
; %bb.1739:
	s_andn2_b64 vcc, exec, s[4:5]
	s_cbranch_vccnz .LBB31_1741
.LBB31_1740:
	v_and_b32_e32 v5, 0x7fff, v1
	v_cmp_ne_u16_e32 vcc, 0, v5
	v_cndmask_b32_e64 v5, 0, 1, vcc
	s_mov_b64 s[6:7], -1
	global_store_byte v[6:7], v5, off
.LBB31_1741:
	s_mov_b64 s[0:1], 0
.LBB31_1742:
	s_and_b64 vcc, exec, s[0:1]
	s_cbranch_vccz .LBB31_1781
; %bb.1743:
	v_mov_b32_e32 v5, 5
	v_cmp_lt_i16_sdwa s[4:5], s14, v5 src0_sel:BYTE_0 src1_sel:DWORD
	s_mov_b64 s[0:1], -1
	s_and_b64 vcc, exec, s[4:5]
	s_cbranch_vccnz .LBB31_1764
; %bb.1744:
	v_mov_b32_e32 v5, 8
	v_cmp_lt_i16_sdwa s[4:5], s14, v5 src0_sel:BYTE_0 src1_sel:DWORD
	s_and_b64 vcc, exec, s[4:5]
	s_cbranch_vccnz .LBB31_1754
; %bb.1745:
	v_mov_b32_e32 v5, 9
	v_cmp_lt_i16_sdwa s[4:5], s14, v5 src0_sel:BYTE_0 src1_sel:DWORD
	s_and_b64 vcc, exec, s[4:5]
	s_cbranch_vccnz .LBB31_1751
; %bb.1746:
	v_cmp_gt_i16_sdwa s[4:5], s14, v5 src0_sel:BYTE_0 src1_sel:DWORD
	s_and_b64 vcc, exec, s[4:5]
	s_cbranch_vccz .LBB31_1748
; %bb.1747:
	v_lshlrev_b32_e32 v5, 16, v1
	v_mov_b32_e32 v16, 0
	v_cvt_f64_f32_e32 v[14:15], v5
	v_mov_b32_e32 v17, v16
	global_store_dwordx4 v[6:7], v[14:17], off
	s_mov_b64 s[0:1], 0
.LBB31_1748:
	s_andn2_b64 vcc, exec, s[0:1]
	s_cbranch_vccnz .LBB31_1750
; %bb.1749:
	v_lshlrev_b32_e32 v14, 16, v1
	v_mov_b32_e32 v15, 0
	global_store_dwordx2 v[6:7], v[14:15], off
.LBB31_1750:
	s_mov_b64 s[0:1], 0
.LBB31_1751:
	s_andn2_b64 vcc, exec, s[0:1]
	s_cbranch_vccnz .LBB31_1753
; %bb.1752:
	v_lshlrev_b32_e32 v5, 16, v1
	v_cvt_f16_f32_e32 v5, v5
	global_store_dword v[6:7], v5, off
.LBB31_1753:
	s_mov_b64 s[0:1], 0
.LBB31_1754:
	s_andn2_b64 vcc, exec, s[0:1]
	s_cbranch_vccnz .LBB31_1763
; %bb.1755:
	v_mov_b32_e32 v5, 6
	v_cmp_lt_i16_sdwa s[4:5], s14, v5 src0_sel:BYTE_0 src1_sel:DWORD
	s_mov_b64 s[0:1], -1
	s_and_b64 vcc, exec, s[4:5]
	s_cbranch_vccnz .LBB31_1761
; %bb.1756:
	v_cmp_gt_i16_sdwa s[4:5], s14, v5 src0_sel:BYTE_0 src1_sel:DWORD
	s_and_b64 vcc, exec, s[4:5]
	s_cbranch_vccz .LBB31_1758
; %bb.1757:
	v_lshlrev_b32_e32 v5, 16, v1
	v_cvt_f64_f32_e32 v[14:15], v5
	global_store_dwordx2 v[6:7], v[14:15], off
	s_mov_b64 s[0:1], 0
.LBB31_1758:
	s_andn2_b64 vcc, exec, s[0:1]
	s_cbranch_vccnz .LBB31_1760
; %bb.1759:
	v_lshlrev_b32_e32 v5, 16, v1
	global_store_dword v[6:7], v5, off
.LBB31_1760:
	s_mov_b64 s[0:1], 0
.LBB31_1761:
	s_andn2_b64 vcc, exec, s[0:1]
	s_cbranch_vccnz .LBB31_1763
; %bb.1762:
	v_lshlrev_b32_e32 v5, 16, v1
	v_cvt_f16_f32_e32 v5, v5
	global_store_short v[6:7], v5, off
.LBB31_1763:
	s_mov_b64 s[0:1], 0
.LBB31_1764:
	s_andn2_b64 vcc, exec, s[0:1]
	s_cbranch_vccnz .LBB31_1780
; %bb.1765:
	v_mov_b32_e32 v5, 2
	v_cmp_lt_i16_sdwa s[4:5], s14, v5 src0_sel:BYTE_0 src1_sel:DWORD
	s_mov_b64 s[0:1], -1
	s_and_b64 vcc, exec, s[4:5]
	s_cbranch_vccnz .LBB31_1775
; %bb.1766:
	v_mov_b32_e32 v5, 3
	v_cmp_lt_i16_sdwa s[4:5], s14, v5 src0_sel:BYTE_0 src1_sel:DWORD
	s_and_b64 vcc, exec, s[4:5]
	s_cbranch_vccnz .LBB31_1772
; %bb.1767:
	v_cmp_gt_i16_sdwa s[4:5], s14, v5 src0_sel:BYTE_0 src1_sel:DWORD
	s_and_b64 vcc, exec, s[4:5]
	s_cbranch_vccz .LBB31_1769
; %bb.1768:
	v_lshlrev_b32_e32 v5, 16, v1
	v_trunc_f32_e32 v5, v5
	s_mov_b32 s0, 0x2f800000
	v_mul_f32_e64 v9, |v5|, s0
	v_floor_f32_e32 v9, v9
	s_mov_b32 s0, 0xcf800000
	v_cvt_u32_f32_e32 v11, v9
	v_fma_f32 v9, v9, s0, |v5|
	v_cvt_u32_f32_e32 v9, v9
	v_ashrrev_i32_e32 v5, 31, v5
	v_xor_b32_e32 v11, v11, v5
	s_mov_b64 s[0:1], 0
	v_xor_b32_e32 v9, v9, v5
	v_sub_co_u32_e32 v14, vcc, v9, v5
	v_subb_co_u32_e32 v15, vcc, v11, v5, vcc
	global_store_dwordx2 v[6:7], v[14:15], off
.LBB31_1769:
	s_andn2_b64 vcc, exec, s[0:1]
	s_cbranch_vccnz .LBB31_1771
; %bb.1770:
	v_lshlrev_b32_e32 v5, 16, v1
	v_cvt_i32_f32_e32 v5, v5
	global_store_dword v[6:7], v5, off
.LBB31_1771:
	s_mov_b64 s[0:1], 0
.LBB31_1772:
	s_andn2_b64 vcc, exec, s[0:1]
	s_cbranch_vccnz .LBB31_1774
; %bb.1773:
	v_lshlrev_b32_e32 v5, 16, v1
	v_cvt_i32_f32_e32 v5, v5
	global_store_short v[6:7], v5, off
.LBB31_1774:
	s_mov_b64 s[0:1], 0
.LBB31_1775:
	s_andn2_b64 vcc, exec, s[0:1]
	s_cbranch_vccnz .LBB31_1780
; %bb.1776:
	v_mov_b32_e32 v5, 0
	v_cmp_gt_i16_sdwa s[4:5], s14, v5 src0_sel:BYTE_0 src1_sel:DWORD
	s_mov_b64 s[0:1], -1
	s_and_b64 vcc, exec, s[4:5]
	v_lshlrev_b32_e32 v1, 16, v1
	s_cbranch_vccz .LBB31_1778
; %bb.1777:
	v_cvt_i32_f32_e32 v5, v1
	s_mov_b64 s[0:1], 0
	global_store_byte v[6:7], v5, off
.LBB31_1778:
	s_andn2_b64 vcc, exec, s[0:1]
	s_cbranch_vccnz .LBB31_1780
; %bb.1779:
	v_trunc_f32_e32 v1, v1
	s_mov_b32 s0, 0x2f800000
	v_mul_f32_e64 v5, |v1|, s0
	v_floor_f32_e32 v5, v5
	s_mov_b32 s0, 0xcf800000
	v_fma_f32 v5, v5, s0, |v1|
	v_cvt_u32_f32_e32 v5, v5
	v_ashrrev_i32_e32 v1, 31, v1
	v_xor_b32_e32 v5, v5, v1
	v_sub_u32_e32 v1, v5, v1
	global_store_byte v[6:7], v1, off
.LBB31_1780:
	s_mov_b64 s[6:7], -1
.LBB31_1781:
	s_andn2_b64 vcc, exec, s[6:7]
	s_cbranch_vccnz .LBB31_2112
; %bb.1782:
	v_lshlrev_b32_e32 v1, 16, v3
	v_cmp_nle_f32_e32 vcc, v8, v1
	v_cmp_nge_f32_e64 s[0:1], s15, v1
	s_or_b64 vcc, s[0:1], vcc
	v_cndmask_b32_e32 v1, 0, v3, vcc
	v_mov_b32_e32 v3, s9
	v_add_co_u32_e32 v4, vcc, s8, v4
	v_addc_co_u32_e32 v5, vcc, 0, v3, vcc
	v_mov_b32_e32 v3, 11
	v_cmp_lt_i16_sdwa s[0:1], s14, v3 src0_sel:BYTE_0 src1_sel:DWORD
	s_and_b64 vcc, exec, s[0:1]
	s_cbranch_vccnz .LBB31_1789
; %bb.1783:
	v_mov_b32_e32 v3, 25
	v_cmp_gt_i16_sdwa s[0:1], s14, v3 src0_sel:BYTE_0 src1_sel:DWORD
	s_mov_b64 s[10:11], -1
	s_mov_b64 s[4:5], 0
	s_and_b64 vcc, exec, s[0:1]
	s_mov_b64 s[6:7], 0
	s_mov_b64 s[0:1], 0
	s_cbranch_vccz .LBB31_1825
; %bb.1784:
	v_mov_b32_e32 v3, 28
	v_cmp_gt_i16_sdwa s[0:1], s14, v3 src0_sel:BYTE_0 src1_sel:DWORD
	s_and_b64 vcc, exec, s[0:1]
	s_cbranch_vccz .LBB31_1790
; %bb.1785:
	v_mov_b32_e32 v3, 43
	v_cmp_gt_i16_sdwa s[0:1], s14, v3 src0_sel:BYTE_0 src1_sel:DWORD
	s_and_b64 vcc, exec, s[0:1]
	;; [unrolled: 5-line block ×3, first 2 shown]
	s_cbranch_vccz .LBB31_1797
; %bb.1787:
	v_mov_b32_e32 v3, 46
	v_cmp_eq_u16_sdwa s[6:7], s14, v3 src0_sel:BYTE_0 src1_sel:DWORD
	s_mov_b64 s[0:1], -1
	s_mov_b64 s[10:11], 0
	s_and_b64 vcc, exec, s[6:7]
	s_mov_b64 s[6:7], 0
	s_cbranch_vccz .LBB31_1798
; %bb.1788:
	v_and_b32_e32 v3, 0xffff, v1
	global_store_dword v[4:5], v3, off
	s_mov_b64 s[0:1], 0
	s_mov_b64 s[6:7], -1
	s_branch .LBB31_1798
.LBB31_1789:
	s_mov_b64 s[0:1], -1
	s_mov_b64 s[6:7], 0
	s_branch .LBB31_1869
.LBB31_1790:
	s_mov_b64 s[0:1], 0
	s_branch .LBB31_1808
.LBB31_1791:
	s_or_saveexec_b64 s[12:13], s[12:13]
                                        ; implicit-def: $sgpr16
	s_xor_b64 exec, exec, s[12:13]
	s_cbranch_execz .LBB31_1692
.LBB31_1792:
	s_mov_b32 s16, 0x46000000
	v_add_f32_e64 v9, |v11|, s16
	v_and_b32_e32 v9, 0xff, v9
	v_cmp_ne_u32_e32 vcc, 0, v9
	s_andn2_b64 s[10:11], s[10:11], exec
	s_and_b64 s[18:19], vcc, exec
	s_mov_b32 s16, 0
	s_or_b64 s[10:11], s[10:11], s[18:19]
	s_or_b64 exec, exec, s[12:13]
	v_mov_b32_e32 v13, s16
	s_and_saveexec_b64 s[12:13], s[10:11]
	s_cbranch_execnz .LBB31_1693
	s_branch .LBB31_1694
.LBB31_1793:
	s_mov_b64 s[0:1], 0
	s_branch .LBB31_1804
.LBB31_1794:
	s_trap 2
	s_or_b64 s[2:3], s[2:3], exec
	s_cbranch_execz .LBB31_1740
	s_branch .LBB31_1741
.LBB31_1795:
	s_or_saveexec_b64 s[10:11], s[10:11]
                                        ; implicit-def: $sgpr12
	s_xor_b64 exec, exec, s[10:11]
	s_cbranch_execz .LBB31_1705
.LBB31_1796:
	s_mov_b32 s12, 0x42800000
	v_add_f32_e64 v9, |v11|, s12
	v_and_b32_e32 v9, 0xff, v9
	v_cmp_ne_u32_e32 vcc, 0, v9
	s_andn2_b64 s[6:7], s[6:7], exec
	s_and_b64 s[16:17], vcc, exec
	s_mov_b32 s12, 0
	s_or_b64 s[6:7], s[6:7], s[16:17]
	s_or_b64 exec, exec, s[10:11]
	v_mov_b32_e32 v13, s12
	s_and_saveexec_b64 s[10:11], s[6:7]
	s_cbranch_execnz .LBB31_1706
	s_branch .LBB31_1707
.LBB31_1797:
	s_mov_b64 s[0:1], 0
.LBB31_1798:
	s_and_b64 vcc, exec, s[10:11]
	s_cbranch_vccz .LBB31_1803
; %bb.1799:
	v_mov_b32_e32 v3, 44
	v_cmp_eq_u16_sdwa s[10:11], s14, v3 src0_sel:BYTE_0 src1_sel:DWORD
	s_mov_b64 s[0:1], -1
	s_and_b64 vcc, exec, s[10:11]
	s_cbranch_vccz .LBB31_1803
; %bb.1800:
	v_and_b32_e32 v6, 0xffff, v1
	v_bfe_u32 v3, v6, 7, 8
	s_movk_i32 s0, 0xff
	v_cmp_ne_u32_e32 vcc, s0, v3
	v_mov_b32_e32 v7, 0xff
	s_and_saveexec_b64 s[6:7], vcc
; %bb.1801:
	v_lshlrev_b32_e32 v9, 16, v6
	s_mov_b32 s0, 0x3f0000
	v_lshrrev_b32_e32 v7, 7, v6
	v_and_b32_e32 v6, 64, v6
	v_and_or_b32 v3, v9, s0, v3
	v_cmp_ne_u32_e32 vcc, 0, v6
	v_cmp_ne_u32_e64 s[0:1], 0, v3
	s_and_b64 s[0:1], vcc, s[0:1]
	v_cndmask_b32_e64 v3, 0, 1, s[0:1]
	v_add_u32_e32 v7, v7, v3
; %bb.1802:
	s_or_b64 exec, exec, s[6:7]
	s_mov_b64 s[0:1], 0
	s_mov_b64 s[6:7], -1
	global_store_byte v[4:5], v7, off
.LBB31_1803:
	s_mov_b64 s[10:11], 0
.LBB31_1804:
	s_and_b64 vcc, exec, s[10:11]
	s_cbranch_vccz .LBB31_1807
; %bb.1805:
	v_mov_b32_e32 v3, 29
	v_cmp_eq_u16_sdwa s[10:11], s14, v3 src0_sel:BYTE_0 src1_sel:DWORD
	s_mov_b64 s[0:1], -1
	s_and_b64 vcc, exec, s[10:11]
	s_cbranch_vccz .LBB31_1807
; %bb.1806:
	v_lshlrev_b32_e32 v3, 16, v1
	v_trunc_f32_e32 v3, v3
	v_mul_f32_e32 v6, 0x2f800000, v3
	v_floor_f32_e32 v6, v6
	v_fmac_f32_e32 v3, 0xcf800000, v6
	v_cvt_u32_f32_e32 v7, v6
	v_cvt_u32_f32_e32 v6, v3
	s_mov_b64 s[0:1], 0
	s_mov_b64 s[6:7], -1
	s_mov_b64 s[10:11], 0
	global_store_dwordx2 v[4:5], v[6:7], off
	s_branch .LBB31_1808
.LBB31_1807:
	s_mov_b64 s[10:11], 0
.LBB31_1808:
	s_and_b64 vcc, exec, s[10:11]
	s_cbranch_vccz .LBB31_1824
; %bb.1809:
	v_mov_b32_e32 v3, 27
	v_cmp_lt_i16_sdwa s[10:11], s14, v3 src0_sel:BYTE_0 src1_sel:DWORD
	s_mov_b64 s[6:7], -1
	s_and_b64 vcc, exec, s[10:11]
	s_cbranch_vccnz .LBB31_1815
; %bb.1810:
	v_cmp_gt_i16_sdwa s[10:11], s14, v3 src0_sel:BYTE_0 src1_sel:DWORD
	s_and_b64 vcc, exec, s[10:11]
	s_cbranch_vccz .LBB31_1812
; %bb.1811:
	v_lshlrev_b32_e32 v3, 16, v1
	v_cvt_u32_f32_e32 v3, v3
	s_mov_b64 s[6:7], 0
	global_store_dword v[4:5], v3, off
.LBB31_1812:
	s_andn2_b64 vcc, exec, s[6:7]
	s_cbranch_vccnz .LBB31_1814
; %bb.1813:
	v_lshlrev_b32_e32 v3, 16, v1
	v_cvt_u32_f32_e32 v3, v3
	global_store_short v[4:5], v3, off
.LBB31_1814:
	s_mov_b64 s[6:7], 0
.LBB31_1815:
	s_andn2_b64 vcc, exec, s[6:7]
	s_cbranch_vccnz .LBB31_1823
; %bb.1816:
	v_lshlrev_b32_e32 v7, 16, v1
	v_and_b32_e32 v6, 0x7fffffff, v7
	s_mov_b32 s6, 0x43800000
	v_cmp_gt_u32_e32 vcc, s6, v6
	v_mov_b32_e32 v9, 0x80
	s_and_saveexec_b64 s[6:7], vcc
	s_cbranch_execz .LBB31_1822
; %bb.1817:
	s_mov_b32 s10, 0x3bffffff
	v_and_b32_e32 v3, 0xffff, v1
	v_cmp_lt_u32_e32 vcc, s10, v6
	s_mov_b64 s[10:11], 0
                                        ; implicit-def: $vgpr6
	s_and_saveexec_b64 s[12:13], vcc
	s_xor_b64 s[12:13], exec, s[12:13]
	s_cbranch_execz .LBB31_1918
; %bb.1818:
	v_bfe_u32 v6, v3, 4, 1
	s_mov_b32 s16, 0x487ffff
	v_add3_u32 v6, v7, v6, s16
	s_mov_b64 s[10:11], exec
	v_lshrrev_b32_e32 v6, 20, v6
                                        ; implicit-def: $vgpr7
	s_or_saveexec_b64 s[12:13], s[12:13]
                                        ; implicit-def: $sgpr16
	s_xor_b64 exec, exec, s[12:13]
	s_cbranch_execnz .LBB31_1919
.LBB31_1819:
	s_or_b64 exec, exec, s[12:13]
	v_mov_b32_e32 v9, s16
	s_and_saveexec_b64 s[12:13], s[10:11]
.LBB31_1820:
	v_lshrrev_b32_e32 v3, 8, v3
	s_movk_i32 s10, 0x80
	v_and_or_b32 v9, v3, s10, v6
.LBB31_1821:
	s_or_b64 exec, exec, s[12:13]
.LBB31_1822:
	s_or_b64 exec, exec, s[6:7]
	global_store_byte v[4:5], v9, off
.LBB31_1823:
	s_mov_b64 s[6:7], -1
.LBB31_1824:
	s_mov_b64 s[10:11], 0
.LBB31_1825:
	s_and_b64 vcc, exec, s[10:11]
	s_cbranch_vccz .LBB31_1865
; %bb.1826:
	v_mov_b32_e32 v3, 22
	v_cmp_gt_i16_sdwa s[10:11], s14, v3 src0_sel:BYTE_0 src1_sel:DWORD
	s_mov_b64 s[4:5], -1
	s_and_b64 vcc, exec, s[10:11]
	s_cbranch_vccz .LBB31_1858
; %bb.1827:
	v_mov_b32_e32 v3, 24
	v_cmp_lt_i16_sdwa s[6:7], s14, v3 src0_sel:BYTE_0 src1_sel:DWORD
	s_and_b64 vcc, exec, s[6:7]
	s_cbranch_vccnz .LBB31_1847
; %bb.1828:
	v_cmp_gt_i16_sdwa s[6:7], s14, v3 src0_sel:BYTE_0 src1_sel:DWORD
	s_and_b64 vcc, exec, s[6:7]
	s_cbranch_vccz .LBB31_1836
; %bb.1829:
	v_lshlrev_b32_e32 v7, 16, v1
	v_and_b32_e32 v6, 0x7fffffff, v7
	s_mov_b32 s4, 0x47800000
	v_cmp_gt_u32_e32 vcc, s4, v6
	v_mov_b32_e32 v9, 0x80
	s_and_saveexec_b64 s[4:5], vcc
	s_cbranch_execz .LBB31_1835
; %bb.1830:
	s_mov_b32 s6, 0x37ffffff
	v_and_b32_e32 v3, 0xffff, v1
	v_cmp_lt_u32_e32 vcc, s6, v6
	s_mov_b64 s[6:7], 0
                                        ; implicit-def: $vgpr6
	s_and_saveexec_b64 s[10:11], vcc
	s_xor_b64 s[10:11], exec, s[10:11]
	s_cbranch_execz .LBB31_1922
; %bb.1831:
	v_bfe_u32 v6, v3, 5, 1
	s_mov_b32 s12, 0x88fffff
	v_add3_u32 v6, v7, v6, s12
	s_mov_b64 s[6:7], exec
	v_lshrrev_b32_e32 v6, 21, v6
                                        ; implicit-def: $vgpr7
	s_or_saveexec_b64 s[10:11], s[10:11]
                                        ; implicit-def: $sgpr12
	s_xor_b64 exec, exec, s[10:11]
	s_cbranch_execnz .LBB31_1923
.LBB31_1832:
	s_or_b64 exec, exec, s[10:11]
	v_mov_b32_e32 v9, s12
	s_and_saveexec_b64 s[10:11], s[6:7]
.LBB31_1833:
	v_lshrrev_b32_e32 v3, 8, v3
	s_movk_i32 s6, 0x80
	v_and_or_b32 v9, v3, s6, v6
.LBB31_1834:
	s_or_b64 exec, exec, s[10:11]
.LBB31_1835:
	s_or_b64 exec, exec, s[4:5]
	s_mov_b64 s[4:5], 0
	global_store_byte v[4:5], v9, off
.LBB31_1836:
	s_and_b64 vcc, exec, s[4:5]
	s_cbranch_vccz .LBB31_1846
; %bb.1837:
	v_lshlrev_b32_e32 v7, 16, v1
	v_and_b32_e32 v9, 0x7fffffff, v7
	s_mov_b32 s4, 0x43f00000
	v_and_b32_e32 v3, 0xffff, v1
	v_cmp_gt_u32_e32 vcc, s4, v9
                                        ; implicit-def: $vgpr6
	s_and_saveexec_b64 s[4:5], vcc
	s_xor_b64 s[4:5], exec, s[4:5]
	s_cbranch_execz .LBB31_1843
; %bb.1838:
	s_mov_b32 s6, 0x3c7fffff
	v_cmp_lt_u32_e32 vcc, s6, v9
                                        ; implicit-def: $vgpr6
	s_and_saveexec_b64 s[6:7], vcc
	s_xor_b64 s[6:7], exec, s[6:7]
; %bb.1839:
	v_bfe_u32 v6, v3, 4, 1
	s_mov_b32 s10, 0x407ffff
	v_add3_u32 v6, v7, v6, s10
	v_lshrrev_b32_e32 v7, 20, v6
	v_and_b32_e32 v6, 0xff00000, v6
	s_mov_b32 s10, 0x7f00000
	v_mov_b32_e32 v9, 0x7e
	v_cmp_ne_u32_e32 vcc, s10, v6
	v_cndmask_b32_e32 v6, v9, v7, vcc
                                        ; implicit-def: $vgpr7
; %bb.1840:
	s_andn2_saveexec_b64 s[6:7], s[6:7]
; %bb.1841:
	s_mov_b32 s10, 0x46800000
	v_add_f32_e64 v6, |v7|, s10
; %bb.1842:
	s_or_b64 exec, exec, s[6:7]
                                        ; implicit-def: $vgpr9
.LBB31_1843:
	s_andn2_saveexec_b64 s[4:5], s[4:5]
; %bb.1844:
	s_mov_b32 s6, 0x7f800000
	v_mov_b32_e32 v6, 0x7e
	v_mov_b32_e32 v7, 0x7f
	v_cmp_lt_u32_e32 vcc, s6, v9
	v_cndmask_b32_e32 v6, v6, v7, vcc
; %bb.1845:
	s_or_b64 exec, exec, s[4:5]
	v_lshrrev_b32_e32 v3, 8, v3
	s_movk_i32 s4, 0x80
	v_and_or_b32 v3, v3, s4, v6
	global_store_byte v[4:5], v3, off
.LBB31_1846:
	s_mov_b64 s[4:5], 0
.LBB31_1847:
	s_andn2_b64 vcc, exec, s[4:5]
	s_cbranch_vccnz .LBB31_1857
; %bb.1848:
	v_lshlrev_b32_e32 v7, 16, v1
	v_and_b32_e32 v9, 0x7fffffff, v7
	s_mov_b32 s4, 0x47800000
	v_and_b32_e32 v3, 0xffff, v1
	v_cmp_gt_u32_e32 vcc, s4, v9
                                        ; implicit-def: $vgpr6
	s_and_saveexec_b64 s[4:5], vcc
	s_xor_b64 s[4:5], exec, s[4:5]
	s_cbranch_execz .LBB31_1854
; %bb.1849:
	s_mov_b32 s6, 0x387fffff
	v_cmp_lt_u32_e32 vcc, s6, v9
                                        ; implicit-def: $vgpr6
	s_and_saveexec_b64 s[6:7], vcc
	s_xor_b64 s[6:7], exec, s[6:7]
; %bb.1850:
	v_bfe_u32 v6, v3, 5, 1
	s_mov_b32 s10, 0x80fffff
	v_add3_u32 v6, v7, v6, s10
	v_lshrrev_b32_e32 v6, 21, v6
                                        ; implicit-def: $vgpr7
; %bb.1851:
	s_andn2_saveexec_b64 s[6:7], s[6:7]
; %bb.1852:
	s_mov_b32 s10, 0x43000000
	v_add_f32_e64 v6, |v7|, s10
; %bb.1853:
	s_or_b64 exec, exec, s[6:7]
                                        ; implicit-def: $vgpr9
.LBB31_1854:
	s_andn2_saveexec_b64 s[4:5], s[4:5]
; %bb.1855:
	s_mov_b32 s6, 0x7f800000
	v_mov_b32_e32 v6, 0x7c
	v_mov_b32_e32 v7, 0x7f
	v_cmp_lt_u32_e32 vcc, s6, v9
	v_cndmask_b32_e32 v6, v6, v7, vcc
; %bb.1856:
	s_or_b64 exec, exec, s[4:5]
	v_lshrrev_b32_e32 v3, 8, v3
	s_movk_i32 s4, 0x80
	v_and_or_b32 v3, v3, s4, v6
	global_store_byte v[4:5], v3, off
.LBB31_1857:
	s_mov_b64 s[4:5], 0
	s_mov_b64 s[6:7], -1
.LBB31_1858:
	s_andn2_b64 vcc, exec, s[4:5]
	s_mov_b64 s[4:5], 0
	s_cbranch_vccnz .LBB31_1865
; %bb.1859:
	v_mov_b32_e32 v3, 14
	v_cmp_gt_i16_sdwa s[4:5], s14, v3 src0_sel:BYTE_0 src1_sel:DWORD
	s_mov_b64 s[10:11], -1
	s_and_b64 vcc, exec, s[4:5]
	s_cbranch_vccz .LBB31_1863
; %bb.1860:
	v_mov_b32_e32 v3, 15
	v_cmp_eq_u16_sdwa s[4:5], s14, v3 src0_sel:BYTE_0 src1_sel:DWORD
	s_mov_b64 s[0:1], -1
	s_and_b64 vcc, exec, s[4:5]
	s_cbranch_vccz .LBB31_1862
; %bb.1861:
	global_store_short v[4:5], v1, off
	s_mov_b64 s[0:1], 0
	s_mov_b64 s[6:7], -1
.LBB31_1862:
	s_mov_b64 s[10:11], 0
.LBB31_1863:
	s_mov_b64 s[4:5], 0
	s_and_b64 vcc, exec, s[10:11]
	s_cbranch_vccz .LBB31_1865
; %bb.1864:
	v_mov_b32_e32 v3, 11
	v_cmp_ne_u16_sdwa s[0:1], s14, v3 src0_sel:BYTE_0 src1_sel:DWORD
	s_mov_b64 s[4:5], -1
.LBB31_1865:
	s_and_b64 vcc, exec, s[0:1]
	s_cbranch_vccnz .LBB31_1921
; %bb.1866:
	s_andn2_b64 vcc, exec, s[4:5]
	s_cbranch_vccnz .LBB31_1868
.LBB31_1867:
	v_and_b32_e32 v3, 0x7fff, v1
	v_cmp_ne_u16_e32 vcc, 0, v3
	v_cndmask_b32_e64 v3, 0, 1, vcc
	s_mov_b64 s[6:7], -1
	global_store_byte v[4:5], v3, off
.LBB31_1868:
	s_mov_b64 s[0:1], 0
.LBB31_1869:
	s_and_b64 vcc, exec, s[0:1]
	s_cbranch_vccz .LBB31_1908
; %bb.1870:
	v_mov_b32_e32 v3, 5
	v_cmp_lt_i16_sdwa s[4:5], s14, v3 src0_sel:BYTE_0 src1_sel:DWORD
	s_mov_b64 s[0:1], -1
	s_and_b64 vcc, exec, s[4:5]
	s_cbranch_vccnz .LBB31_1891
; %bb.1871:
	v_mov_b32_e32 v3, 8
	v_cmp_lt_i16_sdwa s[4:5], s14, v3 src0_sel:BYTE_0 src1_sel:DWORD
	s_and_b64 vcc, exec, s[4:5]
	s_cbranch_vccnz .LBB31_1881
; %bb.1872:
	v_mov_b32_e32 v3, 9
	v_cmp_lt_i16_sdwa s[4:5], s14, v3 src0_sel:BYTE_0 src1_sel:DWORD
	s_and_b64 vcc, exec, s[4:5]
	s_cbranch_vccnz .LBB31_1878
; %bb.1873:
	v_cmp_gt_i16_sdwa s[4:5], s14, v3 src0_sel:BYTE_0 src1_sel:DWORD
	s_and_b64 vcc, exec, s[4:5]
	s_cbranch_vccz .LBB31_1875
; %bb.1874:
	v_lshlrev_b32_e32 v3, 16, v1
	v_mov_b32_e32 v16, 0
	v_cvt_f64_f32_e32 v[14:15], v3
	v_mov_b32_e32 v17, v16
	global_store_dwordx4 v[4:5], v[14:17], off
	s_mov_b64 s[0:1], 0
.LBB31_1875:
	s_andn2_b64 vcc, exec, s[0:1]
	s_cbranch_vccnz .LBB31_1877
; %bb.1876:
	v_lshlrev_b32_e32 v6, 16, v1
	v_mov_b32_e32 v7, 0
	global_store_dwordx2 v[4:5], v[6:7], off
.LBB31_1877:
	s_mov_b64 s[0:1], 0
.LBB31_1878:
	s_andn2_b64 vcc, exec, s[0:1]
	s_cbranch_vccnz .LBB31_1880
; %bb.1879:
	v_lshlrev_b32_e32 v3, 16, v1
	v_cvt_f16_f32_e32 v3, v3
	global_store_dword v[4:5], v3, off
.LBB31_1880:
	s_mov_b64 s[0:1], 0
.LBB31_1881:
	s_andn2_b64 vcc, exec, s[0:1]
	s_cbranch_vccnz .LBB31_1890
; %bb.1882:
	v_mov_b32_e32 v3, 6
	v_cmp_lt_i16_sdwa s[4:5], s14, v3 src0_sel:BYTE_0 src1_sel:DWORD
	s_mov_b64 s[0:1], -1
	s_and_b64 vcc, exec, s[4:5]
	s_cbranch_vccnz .LBB31_1888
; %bb.1883:
	v_cmp_gt_i16_sdwa s[4:5], s14, v3 src0_sel:BYTE_0 src1_sel:DWORD
	s_and_b64 vcc, exec, s[4:5]
	s_cbranch_vccz .LBB31_1885
; %bb.1884:
	v_lshlrev_b32_e32 v3, 16, v1
	v_cvt_f64_f32_e32 v[6:7], v3
	global_store_dwordx2 v[4:5], v[6:7], off
	s_mov_b64 s[0:1], 0
.LBB31_1885:
	s_andn2_b64 vcc, exec, s[0:1]
	s_cbranch_vccnz .LBB31_1887
; %bb.1886:
	v_lshlrev_b32_e32 v3, 16, v1
	global_store_dword v[4:5], v3, off
.LBB31_1887:
	s_mov_b64 s[0:1], 0
.LBB31_1888:
	s_andn2_b64 vcc, exec, s[0:1]
	s_cbranch_vccnz .LBB31_1890
; %bb.1889:
	v_lshlrev_b32_e32 v3, 16, v1
	v_cvt_f16_f32_e32 v3, v3
	global_store_short v[4:5], v3, off
.LBB31_1890:
	s_mov_b64 s[0:1], 0
.LBB31_1891:
	s_andn2_b64 vcc, exec, s[0:1]
	s_cbranch_vccnz .LBB31_1907
; %bb.1892:
	v_mov_b32_e32 v3, 2
	v_cmp_lt_i16_sdwa s[4:5], s14, v3 src0_sel:BYTE_0 src1_sel:DWORD
	s_mov_b64 s[0:1], -1
	s_and_b64 vcc, exec, s[4:5]
	s_cbranch_vccnz .LBB31_1902
; %bb.1893:
	v_mov_b32_e32 v3, 3
	v_cmp_lt_i16_sdwa s[4:5], s14, v3 src0_sel:BYTE_0 src1_sel:DWORD
	s_and_b64 vcc, exec, s[4:5]
	s_cbranch_vccnz .LBB31_1899
; %bb.1894:
	v_cmp_gt_i16_sdwa s[4:5], s14, v3 src0_sel:BYTE_0 src1_sel:DWORD
	s_and_b64 vcc, exec, s[4:5]
	s_cbranch_vccz .LBB31_1896
; %bb.1895:
	v_lshlrev_b32_e32 v3, 16, v1
	v_trunc_f32_e32 v3, v3
	s_mov_b32 s0, 0x2f800000
	v_mul_f32_e64 v6, |v3|, s0
	v_floor_f32_e32 v6, v6
	s_mov_b32 s0, 0xcf800000
	v_cvt_u32_f32_e32 v7, v6
	v_fma_f32 v6, v6, s0, |v3|
	v_cvt_u32_f32_e32 v6, v6
	v_ashrrev_i32_e32 v3, 31, v3
	v_xor_b32_e32 v7, v7, v3
	s_mov_b64 s[0:1], 0
	v_xor_b32_e32 v6, v6, v3
	v_sub_co_u32_e32 v6, vcc, v6, v3
	v_subb_co_u32_e32 v7, vcc, v7, v3, vcc
	global_store_dwordx2 v[4:5], v[6:7], off
.LBB31_1896:
	s_andn2_b64 vcc, exec, s[0:1]
	s_cbranch_vccnz .LBB31_1898
; %bb.1897:
	v_lshlrev_b32_e32 v3, 16, v1
	v_cvt_i32_f32_e32 v3, v3
	global_store_dword v[4:5], v3, off
.LBB31_1898:
	s_mov_b64 s[0:1], 0
.LBB31_1899:
	s_andn2_b64 vcc, exec, s[0:1]
	s_cbranch_vccnz .LBB31_1901
; %bb.1900:
	v_lshlrev_b32_e32 v3, 16, v1
	v_cvt_i32_f32_e32 v3, v3
	global_store_short v[4:5], v3, off
.LBB31_1901:
	s_mov_b64 s[0:1], 0
.LBB31_1902:
	s_andn2_b64 vcc, exec, s[0:1]
	s_cbranch_vccnz .LBB31_1907
; %bb.1903:
	v_mov_b32_e32 v3, 0
	v_cmp_gt_i16_sdwa s[4:5], s14, v3 src0_sel:BYTE_0 src1_sel:DWORD
	s_mov_b64 s[0:1], -1
	s_and_b64 vcc, exec, s[4:5]
	v_lshlrev_b32_e32 v1, 16, v1
	s_cbranch_vccz .LBB31_1905
; %bb.1904:
	v_cvt_i32_f32_e32 v3, v1
	s_mov_b64 s[0:1], 0
	global_store_byte v[4:5], v3, off
.LBB31_1905:
	s_andn2_b64 vcc, exec, s[0:1]
	s_cbranch_vccnz .LBB31_1907
; %bb.1906:
	v_trunc_f32_e32 v1, v1
	s_mov_b32 s0, 0x2f800000
	v_mul_f32_e64 v3, |v1|, s0
	v_floor_f32_e32 v3, v3
	s_mov_b32 s0, 0xcf800000
	v_fma_f32 v3, v3, s0, |v1|
	v_cvt_u32_f32_e32 v3, v3
	v_ashrrev_i32_e32 v1, 31, v1
	v_xor_b32_e32 v3, v3, v1
	v_sub_u32_e32 v1, v3, v1
	global_store_byte v[4:5], v1, off
.LBB31_1907:
	s_mov_b64 s[6:7], -1
.LBB31_1908:
	s_andn2_b64 vcc, exec, s[6:7]
	s_cbranch_vccnz .LBB31_2112
; %bb.1909:
	v_lshlrev_b32_e32 v1, 16, v12
	v_cmp_nle_f32_e32 vcc, v8, v1
	v_cmp_nge_f32_e64 s[0:1], s15, v1
	s_or_b64 vcc, s[0:1], vcc
	v_cndmask_b32_e32 v1, 0, v12, vcc
	v_mov_b32_e32 v3, s9
	v_add_co_u32_e32 v2, vcc, s8, v2
	v_mov_b32_e32 v4, 11
	v_addc_co_u32_e32 v3, vcc, 0, v3, vcc
	v_cmp_lt_i16_sdwa s[0:1], s14, v4 src0_sel:BYTE_0 src1_sel:DWORD
	s_and_b64 vcc, exec, s[0:1]
	s_cbranch_vccnz .LBB31_1916
; %bb.1910:
	v_mov_b32_e32 v4, 25
	v_cmp_gt_i16_sdwa s[0:1], s14, v4 src0_sel:BYTE_0 src1_sel:DWORD
	s_mov_b64 s[10:11], -1
	s_mov_b64 s[4:5], 0
	s_and_b64 vcc, exec, s[0:1]
	s_mov_b64 s[6:7], 0
	s_mov_b64 s[0:1], 0
	s_cbranch_vccz .LBB31_1952
; %bb.1911:
	v_mov_b32_e32 v4, 28
	v_cmp_gt_i16_sdwa s[0:1], s14, v4 src0_sel:BYTE_0 src1_sel:DWORD
	s_and_b64 vcc, exec, s[0:1]
	s_cbranch_vccz .LBB31_1917
; %bb.1912:
	v_mov_b32_e32 v4, 43
	v_cmp_gt_i16_sdwa s[0:1], s14, v4 src0_sel:BYTE_0 src1_sel:DWORD
	s_and_b64 vcc, exec, s[0:1]
	s_cbranch_vccz .LBB31_1920
; %bb.1913:
	v_mov_b32_e32 v4, 45
	v_cmp_gt_i16_sdwa s[0:1], s14, v4 src0_sel:BYTE_0 src1_sel:DWORD
	s_and_b64 vcc, exec, s[0:1]
	s_cbranch_vccz .LBB31_1924
; %bb.1914:
	v_mov_b32_e32 v4, 46
	v_cmp_eq_u16_sdwa s[6:7], s14, v4 src0_sel:BYTE_0 src1_sel:DWORD
	s_mov_b64 s[0:1], -1
	s_mov_b64 s[10:11], 0
	s_and_b64 vcc, exec, s[6:7]
	s_mov_b64 s[6:7], 0
	s_cbranch_vccz .LBB31_1925
; %bb.1915:
	v_and_b32_e32 v4, 0xffff, v1
	global_store_dword v[2:3], v4, off
	s_mov_b64 s[0:1], 0
	s_mov_b64 s[6:7], -1
	s_branch .LBB31_1925
.LBB31_1916:
	s_mov_b64 s[0:1], -1
	s_mov_b64 s[6:7], 0
	s_branch .LBB31_1996
.LBB31_1917:
	s_mov_b64 s[0:1], 0
	s_branch .LBB31_1935
.LBB31_1918:
	s_or_saveexec_b64 s[12:13], s[12:13]
                                        ; implicit-def: $sgpr16
	s_xor_b64 exec, exec, s[12:13]
	s_cbranch_execz .LBB31_1819
.LBB31_1919:
	s_mov_b32 s16, 0x46000000
	v_add_f32_e64 v6, |v7|, s16
	v_and_b32_e32 v6, 0xff, v6
	v_cmp_ne_u32_e32 vcc, 0, v6
	s_andn2_b64 s[10:11], s[10:11], exec
	s_and_b64 s[18:19], vcc, exec
	s_mov_b32 s16, 0
	s_or_b64 s[10:11], s[10:11], s[18:19]
	s_or_b64 exec, exec, s[12:13]
	v_mov_b32_e32 v9, s16
	s_and_saveexec_b64 s[12:13], s[10:11]
	s_cbranch_execnz .LBB31_1820
	s_branch .LBB31_1821
.LBB31_1920:
	s_mov_b64 s[0:1], 0
	s_branch .LBB31_1931
.LBB31_1921:
	s_trap 2
	s_or_b64 s[2:3], s[2:3], exec
	s_cbranch_execz .LBB31_1867
	s_branch .LBB31_1868
.LBB31_1922:
	s_or_saveexec_b64 s[10:11], s[10:11]
                                        ; implicit-def: $sgpr12
	s_xor_b64 exec, exec, s[10:11]
	s_cbranch_execz .LBB31_1832
.LBB31_1923:
	s_mov_b32 s12, 0x42800000
	v_add_f32_e64 v6, |v7|, s12
	v_and_b32_e32 v6, 0xff, v6
	v_cmp_ne_u32_e32 vcc, 0, v6
	s_andn2_b64 s[6:7], s[6:7], exec
	s_and_b64 s[16:17], vcc, exec
	s_mov_b32 s12, 0
	s_or_b64 s[6:7], s[6:7], s[16:17]
	s_or_b64 exec, exec, s[10:11]
	v_mov_b32_e32 v9, s12
	s_and_saveexec_b64 s[10:11], s[6:7]
	s_cbranch_execnz .LBB31_1833
	s_branch .LBB31_1834
.LBB31_1924:
	s_mov_b64 s[0:1], 0
.LBB31_1925:
	s_and_b64 vcc, exec, s[10:11]
	s_cbranch_vccz .LBB31_1930
; %bb.1926:
	v_mov_b32_e32 v4, 44
	v_cmp_eq_u16_sdwa s[10:11], s14, v4 src0_sel:BYTE_0 src1_sel:DWORD
	s_mov_b64 s[0:1], -1
	s_and_b64 vcc, exec, s[10:11]
	s_cbranch_vccz .LBB31_1930
; %bb.1927:
	v_and_b32_e32 v5, 0xffff, v1
	v_bfe_u32 v4, v5, 7, 8
	s_movk_i32 s0, 0xff
	v_cmp_ne_u32_e32 vcc, s0, v4
	v_mov_b32_e32 v6, 0xff
	s_and_saveexec_b64 s[6:7], vcc
; %bb.1928:
	v_lshlrev_b32_e32 v7, 16, v5
	s_mov_b32 s0, 0x3f0000
	v_lshrrev_b32_e32 v6, 7, v5
	v_and_b32_e32 v5, 64, v5
	v_and_or_b32 v4, v7, s0, v4
	v_cmp_ne_u32_e32 vcc, 0, v5
	v_cmp_ne_u32_e64 s[0:1], 0, v4
	s_and_b64 s[0:1], vcc, s[0:1]
	v_cndmask_b32_e64 v4, 0, 1, s[0:1]
	v_add_u32_e32 v6, v6, v4
; %bb.1929:
	s_or_b64 exec, exec, s[6:7]
	s_mov_b64 s[0:1], 0
	s_mov_b64 s[6:7], -1
	global_store_byte v[2:3], v6, off
.LBB31_1930:
	s_mov_b64 s[10:11], 0
.LBB31_1931:
	s_and_b64 vcc, exec, s[10:11]
	s_cbranch_vccz .LBB31_1934
; %bb.1932:
	v_mov_b32_e32 v4, 29
	v_cmp_eq_u16_sdwa s[10:11], s14, v4 src0_sel:BYTE_0 src1_sel:DWORD
	s_mov_b64 s[0:1], -1
	s_and_b64 vcc, exec, s[10:11]
	s_cbranch_vccz .LBB31_1934
; %bb.1933:
	v_lshlrev_b32_e32 v4, 16, v1
	v_trunc_f32_e32 v4, v4
	v_mul_f32_e32 v5, 0x2f800000, v4
	v_floor_f32_e32 v6, v5
	v_fmac_f32_e32 v4, 0xcf800000, v6
	v_cvt_u32_f32_e32 v5, v6
	v_cvt_u32_f32_e32 v4, v4
	s_mov_b64 s[0:1], 0
	s_mov_b64 s[6:7], -1
	s_mov_b64 s[10:11], 0
	global_store_dwordx2 v[2:3], v[4:5], off
	s_branch .LBB31_1935
.LBB31_1934:
	s_mov_b64 s[10:11], 0
.LBB31_1935:
	s_and_b64 vcc, exec, s[10:11]
	s_cbranch_vccz .LBB31_1951
; %bb.1936:
	v_mov_b32_e32 v4, 27
	v_cmp_lt_i16_sdwa s[10:11], s14, v4 src0_sel:BYTE_0 src1_sel:DWORD
	s_mov_b64 s[6:7], -1
	s_and_b64 vcc, exec, s[10:11]
	s_cbranch_vccnz .LBB31_1942
; %bb.1937:
	v_cmp_gt_i16_sdwa s[10:11], s14, v4 src0_sel:BYTE_0 src1_sel:DWORD
	s_and_b64 vcc, exec, s[10:11]
	s_cbranch_vccz .LBB31_1939
; %bb.1938:
	v_lshlrev_b32_e32 v4, 16, v1
	v_cvt_u32_f32_e32 v4, v4
	s_mov_b64 s[6:7], 0
	global_store_dword v[2:3], v4, off
.LBB31_1939:
	s_andn2_b64 vcc, exec, s[6:7]
	s_cbranch_vccnz .LBB31_1941
; %bb.1940:
	v_lshlrev_b32_e32 v4, 16, v1
	v_cvt_u32_f32_e32 v4, v4
	global_store_short v[2:3], v4, off
.LBB31_1941:
	s_mov_b64 s[6:7], 0
.LBB31_1942:
	s_andn2_b64 vcc, exec, s[6:7]
	s_cbranch_vccnz .LBB31_1950
; %bb.1943:
	v_lshlrev_b32_e32 v6, 16, v1
	v_and_b32_e32 v5, 0x7fffffff, v6
	s_mov_b32 s6, 0x43800000
	v_cmp_gt_u32_e32 vcc, s6, v5
	v_mov_b32_e32 v7, 0x80
	s_and_saveexec_b64 s[6:7], vcc
	s_cbranch_execz .LBB31_1949
; %bb.1944:
	s_mov_b32 s10, 0x3bffffff
	v_and_b32_e32 v4, 0xffff, v1
	v_cmp_lt_u32_e32 vcc, s10, v5
	s_mov_b64 s[10:11], 0
                                        ; implicit-def: $vgpr5
	s_and_saveexec_b64 s[12:13], vcc
	s_xor_b64 s[12:13], exec, s[12:13]
	s_cbranch_execz .LBB31_2158
; %bb.1945:
	v_bfe_u32 v5, v4, 4, 1
	s_mov_b32 s16, 0x487ffff
	v_add3_u32 v5, v6, v5, s16
	s_mov_b64 s[10:11], exec
	v_lshrrev_b32_e32 v5, 20, v5
                                        ; implicit-def: $vgpr6
	s_or_saveexec_b64 s[12:13], s[12:13]
                                        ; implicit-def: $sgpr16
	s_xor_b64 exec, exec, s[12:13]
	s_cbranch_execnz .LBB31_2159
.LBB31_1946:
	s_or_b64 exec, exec, s[12:13]
	v_mov_b32_e32 v7, s16
	s_and_saveexec_b64 s[12:13], s[10:11]
.LBB31_1947:
	v_lshrrev_b32_e32 v4, 8, v4
	s_movk_i32 s10, 0x80
	v_and_or_b32 v7, v4, s10, v5
.LBB31_1948:
	s_or_b64 exec, exec, s[12:13]
.LBB31_1949:
	s_or_b64 exec, exec, s[6:7]
	global_store_byte v[2:3], v7, off
.LBB31_1950:
	s_mov_b64 s[6:7], -1
.LBB31_1951:
	s_mov_b64 s[10:11], 0
.LBB31_1952:
	s_and_b64 vcc, exec, s[10:11]
	s_cbranch_vccz .LBB31_1992
; %bb.1953:
	v_mov_b32_e32 v4, 22
	v_cmp_gt_i16_sdwa s[10:11], s14, v4 src0_sel:BYTE_0 src1_sel:DWORD
	s_mov_b64 s[4:5], -1
	s_and_b64 vcc, exec, s[10:11]
	s_cbranch_vccz .LBB31_1985
; %bb.1954:
	v_mov_b32_e32 v4, 24
	v_cmp_lt_i16_sdwa s[6:7], s14, v4 src0_sel:BYTE_0 src1_sel:DWORD
	s_and_b64 vcc, exec, s[6:7]
	s_cbranch_vccnz .LBB31_1974
; %bb.1955:
	v_cmp_gt_i16_sdwa s[6:7], s14, v4 src0_sel:BYTE_0 src1_sel:DWORD
	s_and_b64 vcc, exec, s[6:7]
	s_cbranch_vccz .LBB31_1963
; %bb.1956:
	v_lshlrev_b32_e32 v6, 16, v1
	v_and_b32_e32 v5, 0x7fffffff, v6
	s_mov_b32 s4, 0x47800000
	v_cmp_gt_u32_e32 vcc, s4, v5
	v_mov_b32_e32 v7, 0x80
	s_and_saveexec_b64 s[4:5], vcc
	s_cbranch_execz .LBB31_1962
; %bb.1957:
	s_mov_b32 s6, 0x37ffffff
	v_and_b32_e32 v4, 0xffff, v1
	v_cmp_lt_u32_e32 vcc, s6, v5
	s_mov_b64 s[6:7], 0
                                        ; implicit-def: $vgpr5
	s_and_saveexec_b64 s[10:11], vcc
	s_xor_b64 s[10:11], exec, s[10:11]
	s_cbranch_execz .LBB31_2161
; %bb.1958:
	v_bfe_u32 v5, v4, 5, 1
	s_mov_b32 s12, 0x88fffff
	v_add3_u32 v5, v6, v5, s12
	s_mov_b64 s[6:7], exec
	v_lshrrev_b32_e32 v5, 21, v5
                                        ; implicit-def: $vgpr6
	s_or_saveexec_b64 s[10:11], s[10:11]
                                        ; implicit-def: $sgpr12
	s_xor_b64 exec, exec, s[10:11]
	s_cbranch_execnz .LBB31_2162
.LBB31_1959:
	s_or_b64 exec, exec, s[10:11]
	v_mov_b32_e32 v7, s12
	s_and_saveexec_b64 s[10:11], s[6:7]
.LBB31_1960:
	v_lshrrev_b32_e32 v4, 8, v4
	s_movk_i32 s6, 0x80
	v_and_or_b32 v7, v4, s6, v5
.LBB31_1961:
	s_or_b64 exec, exec, s[10:11]
.LBB31_1962:
	s_or_b64 exec, exec, s[4:5]
	s_mov_b64 s[4:5], 0
	global_store_byte v[2:3], v7, off
.LBB31_1963:
	s_and_b64 vcc, exec, s[4:5]
	s_cbranch_vccz .LBB31_1973
; %bb.1964:
	v_lshlrev_b32_e32 v6, 16, v1
	v_and_b32_e32 v7, 0x7fffffff, v6
	s_mov_b32 s4, 0x43f00000
	v_and_b32_e32 v4, 0xffff, v1
	v_cmp_gt_u32_e32 vcc, s4, v7
                                        ; implicit-def: $vgpr5
	s_and_saveexec_b64 s[4:5], vcc
	s_xor_b64 s[4:5], exec, s[4:5]
	s_cbranch_execz .LBB31_1970
; %bb.1965:
	s_mov_b32 s6, 0x3c7fffff
	v_cmp_lt_u32_e32 vcc, s6, v7
                                        ; implicit-def: $vgpr5
	s_and_saveexec_b64 s[6:7], vcc
	s_xor_b64 s[6:7], exec, s[6:7]
; %bb.1966:
	v_bfe_u32 v5, v4, 4, 1
	s_mov_b32 s10, 0x407ffff
	v_add3_u32 v5, v6, v5, s10
	v_lshrrev_b32_e32 v6, 20, v5
	v_and_b32_e32 v5, 0xff00000, v5
	s_mov_b32 s10, 0x7f00000
	v_mov_b32_e32 v7, 0x7e
	v_cmp_ne_u32_e32 vcc, s10, v5
	v_cndmask_b32_e32 v5, v7, v6, vcc
                                        ; implicit-def: $vgpr6
; %bb.1967:
	s_andn2_saveexec_b64 s[6:7], s[6:7]
; %bb.1968:
	s_mov_b32 s10, 0x46800000
	v_add_f32_e64 v5, |v6|, s10
; %bb.1969:
	s_or_b64 exec, exec, s[6:7]
                                        ; implicit-def: $vgpr7
.LBB31_1970:
	s_andn2_saveexec_b64 s[4:5], s[4:5]
; %bb.1971:
	s_mov_b32 s6, 0x7f800000
	v_mov_b32_e32 v5, 0x7e
	v_mov_b32_e32 v6, 0x7f
	v_cmp_lt_u32_e32 vcc, s6, v7
	v_cndmask_b32_e32 v5, v5, v6, vcc
; %bb.1972:
	s_or_b64 exec, exec, s[4:5]
	v_lshrrev_b32_e32 v4, 8, v4
	s_movk_i32 s4, 0x80
	v_and_or_b32 v4, v4, s4, v5
	global_store_byte v[2:3], v4, off
.LBB31_1973:
	s_mov_b64 s[4:5], 0
.LBB31_1974:
	s_andn2_b64 vcc, exec, s[4:5]
	s_cbranch_vccnz .LBB31_1984
; %bb.1975:
	v_lshlrev_b32_e32 v6, 16, v1
	v_and_b32_e32 v7, 0x7fffffff, v6
	s_mov_b32 s4, 0x47800000
	v_and_b32_e32 v4, 0xffff, v1
	v_cmp_gt_u32_e32 vcc, s4, v7
                                        ; implicit-def: $vgpr5
	s_and_saveexec_b64 s[4:5], vcc
	s_xor_b64 s[4:5], exec, s[4:5]
	s_cbranch_execz .LBB31_1981
; %bb.1976:
	s_mov_b32 s6, 0x387fffff
	v_cmp_lt_u32_e32 vcc, s6, v7
                                        ; implicit-def: $vgpr5
	s_and_saveexec_b64 s[6:7], vcc
	s_xor_b64 s[6:7], exec, s[6:7]
; %bb.1977:
	v_bfe_u32 v5, v4, 5, 1
	s_mov_b32 s10, 0x80fffff
	v_add3_u32 v5, v6, v5, s10
	v_lshrrev_b32_e32 v5, 21, v5
                                        ; implicit-def: $vgpr6
; %bb.1978:
	s_andn2_saveexec_b64 s[6:7], s[6:7]
; %bb.1979:
	s_mov_b32 s10, 0x43000000
	v_add_f32_e64 v5, |v6|, s10
; %bb.1980:
	s_or_b64 exec, exec, s[6:7]
                                        ; implicit-def: $vgpr7
.LBB31_1981:
	s_andn2_saveexec_b64 s[4:5], s[4:5]
; %bb.1982:
	s_mov_b32 s6, 0x7f800000
	v_mov_b32_e32 v5, 0x7c
	v_mov_b32_e32 v6, 0x7f
	v_cmp_lt_u32_e32 vcc, s6, v7
	v_cndmask_b32_e32 v5, v5, v6, vcc
; %bb.1983:
	s_or_b64 exec, exec, s[4:5]
	v_lshrrev_b32_e32 v4, 8, v4
	s_movk_i32 s4, 0x80
	v_and_or_b32 v4, v4, s4, v5
	global_store_byte v[2:3], v4, off
.LBB31_1984:
	s_mov_b64 s[4:5], 0
	s_mov_b64 s[6:7], -1
.LBB31_1985:
	s_andn2_b64 vcc, exec, s[4:5]
	s_mov_b64 s[4:5], 0
	s_cbranch_vccnz .LBB31_1992
; %bb.1986:
	v_mov_b32_e32 v4, 14
	v_cmp_gt_i16_sdwa s[4:5], s14, v4 src0_sel:BYTE_0 src1_sel:DWORD
	s_mov_b64 s[10:11], -1
	s_and_b64 vcc, exec, s[4:5]
	s_cbranch_vccz .LBB31_1990
; %bb.1987:
	v_mov_b32_e32 v4, 15
	v_cmp_eq_u16_sdwa s[4:5], s14, v4 src0_sel:BYTE_0 src1_sel:DWORD
	s_mov_b64 s[0:1], -1
	s_and_b64 vcc, exec, s[4:5]
	s_cbranch_vccz .LBB31_1989
; %bb.1988:
	global_store_short v[2:3], v1, off
	s_mov_b64 s[0:1], 0
	s_mov_b64 s[6:7], -1
.LBB31_1989:
	s_mov_b64 s[10:11], 0
.LBB31_1990:
	s_mov_b64 s[4:5], 0
	s_and_b64 vcc, exec, s[10:11]
	s_cbranch_vccz .LBB31_1992
; %bb.1991:
	v_mov_b32_e32 v4, 11
	v_cmp_ne_u16_sdwa s[0:1], s14, v4 src0_sel:BYTE_0 src1_sel:DWORD
	s_mov_b64 s[4:5], -1
.LBB31_1992:
	s_and_b64 vcc, exec, s[0:1]
	s_cbranch_vccnz .LBB31_2160
; %bb.1993:
	s_andn2_b64 vcc, exec, s[4:5]
	s_cbranch_vccnz .LBB31_1995
.LBB31_1994:
	v_and_b32_e32 v4, 0x7fff, v1
	v_cmp_ne_u16_e32 vcc, 0, v4
	v_cndmask_b32_e64 v4, 0, 1, vcc
	s_mov_b64 s[6:7], -1
	global_store_byte v[2:3], v4, off
.LBB31_1995:
	s_mov_b64 s[0:1], 0
.LBB31_1996:
	s_and_b64 vcc, exec, s[0:1]
	s_cbranch_vccz .LBB31_2035
; %bb.1997:
	v_mov_b32_e32 v4, 5
	v_cmp_lt_i16_sdwa s[4:5], s14, v4 src0_sel:BYTE_0 src1_sel:DWORD
	s_mov_b64 s[0:1], -1
	s_and_b64 vcc, exec, s[4:5]
	s_cbranch_vccnz .LBB31_2018
; %bb.1998:
	v_mov_b32_e32 v4, 8
	v_cmp_lt_i16_sdwa s[4:5], s14, v4 src0_sel:BYTE_0 src1_sel:DWORD
	s_and_b64 vcc, exec, s[4:5]
	s_cbranch_vccnz .LBB31_2008
; %bb.1999:
	v_mov_b32_e32 v4, 9
	v_cmp_lt_i16_sdwa s[4:5], s14, v4 src0_sel:BYTE_0 src1_sel:DWORD
	s_and_b64 vcc, exec, s[4:5]
	s_cbranch_vccnz .LBB31_2005
; %bb.2000:
	v_cmp_gt_i16_sdwa s[4:5], s14, v4 src0_sel:BYTE_0 src1_sel:DWORD
	s_and_b64 vcc, exec, s[4:5]
	s_cbranch_vccz .LBB31_2002
; %bb.2001:
	v_lshlrev_b32_e32 v4, 16, v1
	v_mov_b32_e32 v6, 0
	v_cvt_f64_f32_e32 v[4:5], v4
	v_mov_b32_e32 v7, v6
	global_store_dwordx4 v[2:3], v[4:7], off
	s_mov_b64 s[0:1], 0
.LBB31_2002:
	s_andn2_b64 vcc, exec, s[0:1]
	s_cbranch_vccnz .LBB31_2004
; %bb.2003:
	v_lshlrev_b32_e32 v4, 16, v1
	v_mov_b32_e32 v5, 0
	global_store_dwordx2 v[2:3], v[4:5], off
.LBB31_2004:
	s_mov_b64 s[0:1], 0
.LBB31_2005:
	s_andn2_b64 vcc, exec, s[0:1]
	s_cbranch_vccnz .LBB31_2007
; %bb.2006:
	v_lshlrev_b32_e32 v4, 16, v1
	v_cvt_f16_f32_e32 v4, v4
	global_store_dword v[2:3], v4, off
.LBB31_2007:
	s_mov_b64 s[0:1], 0
.LBB31_2008:
	s_andn2_b64 vcc, exec, s[0:1]
	s_cbranch_vccnz .LBB31_2017
; %bb.2009:
	v_mov_b32_e32 v4, 6
	v_cmp_lt_i16_sdwa s[4:5], s14, v4 src0_sel:BYTE_0 src1_sel:DWORD
	s_mov_b64 s[0:1], -1
	s_and_b64 vcc, exec, s[4:5]
	s_cbranch_vccnz .LBB31_2015
; %bb.2010:
	v_cmp_gt_i16_sdwa s[4:5], s14, v4 src0_sel:BYTE_0 src1_sel:DWORD
	s_and_b64 vcc, exec, s[4:5]
	s_cbranch_vccz .LBB31_2012
; %bb.2011:
	v_lshlrev_b32_e32 v4, 16, v1
	v_cvt_f64_f32_e32 v[4:5], v4
	global_store_dwordx2 v[2:3], v[4:5], off
	s_mov_b64 s[0:1], 0
.LBB31_2012:
	s_andn2_b64 vcc, exec, s[0:1]
	s_cbranch_vccnz .LBB31_2014
; %bb.2013:
	v_lshlrev_b32_e32 v4, 16, v1
	global_store_dword v[2:3], v4, off
.LBB31_2014:
	s_mov_b64 s[0:1], 0
.LBB31_2015:
	s_andn2_b64 vcc, exec, s[0:1]
	s_cbranch_vccnz .LBB31_2017
; %bb.2016:
	v_lshlrev_b32_e32 v4, 16, v1
	v_cvt_f16_f32_e32 v4, v4
	global_store_short v[2:3], v4, off
.LBB31_2017:
	s_mov_b64 s[0:1], 0
.LBB31_2018:
	s_andn2_b64 vcc, exec, s[0:1]
	s_cbranch_vccnz .LBB31_2034
; %bb.2019:
	v_mov_b32_e32 v4, 2
	v_cmp_lt_i16_sdwa s[4:5], s14, v4 src0_sel:BYTE_0 src1_sel:DWORD
	s_mov_b64 s[0:1], -1
	s_and_b64 vcc, exec, s[4:5]
	s_cbranch_vccnz .LBB31_2029
; %bb.2020:
	v_mov_b32_e32 v4, 3
	v_cmp_lt_i16_sdwa s[4:5], s14, v4 src0_sel:BYTE_0 src1_sel:DWORD
	s_and_b64 vcc, exec, s[4:5]
	s_cbranch_vccnz .LBB31_2026
; %bb.2021:
	v_cmp_gt_i16_sdwa s[4:5], s14, v4 src0_sel:BYTE_0 src1_sel:DWORD
	s_and_b64 vcc, exec, s[4:5]
	s_cbranch_vccz .LBB31_2023
; %bb.2022:
	v_lshlrev_b32_e32 v4, 16, v1
	v_trunc_f32_e32 v4, v4
	s_mov_b32 s0, 0x2f800000
	v_mul_f32_e64 v5, |v4|, s0
	v_floor_f32_e32 v5, v5
	s_mov_b32 s0, 0xcf800000
	v_cvt_u32_f32_e32 v6, v5
	v_fma_f32 v5, v5, s0, |v4|
	v_cvt_u32_f32_e32 v5, v5
	v_ashrrev_i32_e32 v7, 31, v4
	v_xor_b32_e32 v6, v6, v7
	s_mov_b64 s[0:1], 0
	v_xor_b32_e32 v4, v5, v7
	v_sub_co_u32_e32 v4, vcc, v4, v7
	v_subb_co_u32_e32 v5, vcc, v6, v7, vcc
	global_store_dwordx2 v[2:3], v[4:5], off
.LBB31_2023:
	s_andn2_b64 vcc, exec, s[0:1]
	s_cbranch_vccnz .LBB31_2025
; %bb.2024:
	v_lshlrev_b32_e32 v4, 16, v1
	v_cvt_i32_f32_e32 v4, v4
	global_store_dword v[2:3], v4, off
.LBB31_2025:
	s_mov_b64 s[0:1], 0
.LBB31_2026:
	s_andn2_b64 vcc, exec, s[0:1]
	s_cbranch_vccnz .LBB31_2028
; %bb.2027:
	v_lshlrev_b32_e32 v4, 16, v1
	v_cvt_i32_f32_e32 v4, v4
	global_store_short v[2:3], v4, off
.LBB31_2028:
	s_mov_b64 s[0:1], 0
.LBB31_2029:
	s_andn2_b64 vcc, exec, s[0:1]
	s_cbranch_vccnz .LBB31_2034
; %bb.2030:
	v_mov_b32_e32 v4, 0
	v_cmp_gt_i16_sdwa s[4:5], s14, v4 src0_sel:BYTE_0 src1_sel:DWORD
	s_mov_b64 s[0:1], -1
	s_and_b64 vcc, exec, s[4:5]
	s_cbranch_vccz .LBB31_2032
; %bb.2031:
	v_lshlrev_b32_e32 v4, 16, v1
	v_cvt_i32_f32_e32 v4, v4
	s_mov_b64 s[0:1], 0
	global_store_byte v[2:3], v4, off
.LBB31_2032:
	s_andn2_b64 vcc, exec, s[0:1]
	s_cbranch_vccnz .LBB31_2034
; %bb.2033:
	v_lshlrev_b32_e32 v1, 16, v1
	v_trunc_f32_e32 v1, v1
	s_mov_b32 s0, 0x2f800000
	v_mul_f32_e64 v4, |v1|, s0
	v_floor_f32_e32 v4, v4
	s_mov_b32 s0, 0xcf800000
	v_fma_f32 v4, v4, s0, |v1|
	v_cvt_u32_f32_e32 v4, v4
	v_ashrrev_i32_e32 v1, 31, v1
	v_xor_b32_e32 v4, v4, v1
	v_sub_u32_e32 v1, v4, v1
	global_store_byte v[2:3], v1, off
.LBB31_2034:
	s_mov_b64 s[6:7], -1
.LBB31_2035:
	s_andn2_b64 vcc, exec, s[6:7]
	s_cbranch_vccnz .LBB31_2112
; %bb.2036:
	v_lshlrev_b32_e32 v1, 16, v10
	v_cmp_nle_f32_e32 vcc, v8, v1
	v_cmp_nge_f32_e64 s[0:1], s15, v1
	s_or_b64 vcc, s[0:1], vcc
	v_mov_b32_e32 v1, 0xff
	v_cndmask_b32_e32 v2, 0, v10, vcc
	v_and_b32_e32 v3, s14, v1
	v_mov_b32_e32 v1, s9
	v_add_co_u32_e32 v0, vcc, s8, v0
	v_addc_co_u32_e32 v1, vcc, 0, v1, vcc
	v_cmp_gt_i16_e32 vcc, 11, v3
	s_cbranch_vccnz .LBB31_2157
; %bb.2037:
	v_cmp_lt_i16_e32 vcc, 25, v3
	s_mov_b64 s[6:7], -1
	s_mov_b64 s[4:5], 0
	s_mov_b64 s[0:1], 0
	s_cbranch_vccz .LBB31_2070
; %bb.2038:
	v_cmp_lt_i16_e32 vcc, 28, v3
	s_cbranch_vccz .LBB31_2054
; %bb.2039:
	v_cmp_lt_i16_e32 vcc, 43, v3
	;; [unrolled: 3-line block ×3, first 2 shown]
	s_cbranch_vccz .LBB31_2044
; %bb.2041:
	v_cmp_eq_u16_e32 vcc, 46, v3
	s_mov_b64 s[0:1], -1
	s_cbranch_vccz .LBB31_2043
; %bb.2042:
	v_and_b32_e32 v4, 0xffff, v2
	global_store_dword v[0:1], v4, off
	s_mov_b64 s[0:1], 0
.LBB31_2043:
	s_mov_b64 s[6:7], 0
.LBB31_2044:
	s_and_b64 vcc, exec, s[6:7]
	s_cbranch_vccz .LBB31_2049
; %bb.2045:
	v_cmp_eq_u16_e32 vcc, 44, v3
	s_mov_b64 s[0:1], -1
	s_cbranch_vccz .LBB31_2049
; %bb.2046:
	v_and_b32_e32 v5, 0xffff, v2
	v_bfe_u32 v4, v5, 7, 8
	s_movk_i32 s0, 0xff
	v_cmp_ne_u32_e32 vcc, s0, v4
	v_mov_b32_e32 v6, 0xff
	s_and_saveexec_b64 s[6:7], vcc
; %bb.2047:
	v_lshlrev_b32_e32 v7, 16, v5
	s_mov_b32 s0, 0x3f0000
	v_lshrrev_b32_e32 v6, 7, v5
	v_and_b32_e32 v5, 64, v5
	v_and_or_b32 v4, v7, s0, v4
	v_cmp_ne_u32_e32 vcc, 0, v5
	v_cmp_ne_u32_e64 s[0:1], 0, v4
	s_and_b64 s[0:1], vcc, s[0:1]
	v_cndmask_b32_e64 v4, 0, 1, s[0:1]
	v_add_u32_e32 v6, v6, v4
; %bb.2048:
	s_or_b64 exec, exec, s[6:7]
	s_mov_b64 s[0:1], 0
	global_store_byte v[0:1], v6, off
.LBB31_2049:
	s_mov_b64 s[6:7], 0
.LBB31_2050:
	s_and_b64 vcc, exec, s[6:7]
	s_cbranch_vccz .LBB31_2053
; %bb.2051:
	v_cmp_eq_u16_e32 vcc, 29, v3
	s_mov_b64 s[0:1], -1
	s_cbranch_vccz .LBB31_2053
; %bb.2052:
	v_lshlrev_b32_e32 v4, 16, v2
	v_trunc_f32_e32 v4, v4
	v_mul_f32_e32 v5, 0x2f800000, v4
	v_floor_f32_e32 v6, v5
	v_fmac_f32_e32 v4, 0xcf800000, v6
	v_cvt_u32_f32_e32 v5, v6
	v_cvt_u32_f32_e32 v4, v4
	s_mov_b64 s[0:1], 0
	global_store_dwordx2 v[0:1], v[4:5], off
.LBB31_2053:
	s_mov_b64 s[6:7], 0
.LBB31_2054:
	s_and_b64 vcc, exec, s[6:7]
	s_cbranch_vccz .LBB31_2069
; %bb.2055:
	v_cmp_gt_i16_e32 vcc, 27, v3
	s_mov_b64 s[6:7], -1
	s_cbranch_vccnz .LBB31_2061
; %bb.2056:
	v_cmp_lt_i16_e32 vcc, 27, v3
	s_cbranch_vccz .LBB31_2058
; %bb.2057:
	v_lshlrev_b32_e32 v4, 16, v2
	v_cvt_u32_f32_e32 v4, v4
	s_mov_b64 s[6:7], 0
	global_store_dword v[0:1], v4, off
.LBB31_2058:
	s_andn2_b64 vcc, exec, s[6:7]
	s_cbranch_vccnz .LBB31_2060
; %bb.2059:
	v_lshlrev_b32_e32 v4, 16, v2
	v_cvt_u32_f32_e32 v4, v4
	global_store_short v[0:1], v4, off
.LBB31_2060:
	s_mov_b64 s[6:7], 0
.LBB31_2061:
	s_andn2_b64 vcc, exec, s[6:7]
	s_cbranch_vccnz .LBB31_2069
; %bb.2062:
	v_lshlrev_b32_e32 v6, 16, v2
	v_and_b32_e32 v5, 0x7fffffff, v6
	s_mov_b32 s6, 0x43800000
	v_cmp_gt_u32_e32 vcc, s6, v5
	v_mov_b32_e32 v7, 0x80
	s_and_saveexec_b64 s[6:7], vcc
	s_cbranch_execz .LBB31_2068
; %bb.2063:
	s_mov_b32 s8, 0x3bffffff
	v_and_b32_e32 v4, 0xffff, v2
	v_cmp_lt_u32_e32 vcc, s8, v5
	s_mov_b64 s[8:9], 0
                                        ; implicit-def: $vgpr5
	s_and_saveexec_b64 s[10:11], vcc
	s_xor_b64 s[10:11], exec, s[10:11]
	s_cbranch_execz .LBB31_2163
; %bb.2064:
	v_bfe_u32 v5, v4, 4, 1
	s_mov_b32 s12, 0x487ffff
	v_add3_u32 v5, v6, v5, s12
	s_mov_b64 s[8:9], exec
	v_lshrrev_b32_e32 v5, 20, v5
                                        ; implicit-def: $vgpr6
	s_or_saveexec_b64 s[10:11], s[10:11]
                                        ; implicit-def: $sgpr12
	s_xor_b64 exec, exec, s[10:11]
	s_cbranch_execnz .LBB31_2164
.LBB31_2065:
	s_or_b64 exec, exec, s[10:11]
	v_mov_b32_e32 v7, s12
	s_and_saveexec_b64 s[10:11], s[8:9]
.LBB31_2066:
	v_lshrrev_b32_e32 v4, 8, v4
	s_movk_i32 s8, 0x80
	v_and_or_b32 v7, v4, s8, v5
.LBB31_2067:
	s_or_b64 exec, exec, s[10:11]
.LBB31_2068:
	s_or_b64 exec, exec, s[6:7]
	global_store_byte v[0:1], v7, off
.LBB31_2069:
	s_mov_b64 s[6:7], 0
.LBB31_2070:
	s_and_b64 vcc, exec, s[6:7]
	s_cbranch_vccz .LBB31_2110
; %bb.2071:
	v_cmp_lt_i16_e32 vcc, 22, v3
	s_mov_b64 s[4:5], -1
	s_cbranch_vccz .LBB31_2103
; %bb.2072:
	v_cmp_gt_i16_e32 vcc, 24, v3
	s_cbranch_vccnz .LBB31_2092
; %bb.2073:
	v_cmp_lt_i16_e32 vcc, 24, v3
	s_cbranch_vccz .LBB31_2081
; %bb.2074:
	v_lshlrev_b32_e32 v6, 16, v2
	v_and_b32_e32 v5, 0x7fffffff, v6
	s_mov_b32 s4, 0x47800000
	v_cmp_gt_u32_e32 vcc, s4, v5
	v_mov_b32_e32 v7, 0x80
	s_and_saveexec_b64 s[4:5], vcc
	s_cbranch_execz .LBB31_2080
; %bb.2075:
	s_mov_b32 s6, 0x37ffffff
	v_and_b32_e32 v4, 0xffff, v2
	v_cmp_lt_u32_e32 vcc, s6, v5
	s_mov_b64 s[6:7], 0
                                        ; implicit-def: $vgpr5
	s_and_saveexec_b64 s[8:9], vcc
	s_xor_b64 s[8:9], exec, s[8:9]
	s_cbranch_execz .LBB31_2166
; %bb.2076:
	v_bfe_u32 v5, v4, 5, 1
	s_mov_b32 s10, 0x88fffff
	v_add3_u32 v5, v6, v5, s10
	s_mov_b64 s[6:7], exec
	v_lshrrev_b32_e32 v5, 21, v5
                                        ; implicit-def: $vgpr6
	s_or_saveexec_b64 s[8:9], s[8:9]
                                        ; implicit-def: $sgpr10
	s_xor_b64 exec, exec, s[8:9]
	s_cbranch_execnz .LBB31_2167
.LBB31_2077:
	s_or_b64 exec, exec, s[8:9]
	v_mov_b32_e32 v7, s10
	s_and_saveexec_b64 s[8:9], s[6:7]
.LBB31_2078:
	v_lshrrev_b32_e32 v4, 8, v4
	s_movk_i32 s6, 0x80
	v_and_or_b32 v7, v4, s6, v5
.LBB31_2079:
	s_or_b64 exec, exec, s[8:9]
.LBB31_2080:
	s_or_b64 exec, exec, s[4:5]
	s_mov_b64 s[4:5], 0
	global_store_byte v[0:1], v7, off
.LBB31_2081:
	s_and_b64 vcc, exec, s[4:5]
	s_cbranch_vccz .LBB31_2091
; %bb.2082:
	v_lshlrev_b32_e32 v6, 16, v2
	v_and_b32_e32 v7, 0x7fffffff, v6
	s_mov_b32 s4, 0x43f00000
	v_and_b32_e32 v4, 0xffff, v2
	v_cmp_gt_u32_e32 vcc, s4, v7
                                        ; implicit-def: $vgpr5
	s_and_saveexec_b64 s[4:5], vcc
	s_xor_b64 s[4:5], exec, s[4:5]
	s_cbranch_execz .LBB31_2088
; %bb.2083:
	s_mov_b32 s6, 0x3c7fffff
	v_cmp_lt_u32_e32 vcc, s6, v7
                                        ; implicit-def: $vgpr5
	s_and_saveexec_b64 s[6:7], vcc
	s_xor_b64 s[6:7], exec, s[6:7]
; %bb.2084:
	v_bfe_u32 v5, v4, 4, 1
	s_mov_b32 s8, 0x407ffff
	v_add3_u32 v5, v6, v5, s8
	v_lshrrev_b32_e32 v6, 20, v5
	v_and_b32_e32 v5, 0xff00000, v5
	s_mov_b32 s8, 0x7f00000
	v_mov_b32_e32 v7, 0x7e
	v_cmp_ne_u32_e32 vcc, s8, v5
	v_cndmask_b32_e32 v5, v7, v6, vcc
                                        ; implicit-def: $vgpr6
; %bb.2085:
	s_andn2_saveexec_b64 s[6:7], s[6:7]
; %bb.2086:
	s_mov_b32 s8, 0x46800000
	v_add_f32_e64 v5, |v6|, s8
; %bb.2087:
	s_or_b64 exec, exec, s[6:7]
                                        ; implicit-def: $vgpr7
.LBB31_2088:
	s_andn2_saveexec_b64 s[4:5], s[4:5]
; %bb.2089:
	s_mov_b32 s6, 0x7f800000
	v_mov_b32_e32 v5, 0x7e
	v_mov_b32_e32 v6, 0x7f
	v_cmp_lt_u32_e32 vcc, s6, v7
	v_cndmask_b32_e32 v5, v5, v6, vcc
; %bb.2090:
	s_or_b64 exec, exec, s[4:5]
	v_lshrrev_b32_e32 v4, 8, v4
	s_movk_i32 s4, 0x80
	v_and_or_b32 v4, v4, s4, v5
	global_store_byte v[0:1], v4, off
.LBB31_2091:
	s_mov_b64 s[4:5], 0
.LBB31_2092:
	s_andn2_b64 vcc, exec, s[4:5]
	s_cbranch_vccnz .LBB31_2102
; %bb.2093:
	v_lshlrev_b32_e32 v6, 16, v2
	v_and_b32_e32 v7, 0x7fffffff, v6
	s_mov_b32 s4, 0x47800000
	v_and_b32_e32 v4, 0xffff, v2
	v_cmp_gt_u32_e32 vcc, s4, v7
                                        ; implicit-def: $vgpr5
	s_and_saveexec_b64 s[4:5], vcc
	s_xor_b64 s[4:5], exec, s[4:5]
	s_cbranch_execz .LBB31_2099
; %bb.2094:
	s_mov_b32 s6, 0x387fffff
	v_cmp_lt_u32_e32 vcc, s6, v7
                                        ; implicit-def: $vgpr5
	s_and_saveexec_b64 s[6:7], vcc
	s_xor_b64 s[6:7], exec, s[6:7]
; %bb.2095:
	v_bfe_u32 v5, v4, 5, 1
	s_mov_b32 s8, 0x80fffff
	v_add3_u32 v5, v6, v5, s8
	v_lshrrev_b32_e32 v5, 21, v5
                                        ; implicit-def: $vgpr6
; %bb.2096:
	s_andn2_saveexec_b64 s[6:7], s[6:7]
; %bb.2097:
	s_mov_b32 s8, 0x43000000
	v_add_f32_e64 v5, |v6|, s8
; %bb.2098:
	s_or_b64 exec, exec, s[6:7]
                                        ; implicit-def: $vgpr7
.LBB31_2099:
	s_andn2_saveexec_b64 s[4:5], s[4:5]
; %bb.2100:
	s_mov_b32 s6, 0x7f800000
	v_mov_b32_e32 v5, 0x7c
	v_mov_b32_e32 v6, 0x7f
	v_cmp_lt_u32_e32 vcc, s6, v7
	v_cndmask_b32_e32 v5, v5, v6, vcc
; %bb.2101:
	s_or_b64 exec, exec, s[4:5]
	v_lshrrev_b32_e32 v4, 8, v4
	s_movk_i32 s4, 0x80
	v_and_or_b32 v4, v4, s4, v5
	global_store_byte v[0:1], v4, off
.LBB31_2102:
	s_mov_b64 s[4:5], 0
.LBB31_2103:
	s_andn2_b64 vcc, exec, s[4:5]
	s_mov_b64 s[4:5], 0
	s_cbranch_vccnz .LBB31_2110
; %bb.2104:
	v_cmp_lt_i16_e32 vcc, 14, v3
	s_mov_b64 s[6:7], -1
	s_cbranch_vccz .LBB31_2108
; %bb.2105:
	v_cmp_eq_u16_e32 vcc, 15, v3
	s_mov_b64 s[0:1], -1
	s_cbranch_vccz .LBB31_2107
; %bb.2106:
	global_store_short v[0:1], v2, off
	s_mov_b64 s[0:1], 0
.LBB31_2107:
	s_mov_b64 s[6:7], 0
.LBB31_2108:
	s_and_b64 vcc, exec, s[6:7]
	s_cbranch_vccz .LBB31_2110
; %bb.2109:
	v_cmp_ne_u16_e64 s[0:1], 11, v3
	s_mov_b64 s[4:5], -1
.LBB31_2110:
	s_and_b64 vcc, exec, s[0:1]
	s_cbranch_vccnz .LBB31_2165
.LBB31_2111:
	s_mov_b64 s[0:1], 0
	s_branch .LBB31_2113
.LBB31_2112:
	s_mov_b64 s[0:1], 0
	s_mov_b64 s[4:5], 0
                                        ; implicit-def: $vgpr0_vgpr1
                                        ; implicit-def: $vgpr3
                                        ; implicit-def: $vgpr2
.LBB31_2113:
	s_and_b64 s[6:7], s[4:5], exec
	s_andn2_b64 s[4:5], s[28:29], exec
	s_and_b64 s[2:3], s[2:3], exec
	s_and_b64 s[0:1], s[0:1], exec
	s_or_b64 s[28:29], s[4:5], s[2:3]
.LBB31_2114:
	s_or_b64 exec, exec, s[30:31]
	s_and_saveexec_b64 s[2:3], s[28:29]
	s_cbranch_execz .LBB31_2117
; %bb.2115:
	; divergent unreachable
	s_or_b64 exec, exec, s[2:3]
	s_and_saveexec_b64 s[2:3], s[6:7]
	s_xor_b64 s[2:3], exec, s[2:3]
	s_cbranch_execnz .LBB31_2118
.LBB31_2116:
	s_or_b64 exec, exec, s[2:3]
	s_and_saveexec_b64 s[2:3], s[0:1]
	s_cbranch_execnz .LBB31_2119
	s_branch .LBB31_2156
.LBB31_2117:
	s_or_b64 exec, exec, s[2:3]
	s_and_saveexec_b64 s[2:3], s[6:7]
	s_xor_b64 s[2:3], exec, s[2:3]
	s_cbranch_execz .LBB31_2116
.LBB31_2118:
	v_and_b32_e32 v4, 0x7fff, v2
	v_cmp_ne_u16_e32 vcc, 0, v4
	v_cndmask_b32_e64 v4, 0, 1, vcc
	s_waitcnt vmcnt(0)
	global_store_byte v[0:1], v4, off
	s_or_b64 exec, exec, s[2:3]
	s_and_saveexec_b64 s[2:3], s[0:1]
	s_cbranch_execz .LBB31_2156
.LBB31_2119:
	s_waitcnt vmcnt(0)
	v_cmp_gt_i16_e32 vcc, 5, v3
	s_mov_b64 s[0:1], -1
	s_cbranch_vccnz .LBB31_2140
; %bb.2120:
	v_cmp_gt_i16_e32 vcc, 8, v3
	s_cbranch_vccnz .LBB31_2130
; %bb.2121:
	v_cmp_gt_i16_e32 vcc, 9, v3
	s_cbranch_vccnz .LBB31_2127
; %bb.2122:
	v_cmp_lt_i16_e32 vcc, 9, v3
	s_cbranch_vccz .LBB31_2124
; %bb.2123:
	v_lshlrev_b32_e32 v4, 16, v2
	v_mov_b32_e32 v6, 0
	v_cvt_f64_f32_e32 v[4:5], v4
	v_mov_b32_e32 v7, v6
	global_store_dwordx4 v[0:1], v[4:7], off
	s_mov_b64 s[0:1], 0
.LBB31_2124:
	s_andn2_b64 vcc, exec, s[0:1]
	s_cbranch_vccnz .LBB31_2126
; %bb.2125:
	v_lshlrev_b32_e32 v4, 16, v2
	v_mov_b32_e32 v5, 0
	global_store_dwordx2 v[0:1], v[4:5], off
.LBB31_2126:
	s_mov_b64 s[0:1], 0
.LBB31_2127:
	s_andn2_b64 vcc, exec, s[0:1]
	s_cbranch_vccnz .LBB31_2129
; %bb.2128:
	v_lshlrev_b32_e32 v4, 16, v2
	v_cvt_f16_f32_e32 v4, v4
	global_store_dword v[0:1], v4, off
.LBB31_2129:
	s_mov_b64 s[0:1], 0
.LBB31_2130:
	s_andn2_b64 vcc, exec, s[0:1]
	s_cbranch_vccnz .LBB31_2139
; %bb.2131:
	v_cmp_gt_i16_e32 vcc, 6, v3
	s_mov_b64 s[0:1], -1
	s_cbranch_vccnz .LBB31_2137
; %bb.2132:
	v_cmp_lt_i16_e32 vcc, 6, v3
	s_cbranch_vccz .LBB31_2134
; %bb.2133:
	v_lshlrev_b32_e32 v4, 16, v2
	v_cvt_f64_f32_e32 v[4:5], v4
	global_store_dwordx2 v[0:1], v[4:5], off
	s_mov_b64 s[0:1], 0
.LBB31_2134:
	s_andn2_b64 vcc, exec, s[0:1]
	s_cbranch_vccnz .LBB31_2136
; %bb.2135:
	v_lshlrev_b32_e32 v4, 16, v2
	global_store_dword v[0:1], v4, off
.LBB31_2136:
	s_mov_b64 s[0:1], 0
.LBB31_2137:
	s_andn2_b64 vcc, exec, s[0:1]
	s_cbranch_vccnz .LBB31_2139
; %bb.2138:
	v_lshlrev_b32_e32 v4, 16, v2
	v_cvt_f16_f32_e32 v4, v4
	global_store_short v[0:1], v4, off
.LBB31_2139:
	s_mov_b64 s[0:1], 0
.LBB31_2140:
	s_andn2_b64 vcc, exec, s[0:1]
	s_cbranch_vccnz .LBB31_2156
; %bb.2141:
	v_cmp_gt_i16_e32 vcc, 2, v3
	s_mov_b64 s[0:1], -1
	s_cbranch_vccnz .LBB31_2151
; %bb.2142:
	v_cmp_gt_i16_e32 vcc, 3, v3
	s_cbranch_vccnz .LBB31_2148
; %bb.2143:
	v_cmp_lt_i16_e32 vcc, 3, v3
	s_cbranch_vccz .LBB31_2145
; %bb.2144:
	v_lshlrev_b32_e32 v4, 16, v2
	v_trunc_f32_e32 v4, v4
	s_mov_b32 s0, 0x2f800000
	v_mul_f32_e64 v5, |v4|, s0
	v_floor_f32_e32 v5, v5
	s_mov_b32 s0, 0xcf800000
	v_cvt_u32_f32_e32 v6, v5
	v_fma_f32 v5, v5, s0, |v4|
	v_cvt_u32_f32_e32 v5, v5
	v_ashrrev_i32_e32 v7, 31, v4
	v_xor_b32_e32 v6, v6, v7
	s_mov_b64 s[0:1], 0
	v_xor_b32_e32 v4, v5, v7
	v_sub_co_u32_e32 v4, vcc, v4, v7
	v_subb_co_u32_e32 v5, vcc, v6, v7, vcc
	global_store_dwordx2 v[0:1], v[4:5], off
.LBB31_2145:
	s_andn2_b64 vcc, exec, s[0:1]
	s_cbranch_vccnz .LBB31_2147
; %bb.2146:
	v_lshlrev_b32_e32 v4, 16, v2
	v_cvt_i32_f32_e32 v4, v4
	global_store_dword v[0:1], v4, off
.LBB31_2147:
	s_mov_b64 s[0:1], 0
.LBB31_2148:
	s_andn2_b64 vcc, exec, s[0:1]
	s_cbranch_vccnz .LBB31_2150
; %bb.2149:
	v_lshlrev_b32_e32 v4, 16, v2
	v_cvt_i32_f32_e32 v4, v4
	global_store_short v[0:1], v4, off
.LBB31_2150:
	s_mov_b64 s[0:1], 0
.LBB31_2151:
	s_andn2_b64 vcc, exec, s[0:1]
	s_cbranch_vccnz .LBB31_2156
; %bb.2152:
	v_cmp_lt_i16_e32 vcc, 0, v3
	s_mov_b64 s[0:1], -1
	s_cbranch_vccz .LBB31_2154
; %bb.2153:
	v_lshlrev_b32_e32 v3, 16, v2
	v_cvt_i32_f32_e32 v3, v3
	s_mov_b64 s[0:1], 0
	global_store_byte v[0:1], v3, off
.LBB31_2154:
	s_andn2_b64 vcc, exec, s[0:1]
	s_cbranch_vccnz .LBB31_2156
; %bb.2155:
	v_lshlrev_b32_e32 v2, 16, v2
	v_trunc_f32_e32 v2, v2
	s_mov_b32 s0, 0x2f800000
	v_mul_f32_e64 v3, |v2|, s0
	v_floor_f32_e32 v3, v3
	s_mov_b32 s0, 0xcf800000
	v_fma_f32 v3, v3, s0, |v2|
	v_cvt_u32_f32_e32 v3, v3
	v_ashrrev_i32_e32 v2, 31, v2
	v_xor_b32_e32 v3, v3, v2
	v_sub_u32_e32 v2, v3, v2
	global_store_byte v[0:1], v2, off
	s_endpgm
.LBB31_2156:
	s_endpgm
.LBB31_2157:
	s_mov_b64 s[4:5], 0
	s_mov_b64 s[0:1], -1
	s_branch .LBB31_2113
.LBB31_2158:
	s_or_saveexec_b64 s[12:13], s[12:13]
                                        ; implicit-def: $sgpr16
	s_xor_b64 exec, exec, s[12:13]
	s_cbranch_execz .LBB31_1946
.LBB31_2159:
	s_mov_b32 s16, 0x46000000
	v_add_f32_e64 v5, |v6|, s16
	v_and_b32_e32 v5, 0xff, v5
	v_cmp_ne_u32_e32 vcc, 0, v5
	s_andn2_b64 s[10:11], s[10:11], exec
	s_and_b64 s[18:19], vcc, exec
	s_mov_b32 s16, 0
	s_or_b64 s[10:11], s[10:11], s[18:19]
	s_or_b64 exec, exec, s[12:13]
	v_mov_b32_e32 v7, s16
	s_and_saveexec_b64 s[12:13], s[10:11]
	s_cbranch_execnz .LBB31_1947
	s_branch .LBB31_1948
.LBB31_2160:
	s_trap 2
	s_or_b64 s[2:3], s[2:3], exec
	s_cbranch_execz .LBB31_1994
	s_branch .LBB31_1995
.LBB31_2161:
	s_or_saveexec_b64 s[10:11], s[10:11]
                                        ; implicit-def: $sgpr12
	s_xor_b64 exec, exec, s[10:11]
	s_cbranch_execz .LBB31_1959
.LBB31_2162:
	s_mov_b32 s12, 0x42800000
	v_add_f32_e64 v5, |v6|, s12
	v_and_b32_e32 v5, 0xff, v5
	v_cmp_ne_u32_e32 vcc, 0, v5
	s_andn2_b64 s[6:7], s[6:7], exec
	s_and_b64 s[16:17], vcc, exec
	s_mov_b32 s12, 0
	s_or_b64 s[6:7], s[6:7], s[16:17]
	s_or_b64 exec, exec, s[10:11]
	v_mov_b32_e32 v7, s12
	s_and_saveexec_b64 s[10:11], s[6:7]
	s_cbranch_execnz .LBB31_1960
	s_branch .LBB31_1961
.LBB31_2163:
	s_or_saveexec_b64 s[10:11], s[10:11]
                                        ; implicit-def: $sgpr12
	s_xor_b64 exec, exec, s[10:11]
	s_cbranch_execz .LBB31_2065
.LBB31_2164:
	s_mov_b32 s12, 0x46000000
	v_add_f32_e64 v5, |v6|, s12
	v_and_b32_e32 v5, 0xff, v5
	v_cmp_ne_u32_e32 vcc, 0, v5
	s_andn2_b64 s[8:9], s[8:9], exec
	s_and_b64 s[14:15], vcc, exec
	s_mov_b32 s12, 0
	s_or_b64 s[8:9], s[8:9], s[14:15]
	s_or_b64 exec, exec, s[10:11]
	v_mov_b32_e32 v7, s12
	s_and_saveexec_b64 s[10:11], s[8:9]
	s_cbranch_execnz .LBB31_2066
	s_branch .LBB31_2067
.LBB31_2165:
	s_mov_b64 s[4:5], 0
	s_or_b64 s[2:3], s[2:3], exec
	s_trap 2
	s_branch .LBB31_2111
.LBB31_2166:
	s_or_saveexec_b64 s[8:9], s[8:9]
                                        ; implicit-def: $sgpr10
	s_xor_b64 exec, exec, s[8:9]
	s_cbranch_execz .LBB31_2077
.LBB31_2167:
	s_mov_b32 s10, 0x42800000
	v_add_f32_e64 v5, |v6|, s10
	v_and_b32_e32 v5, 0xff, v5
	v_cmp_ne_u32_e32 vcc, 0, v5
	s_andn2_b64 s[6:7], s[6:7], exec
	s_and_b64 s[12:13], vcc, exec
	s_mov_b32 s10, 0
	s_or_b64 s[6:7], s[6:7], s[12:13]
	s_or_b64 exec, exec, s[8:9]
	v_mov_b32_e32 v7, s10
	s_and_saveexec_b64 s[8:9], s[6:7]
	s_cbranch_execnz .LBB31_2078
	s_branch .LBB31_2079
	.section	.rodata,"a",@progbits
	.p2align	6, 0x0
	.amdhsa_kernel _ZN2at6native32elementwise_kernel_manual_unrollILi128ELi4EZNS0_15gpu_kernel_implIZZZNS0_12_GLOBAL__N_117hardshrink_kernelERNS_18TensorIteratorBaseERKN3c106ScalarEENKUlvE_clEvENKUlvE2_clEvEUlNS6_8BFloat16EE_EEvS5_RKT_EUlibE0_EEviT1_
		.amdhsa_group_segment_fixed_size 0
		.amdhsa_private_segment_fixed_size 0
		.amdhsa_kernarg_size 360
		.amdhsa_user_sgpr_count 6
		.amdhsa_user_sgpr_private_segment_buffer 1
		.amdhsa_user_sgpr_dispatch_ptr 0
		.amdhsa_user_sgpr_queue_ptr 0
		.amdhsa_user_sgpr_kernarg_segment_ptr 1
		.amdhsa_user_sgpr_dispatch_id 0
		.amdhsa_user_sgpr_flat_scratch_init 0
		.amdhsa_user_sgpr_kernarg_preload_length 0
		.amdhsa_user_sgpr_kernarg_preload_offset 0
		.amdhsa_user_sgpr_private_segment_size 0
		.amdhsa_uses_dynamic_stack 0
		.amdhsa_system_sgpr_private_segment_wavefront_offset 0
		.amdhsa_system_sgpr_workgroup_id_x 1
		.amdhsa_system_sgpr_workgroup_id_y 0
		.amdhsa_system_sgpr_workgroup_id_z 0
		.amdhsa_system_sgpr_workgroup_info 0
		.amdhsa_system_vgpr_workitem_id 0
		.amdhsa_next_free_vgpr 18
		.amdhsa_next_free_sgpr 79
		.amdhsa_accum_offset 20
		.amdhsa_reserve_vcc 1
		.amdhsa_reserve_flat_scratch 0
		.amdhsa_float_round_mode_32 0
		.amdhsa_float_round_mode_16_64 0
		.amdhsa_float_denorm_mode_32 3
		.amdhsa_float_denorm_mode_16_64 3
		.amdhsa_dx10_clamp 1
		.amdhsa_ieee_mode 1
		.amdhsa_fp16_overflow 0
		.amdhsa_tg_split 0
		.amdhsa_exception_fp_ieee_invalid_op 0
		.amdhsa_exception_fp_denorm_src 0
		.amdhsa_exception_fp_ieee_div_zero 0
		.amdhsa_exception_fp_ieee_overflow 0
		.amdhsa_exception_fp_ieee_underflow 0
		.amdhsa_exception_fp_ieee_inexact 0
		.amdhsa_exception_int_div_zero 0
	.end_amdhsa_kernel
	.section	.text._ZN2at6native32elementwise_kernel_manual_unrollILi128ELi4EZNS0_15gpu_kernel_implIZZZNS0_12_GLOBAL__N_117hardshrink_kernelERNS_18TensorIteratorBaseERKN3c106ScalarEENKUlvE_clEvENKUlvE2_clEvEUlNS6_8BFloat16EE_EEvS5_RKT_EUlibE0_EEviT1_,"axG",@progbits,_ZN2at6native32elementwise_kernel_manual_unrollILi128ELi4EZNS0_15gpu_kernel_implIZZZNS0_12_GLOBAL__N_117hardshrink_kernelERNS_18TensorIteratorBaseERKN3c106ScalarEENKUlvE_clEvENKUlvE2_clEvEUlNS6_8BFloat16EE_EEvS5_RKT_EUlibE0_EEviT1_,comdat
.Lfunc_end31:
	.size	_ZN2at6native32elementwise_kernel_manual_unrollILi128ELi4EZNS0_15gpu_kernel_implIZZZNS0_12_GLOBAL__N_117hardshrink_kernelERNS_18TensorIteratorBaseERKN3c106ScalarEENKUlvE_clEvENKUlvE2_clEvEUlNS6_8BFloat16EE_EEvS5_RKT_EUlibE0_EEviT1_, .Lfunc_end31-_ZN2at6native32elementwise_kernel_manual_unrollILi128ELi4EZNS0_15gpu_kernel_implIZZZNS0_12_GLOBAL__N_117hardshrink_kernelERNS_18TensorIteratorBaseERKN3c106ScalarEENKUlvE_clEvENKUlvE2_clEvEUlNS6_8BFloat16EE_EEvS5_RKT_EUlibE0_EEviT1_
                                        ; -- End function
	.section	.AMDGPU.csdata,"",@progbits
; Kernel info:
; codeLenInByte = 46708
; NumSgprs: 83
; NumVgprs: 18
; NumAgprs: 0
; TotalNumVgprs: 18
; ScratchSize: 0
; MemoryBound: 0
; FloatMode: 240
; IeeeMode: 1
; LDSByteSize: 0 bytes/workgroup (compile time only)
; SGPRBlocks: 10
; VGPRBlocks: 2
; NumSGPRsForWavesPerEU: 83
; NumVGPRsForWavesPerEU: 18
; AccumOffset: 20
; Occupancy: 8
; WaveLimiterHint : 1
; COMPUTE_PGM_RSRC2:SCRATCH_EN: 0
; COMPUTE_PGM_RSRC2:USER_SGPR: 6
; COMPUTE_PGM_RSRC2:TRAP_HANDLER: 0
; COMPUTE_PGM_RSRC2:TGID_X_EN: 1
; COMPUTE_PGM_RSRC2:TGID_Y_EN: 0
; COMPUTE_PGM_RSRC2:TGID_Z_EN: 0
; COMPUTE_PGM_RSRC2:TIDIG_COMP_CNT: 0
; COMPUTE_PGM_RSRC3_GFX90A:ACCUM_OFFSET: 4
; COMPUTE_PGM_RSRC3_GFX90A:TG_SPLIT: 0
	.text
	.p2alignl 6, 3212836864
	.fill 256, 4, 3212836864
	.type	__hip_cuid_e2b790894412e928,@object ; @__hip_cuid_e2b790894412e928
	.section	.bss,"aw",@nobits
	.globl	__hip_cuid_e2b790894412e928
__hip_cuid_e2b790894412e928:
	.byte	0                               ; 0x0
	.size	__hip_cuid_e2b790894412e928, 1

	.ident	"AMD clang version 19.0.0git (https://github.com/RadeonOpenCompute/llvm-project roc-6.4.0 25133 c7fe45cf4b819c5991fe208aaa96edf142730f1d)"
	.section	".note.GNU-stack","",@progbits
	.addrsig
	.addrsig_sym __hip_cuid_e2b790894412e928
	.amdgpu_metadata
---
amdhsa.kernels:
  - .agpr_count:     0
    .args:
      - .offset:         0
        .size:           4
        .value_kind:     by_value
      - .offset:         8
        .size:           8
        .value_kind:     by_value
      - .offset:         16
        .size:           16
        .value_kind:     by_value
    .group_segment_fixed_size: 0
    .kernarg_segment_align: 8
    .kernarg_segment_size: 32
    .language:       OpenCL C
    .language_version:
      - 2
      - 0
    .max_flat_workgroup_size: 256
    .name:           _ZN2at6native29vectorized_elementwise_kernelILi16EZZZNS0_12_GLOBAL__N_117hardshrink_kernelERNS_18TensorIteratorBaseERKN3c106ScalarEENKUlvE_clEvENKUlvE_clEvEUldE_St5arrayIPcLm2EEEEviT0_T1_
    .private_segment_fixed_size: 0
    .sgpr_count:     30
    .sgpr_spill_count: 0
    .symbol:         _ZN2at6native29vectorized_elementwise_kernelILi16EZZZNS0_12_GLOBAL__N_117hardshrink_kernelERNS_18TensorIteratorBaseERKN3c106ScalarEENKUlvE_clEvENKUlvE_clEvEUldE_St5arrayIPcLm2EEEEviT0_T1_.kd
    .uniform_work_group_size: 1
    .uses_dynamic_stack: false
    .vgpr_count:     16
    .vgpr_spill_count: 0
    .wavefront_size: 64
  - .agpr_count:     0
    .args:
      - .offset:         0
        .size:           4
        .value_kind:     by_value
      - .offset:         8
        .size:           8
        .value_kind:     by_value
      - .offset:         16
        .size:           16
        .value_kind:     by_value
    .group_segment_fixed_size: 0
    .kernarg_segment_align: 8
    .kernarg_segment_size: 32
    .language:       OpenCL C
    .language_version:
      - 2
      - 0
    .max_flat_workgroup_size: 256
    .name:           _ZN2at6native29vectorized_elementwise_kernelILi8EZZZNS0_12_GLOBAL__N_117hardshrink_kernelERNS_18TensorIteratorBaseERKN3c106ScalarEENKUlvE_clEvENKUlvE_clEvEUldE_St5arrayIPcLm2EEEEviT0_T1_
    .private_segment_fixed_size: 0
    .sgpr_count:     30
    .sgpr_spill_count: 0
    .symbol:         _ZN2at6native29vectorized_elementwise_kernelILi8EZZZNS0_12_GLOBAL__N_117hardshrink_kernelERNS_18TensorIteratorBaseERKN3c106ScalarEENKUlvE_clEvENKUlvE_clEvEUldE_St5arrayIPcLm2EEEEviT0_T1_.kd
    .uniform_work_group_size: 1
    .uses_dynamic_stack: false
    .vgpr_count:     16
    .vgpr_spill_count: 0
    .wavefront_size: 64
  - .agpr_count:     0
    .args:
      - .offset:         0
        .size:           4
        .value_kind:     by_value
      - .offset:         8
        .size:           8
        .value_kind:     by_value
      - .offset:         16
        .size:           16
        .value_kind:     by_value
    .group_segment_fixed_size: 0
    .kernarg_segment_align: 8
    .kernarg_segment_size: 32
    .language:       OpenCL C
    .language_version:
      - 2
      - 0
    .max_flat_workgroup_size: 256
    .name:           _ZN2at6native29vectorized_elementwise_kernelILi4EZZZNS0_12_GLOBAL__N_117hardshrink_kernelERNS_18TensorIteratorBaseERKN3c106ScalarEENKUlvE_clEvENKUlvE_clEvEUldE_St5arrayIPcLm2EEEEviT0_T1_
    .private_segment_fixed_size: 0
    .sgpr_count:     30
    .sgpr_spill_count: 0
    .symbol:         _ZN2at6native29vectorized_elementwise_kernelILi4EZZZNS0_12_GLOBAL__N_117hardshrink_kernelERNS_18TensorIteratorBaseERKN3c106ScalarEENKUlvE_clEvENKUlvE_clEvEUldE_St5arrayIPcLm2EEEEviT0_T1_.kd
    .uniform_work_group_size: 1
    .uses_dynamic_stack: false
    .vgpr_count:     16
    .vgpr_spill_count: 0
    .wavefront_size: 64
  - .agpr_count:     0
    .args:
      - .offset:         0
        .size:           4
        .value_kind:     by_value
      - .offset:         8
        .size:           8
        .value_kind:     by_value
      - .offset:         16
        .size:           16
        .value_kind:     by_value
    .group_segment_fixed_size: 0
    .kernarg_segment_align: 8
    .kernarg_segment_size: 32
    .language:       OpenCL C
    .language_version:
      - 2
      - 0
    .max_flat_workgroup_size: 256
    .name:           _ZN2at6native29vectorized_elementwise_kernelILi2EZZZNS0_12_GLOBAL__N_117hardshrink_kernelERNS_18TensorIteratorBaseERKN3c106ScalarEENKUlvE_clEvENKUlvE_clEvEUldE_St5arrayIPcLm2EEEEviT0_T1_
    .private_segment_fixed_size: 0
    .sgpr_count:     22
    .sgpr_spill_count: 0
    .symbol:         _ZN2at6native29vectorized_elementwise_kernelILi2EZZZNS0_12_GLOBAL__N_117hardshrink_kernelERNS_18TensorIteratorBaseERKN3c106ScalarEENKUlvE_clEvENKUlvE_clEvEUldE_St5arrayIPcLm2EEEEviT0_T1_.kd
    .uniform_work_group_size: 1
    .uses_dynamic_stack: false
    .vgpr_count:     16
    .vgpr_spill_count: 0
    .wavefront_size: 64
  - .agpr_count:     0
    .args:
      - .offset:         0
        .size:           4
        .value_kind:     by_value
      - .offset:         8
        .size:           8
        .value_kind:     by_value
      - .offset:         16
        .size:           16
        .value_kind:     by_value
      - .offset:         32
        .size:           1
        .value_kind:     by_value
      - .offset:         33
        .size:           1
        .value_kind:     by_value
      - .offset:         34
        .size:           1
        .value_kind:     by_value
      - .offset:         35
        .size:           1
        .value_kind:     by_value
    .group_segment_fixed_size: 0
    .kernarg_segment_align: 8
    .kernarg_segment_size: 36
    .language:       OpenCL C
    .language_version:
      - 2
      - 0
    .max_flat_workgroup_size: 256
    .name:           _ZN2at6native27unrolled_elementwise_kernelIZZZNS0_12_GLOBAL__N_117hardshrink_kernelERNS_18TensorIteratorBaseERKN3c106ScalarEENKUlvE_clEvENKUlvE_clEvEUldE_St5arrayIPcLm2EELi4E23TrivialOffsetCalculatorILi1EjESG_NS0_6memory15LoadWithoutCastENSH_16StoreWithoutCastEEEviT_T0_T2_T3_T4_T5_
    .private_segment_fixed_size: 0
    .sgpr_count:     16
    .sgpr_spill_count: 0
    .symbol:         _ZN2at6native27unrolled_elementwise_kernelIZZZNS0_12_GLOBAL__N_117hardshrink_kernelERNS_18TensorIteratorBaseERKN3c106ScalarEENKUlvE_clEvENKUlvE_clEvEUldE_St5arrayIPcLm2EELi4E23TrivialOffsetCalculatorILi1EjESG_NS0_6memory15LoadWithoutCastENSH_16StoreWithoutCastEEEviT_T0_T2_T3_T4_T5_.kd
    .uniform_work_group_size: 1
    .uses_dynamic_stack: false
    .vgpr_count:     16
    .vgpr_spill_count: 0
    .wavefront_size: 64
  - .agpr_count:     0
    .args:
      - .offset:         0
        .size:           4
        .value_kind:     by_value
      - .offset:         8
        .size:           352
        .value_kind:     by_value
    .group_segment_fixed_size: 0
    .kernarg_segment_align: 8
    .kernarg_segment_size: 360
    .language:       OpenCL C
    .language_version:
      - 2
      - 0
    .max_flat_workgroup_size: 128
    .name:           _ZN2at6native32elementwise_kernel_manual_unrollILi128ELi4EZNS0_22gpu_kernel_impl_nocastIZZZNS0_12_GLOBAL__N_117hardshrink_kernelERNS_18TensorIteratorBaseERKN3c106ScalarEENKUlvE_clEvENKUlvE_clEvEUldE_EEvS5_RKT_EUlibE_EEviT1_
    .private_segment_fixed_size: 0
    .sgpr_count:     66
    .sgpr_spill_count: 0
    .symbol:         _ZN2at6native32elementwise_kernel_manual_unrollILi128ELi4EZNS0_22gpu_kernel_impl_nocastIZZZNS0_12_GLOBAL__N_117hardshrink_kernelERNS_18TensorIteratorBaseERKN3c106ScalarEENKUlvE_clEvENKUlvE_clEvEUldE_EEvS5_RKT_EUlibE_EEviT1_.kd
    .uniform_work_group_size: 1
    .uses_dynamic_stack: false
    .vgpr_count:     24
    .vgpr_spill_count: 0
    .wavefront_size: 64
  - .agpr_count:     0
    .args:
      - .offset:         0
        .size:           4
        .value_kind:     by_value
      - .offset:         8
        .size:           40
        .value_kind:     by_value
    .group_segment_fixed_size: 0
    .kernarg_segment_align: 8
    .kernarg_segment_size: 48
    .language:       OpenCL C
    .language_version:
      - 2
      - 0
    .max_flat_workgroup_size: 128
    .name:           _ZN2at6native32elementwise_kernel_manual_unrollILi128ELi4EZNS0_15gpu_kernel_implIZZZNS0_12_GLOBAL__N_117hardshrink_kernelERNS_18TensorIteratorBaseERKN3c106ScalarEENKUlvE_clEvENKUlvE_clEvEUldE_EEvS5_RKT_EUlibE_EEviT1_
    .private_segment_fixed_size: 0
    .sgpr_count:     50
    .sgpr_spill_count: 0
    .symbol:         _ZN2at6native32elementwise_kernel_manual_unrollILi128ELi4EZNS0_15gpu_kernel_implIZZZNS0_12_GLOBAL__N_117hardshrink_kernelERNS_18TensorIteratorBaseERKN3c106ScalarEENKUlvE_clEvENKUlvE_clEvEUldE_EEvS5_RKT_EUlibE_EEviT1_.kd
    .uniform_work_group_size: 1
    .uses_dynamic_stack: false
    .vgpr_count:     18
    .vgpr_spill_count: 0
    .wavefront_size: 64
  - .agpr_count:     0
    .args:
      - .offset:         0
        .size:           4
        .value_kind:     by_value
      - .offset:         8
        .size:           360
        .value_kind:     by_value
    .group_segment_fixed_size: 0
    .kernarg_segment_align: 8
    .kernarg_segment_size: 368
    .language:       OpenCL C
    .language_version:
      - 2
      - 0
    .max_flat_workgroup_size: 128
    .name:           _ZN2at6native32elementwise_kernel_manual_unrollILi128ELi4EZNS0_15gpu_kernel_implIZZZNS0_12_GLOBAL__N_117hardshrink_kernelERNS_18TensorIteratorBaseERKN3c106ScalarEENKUlvE_clEvENKUlvE_clEvEUldE_EEvS5_RKT_EUlibE0_EEviT1_
    .private_segment_fixed_size: 0
    .sgpr_count:     83
    .sgpr_spill_count: 0
    .symbol:         _ZN2at6native32elementwise_kernel_manual_unrollILi128ELi4EZNS0_15gpu_kernel_implIZZZNS0_12_GLOBAL__N_117hardshrink_kernelERNS_18TensorIteratorBaseERKN3c106ScalarEENKUlvE_clEvENKUlvE_clEvEUldE_EEvS5_RKT_EUlibE0_EEviT1_.kd
    .uniform_work_group_size: 1
    .uses_dynamic_stack: false
    .vgpr_count:     22
    .vgpr_spill_count: 0
    .wavefront_size: 64
  - .agpr_count:     0
    .args:
      - .offset:         0
        .size:           4
        .value_kind:     by_value
      - .offset:         4
        .size:           4
        .value_kind:     by_value
      - .offset:         8
        .size:           16
        .value_kind:     by_value
    .group_segment_fixed_size: 0
    .kernarg_segment_align: 8
    .kernarg_segment_size: 24
    .language:       OpenCL C
    .language_version:
      - 2
      - 0
    .max_flat_workgroup_size: 256
    .name:           _ZN2at6native29vectorized_elementwise_kernelILi16EZZZNS0_12_GLOBAL__N_117hardshrink_kernelERNS_18TensorIteratorBaseERKN3c106ScalarEENKUlvE_clEvENKUlvE0_clEvEUlfE_St5arrayIPcLm2EEEEviT0_T1_
    .private_segment_fixed_size: 0
    .sgpr_count:     28
    .sgpr_spill_count: 0
    .symbol:         _ZN2at6native29vectorized_elementwise_kernelILi16EZZZNS0_12_GLOBAL__N_117hardshrink_kernelERNS_18TensorIteratorBaseERKN3c106ScalarEENKUlvE_clEvENKUlvE0_clEvEUlfE_St5arrayIPcLm2EEEEviT0_T1_.kd
    .uniform_work_group_size: 1
    .uses_dynamic_stack: false
    .vgpr_count:     9
    .vgpr_spill_count: 0
    .wavefront_size: 64
  - .agpr_count:     0
    .args:
      - .offset:         0
        .size:           4
        .value_kind:     by_value
      - .offset:         4
        .size:           4
        .value_kind:     by_value
      - .offset:         8
        .size:           16
        .value_kind:     by_value
    .group_segment_fixed_size: 0
    .kernarg_segment_align: 8
    .kernarg_segment_size: 24
    .language:       OpenCL C
    .language_version:
      - 2
      - 0
    .max_flat_workgroup_size: 256
    .name:           _ZN2at6native29vectorized_elementwise_kernelILi8EZZZNS0_12_GLOBAL__N_117hardshrink_kernelERNS_18TensorIteratorBaseERKN3c106ScalarEENKUlvE_clEvENKUlvE0_clEvEUlfE_St5arrayIPcLm2EEEEviT0_T1_
    .private_segment_fixed_size: 0
    .sgpr_count:     28
    .sgpr_spill_count: 0
    .symbol:         _ZN2at6native29vectorized_elementwise_kernelILi8EZZZNS0_12_GLOBAL__N_117hardshrink_kernelERNS_18TensorIteratorBaseERKN3c106ScalarEENKUlvE_clEvENKUlvE0_clEvEUlfE_St5arrayIPcLm2EEEEviT0_T1_.kd
    .uniform_work_group_size: 1
    .uses_dynamic_stack: false
    .vgpr_count:     9
    .vgpr_spill_count: 0
    .wavefront_size: 64
  - .agpr_count:     0
    .args:
      - .offset:         0
        .size:           4
        .value_kind:     by_value
      - .offset:         4
        .size:           4
        .value_kind:     by_value
      - .offset:         8
        .size:           16
        .value_kind:     by_value
    .group_segment_fixed_size: 0
    .kernarg_segment_align: 8
    .kernarg_segment_size: 24
    .language:       OpenCL C
    .language_version:
      - 2
      - 0
    .max_flat_workgroup_size: 256
    .name:           _ZN2at6native29vectorized_elementwise_kernelILi4EZZZNS0_12_GLOBAL__N_117hardshrink_kernelERNS_18TensorIteratorBaseERKN3c106ScalarEENKUlvE_clEvENKUlvE0_clEvEUlfE_St5arrayIPcLm2EEEEviT0_T1_
    .private_segment_fixed_size: 0
    .sgpr_count:     28
    .sgpr_spill_count: 0
    .symbol:         _ZN2at6native29vectorized_elementwise_kernelILi4EZZZNS0_12_GLOBAL__N_117hardshrink_kernelERNS_18TensorIteratorBaseERKN3c106ScalarEENKUlvE_clEvENKUlvE0_clEvEUlfE_St5arrayIPcLm2EEEEviT0_T1_.kd
    .uniform_work_group_size: 1
    .uses_dynamic_stack: false
    .vgpr_count:     9
    .vgpr_spill_count: 0
    .wavefront_size: 64
  - .agpr_count:     0
    .args:
      - .offset:         0
        .size:           4
        .value_kind:     by_value
      - .offset:         4
        .size:           4
        .value_kind:     by_value
      - .offset:         8
        .size:           16
        .value_kind:     by_value
    .group_segment_fixed_size: 0
    .kernarg_segment_align: 8
    .kernarg_segment_size: 24
    .language:       OpenCL C
    .language_version:
      - 2
      - 0
    .max_flat_workgroup_size: 256
    .name:           _ZN2at6native29vectorized_elementwise_kernelILi2EZZZNS0_12_GLOBAL__N_117hardshrink_kernelERNS_18TensorIteratorBaseERKN3c106ScalarEENKUlvE_clEvENKUlvE0_clEvEUlfE_St5arrayIPcLm2EEEEviT0_T1_
    .private_segment_fixed_size: 0
    .sgpr_count:     28
    .sgpr_spill_count: 0
    .symbol:         _ZN2at6native29vectorized_elementwise_kernelILi2EZZZNS0_12_GLOBAL__N_117hardshrink_kernelERNS_18TensorIteratorBaseERKN3c106ScalarEENKUlvE_clEvENKUlvE0_clEvEUlfE_St5arrayIPcLm2EEEEviT0_T1_.kd
    .uniform_work_group_size: 1
    .uses_dynamic_stack: false
    .vgpr_count:     9
    .vgpr_spill_count: 0
    .wavefront_size: 64
  - .agpr_count:     0
    .args:
      - .offset:         0
        .size:           4
        .value_kind:     by_value
      - .offset:         4
        .size:           4
        .value_kind:     by_value
      - .offset:         8
        .size:           16
        .value_kind:     by_value
      - .offset:         24
        .size:           1
        .value_kind:     by_value
      - .offset:         25
        .size:           1
        .value_kind:     by_value
      - .offset:         26
        .size:           1
        .value_kind:     by_value
      - .offset:         27
        .size:           1
        .value_kind:     by_value
    .group_segment_fixed_size: 0
    .kernarg_segment_align: 8
    .kernarg_segment_size: 28
    .language:       OpenCL C
    .language_version:
      - 2
      - 0
    .max_flat_workgroup_size: 256
    .name:           _ZN2at6native27unrolled_elementwise_kernelIZZZNS0_12_GLOBAL__N_117hardshrink_kernelERNS_18TensorIteratorBaseERKN3c106ScalarEENKUlvE_clEvENKUlvE0_clEvEUlfE_St5arrayIPcLm2EELi4E23TrivialOffsetCalculatorILi1EjESG_NS0_6memory15LoadWithoutCastENSH_16StoreWithoutCastEEEviT_T0_T2_T3_T4_T5_
    .private_segment_fixed_size: 0
    .sgpr_count:     16
    .sgpr_spill_count: 0
    .symbol:         _ZN2at6native27unrolled_elementwise_kernelIZZZNS0_12_GLOBAL__N_117hardshrink_kernelERNS_18TensorIteratorBaseERKN3c106ScalarEENKUlvE_clEvENKUlvE0_clEvEUlfE_St5arrayIPcLm2EELi4E23TrivialOffsetCalculatorILi1EjESG_NS0_6memory15LoadWithoutCastENSH_16StoreWithoutCastEEEviT_T0_T2_T3_T4_T5_.kd
    .uniform_work_group_size: 1
    .uses_dynamic_stack: false
    .vgpr_count:     9
    .vgpr_spill_count: 0
    .wavefront_size: 64
  - .agpr_count:     0
    .args:
      - .offset:         0
        .size:           4
        .value_kind:     by_value
      - .offset:         8
        .size:           352
        .value_kind:     by_value
    .group_segment_fixed_size: 0
    .kernarg_segment_align: 8
    .kernarg_segment_size: 360
    .language:       OpenCL C
    .language_version:
      - 2
      - 0
    .max_flat_workgroup_size: 128
    .name:           _ZN2at6native32elementwise_kernel_manual_unrollILi128ELi4EZNS0_22gpu_kernel_impl_nocastIZZZNS0_12_GLOBAL__N_117hardshrink_kernelERNS_18TensorIteratorBaseERKN3c106ScalarEENKUlvE_clEvENKUlvE0_clEvEUlfE_EEvS5_RKT_EUlibE_EEviT1_
    .private_segment_fixed_size: 0
    .sgpr_count:     65
    .sgpr_spill_count: 0
    .symbol:         _ZN2at6native32elementwise_kernel_manual_unrollILi128ELi4EZNS0_22gpu_kernel_impl_nocastIZZZNS0_12_GLOBAL__N_117hardshrink_kernelERNS_18TensorIteratorBaseERKN3c106ScalarEENKUlvE_clEvENKUlvE0_clEvEUlfE_EEvS5_RKT_EUlibE_EEviT1_.kd
    .uniform_work_group_size: 1
    .uses_dynamic_stack: false
    .vgpr_count:     18
    .vgpr_spill_count: 0
    .wavefront_size: 64
  - .agpr_count:     0
    .args:
      - .offset:         0
        .size:           4
        .value_kind:     by_value
      - .offset:         8
        .size:           32
        .value_kind:     by_value
    .group_segment_fixed_size: 0
    .kernarg_segment_align: 8
    .kernarg_segment_size: 40
    .language:       OpenCL C
    .language_version:
      - 2
      - 0
    .max_flat_workgroup_size: 128
    .name:           _ZN2at6native32elementwise_kernel_manual_unrollILi128ELi4EZNS0_15gpu_kernel_implIZZZNS0_12_GLOBAL__N_117hardshrink_kernelERNS_18TensorIteratorBaseERKN3c106ScalarEENKUlvE_clEvENKUlvE0_clEvEUlfE_EEvS5_RKT_EUlibE_EEviT1_
    .private_segment_fixed_size: 0
    .sgpr_count:     48
    .sgpr_spill_count: 0
    .symbol:         _ZN2at6native32elementwise_kernel_manual_unrollILi128ELi4EZNS0_15gpu_kernel_implIZZZNS0_12_GLOBAL__N_117hardshrink_kernelERNS_18TensorIteratorBaseERKN3c106ScalarEENKUlvE_clEvENKUlvE0_clEvEUlfE_EEvS5_RKT_EUlibE_EEviT1_.kd
    .uniform_work_group_size: 1
    .uses_dynamic_stack: false
    .vgpr_count:     14
    .vgpr_spill_count: 0
    .wavefront_size: 64
  - .agpr_count:     0
    .args:
      - .offset:         0
        .size:           4
        .value_kind:     by_value
      - .offset:         8
        .size:           352
        .value_kind:     by_value
    .group_segment_fixed_size: 0
    .kernarg_segment_align: 8
    .kernarg_segment_size: 360
    .language:       OpenCL C
    .language_version:
      - 2
      - 0
    .max_flat_workgroup_size: 128
    .name:           _ZN2at6native32elementwise_kernel_manual_unrollILi128ELi4EZNS0_15gpu_kernel_implIZZZNS0_12_GLOBAL__N_117hardshrink_kernelERNS_18TensorIteratorBaseERKN3c106ScalarEENKUlvE_clEvENKUlvE0_clEvEUlfE_EEvS5_RKT_EUlibE0_EEviT1_
    .private_segment_fixed_size: 0
    .sgpr_count:     82
    .sgpr_spill_count: 0
    .symbol:         _ZN2at6native32elementwise_kernel_manual_unrollILi128ELi4EZNS0_15gpu_kernel_implIZZZNS0_12_GLOBAL__N_117hardshrink_kernelERNS_18TensorIteratorBaseERKN3c106ScalarEENKUlvE_clEvENKUlvE0_clEvEUlfE_EEvS5_RKT_EUlibE0_EEviT1_.kd
    .uniform_work_group_size: 1
    .uses_dynamic_stack: false
    .vgpr_count:     18
    .vgpr_spill_count: 0
    .wavefront_size: 64
  - .agpr_count:     0
    .args:
      - .offset:         0
        .size:           4
        .value_kind:     by_value
      - .offset:         4
        .size:           2
        .value_kind:     by_value
      - .offset:         8
        .size:           16
        .value_kind:     by_value
    .group_segment_fixed_size: 0
    .kernarg_segment_align: 8
    .kernarg_segment_size: 24
    .language:       OpenCL C
    .language_version:
      - 2
      - 0
    .max_flat_workgroup_size: 256
    .name:           _ZN2at6native29vectorized_elementwise_kernelILi16EZZZNS0_12_GLOBAL__N_117hardshrink_kernelERNS_18TensorIteratorBaseERKN3c106ScalarEENKUlvE_clEvENKUlvE1_clEvEUlNS5_4HalfEE_St5arrayIPcLm2EEEEviT0_T1_
    .private_segment_fixed_size: 0
    .sgpr_count:     32
    .sgpr_spill_count: 0
    .symbol:         _ZN2at6native29vectorized_elementwise_kernelILi16EZZZNS0_12_GLOBAL__N_117hardshrink_kernelERNS_18TensorIteratorBaseERKN3c106ScalarEENKUlvE_clEvENKUlvE1_clEvEUlNS5_4HalfEE_St5arrayIPcLm2EEEEviT0_T1_.kd
    .uniform_work_group_size: 1
    .uses_dynamic_stack: false
    .vgpr_count:     14
    .vgpr_spill_count: 0
    .wavefront_size: 64
  - .agpr_count:     0
    .args:
      - .offset:         0
        .size:           4
        .value_kind:     by_value
      - .offset:         4
        .size:           2
        .value_kind:     by_value
      - .offset:         8
        .size:           16
        .value_kind:     by_value
    .group_segment_fixed_size: 0
    .kernarg_segment_align: 8
    .kernarg_segment_size: 24
    .language:       OpenCL C
    .language_version:
      - 2
      - 0
    .max_flat_workgroup_size: 256
    .name:           _ZN2at6native29vectorized_elementwise_kernelILi8EZZZNS0_12_GLOBAL__N_117hardshrink_kernelERNS_18TensorIteratorBaseERKN3c106ScalarEENKUlvE_clEvENKUlvE1_clEvEUlNS5_4HalfEE_St5arrayIPcLm2EEEEviT0_T1_
    .private_segment_fixed_size: 0
    .sgpr_count:     32
    .sgpr_spill_count: 0
    .symbol:         _ZN2at6native29vectorized_elementwise_kernelILi8EZZZNS0_12_GLOBAL__N_117hardshrink_kernelERNS_18TensorIteratorBaseERKN3c106ScalarEENKUlvE_clEvENKUlvE1_clEvEUlNS5_4HalfEE_St5arrayIPcLm2EEEEviT0_T1_.kd
    .uniform_work_group_size: 1
    .uses_dynamic_stack: false
    .vgpr_count:     14
    .vgpr_spill_count: 0
    .wavefront_size: 64
  - .agpr_count:     0
    .args:
      - .offset:         0
        .size:           4
        .value_kind:     by_value
      - .offset:         4
        .size:           2
        .value_kind:     by_value
      - .offset:         8
        .size:           16
        .value_kind:     by_value
    .group_segment_fixed_size: 0
    .kernarg_segment_align: 8
    .kernarg_segment_size: 24
    .language:       OpenCL C
    .language_version:
      - 2
      - 0
    .max_flat_workgroup_size: 256
    .name:           _ZN2at6native29vectorized_elementwise_kernelILi4EZZZNS0_12_GLOBAL__N_117hardshrink_kernelERNS_18TensorIteratorBaseERKN3c106ScalarEENKUlvE_clEvENKUlvE1_clEvEUlNS5_4HalfEE_St5arrayIPcLm2EEEEviT0_T1_
    .private_segment_fixed_size: 0
    .sgpr_count:     46
    .sgpr_spill_count: 0
    .symbol:         _ZN2at6native29vectorized_elementwise_kernelILi4EZZZNS0_12_GLOBAL__N_117hardshrink_kernelERNS_18TensorIteratorBaseERKN3c106ScalarEENKUlvE_clEvENKUlvE1_clEvEUlNS5_4HalfEE_St5arrayIPcLm2EEEEviT0_T1_.kd
    .uniform_work_group_size: 1
    .uses_dynamic_stack: false
    .vgpr_count:     14
    .vgpr_spill_count: 0
    .wavefront_size: 64
  - .agpr_count:     0
    .args:
      - .offset:         0
        .size:           4
        .value_kind:     by_value
      - .offset:         4
        .size:           2
        .value_kind:     by_value
      - .offset:         8
        .size:           16
        .value_kind:     by_value
    .group_segment_fixed_size: 0
    .kernarg_segment_align: 8
    .kernarg_segment_size: 24
    .language:       OpenCL C
    .language_version:
      - 2
      - 0
    .max_flat_workgroup_size: 256
    .name:           _ZN2at6native29vectorized_elementwise_kernelILi2EZZZNS0_12_GLOBAL__N_117hardshrink_kernelERNS_18TensorIteratorBaseERKN3c106ScalarEENKUlvE_clEvENKUlvE1_clEvEUlNS5_4HalfEE_St5arrayIPcLm2EEEEviT0_T1_
    .private_segment_fixed_size: 0
    .sgpr_count:     46
    .sgpr_spill_count: 0
    .symbol:         _ZN2at6native29vectorized_elementwise_kernelILi2EZZZNS0_12_GLOBAL__N_117hardshrink_kernelERNS_18TensorIteratorBaseERKN3c106ScalarEENKUlvE_clEvENKUlvE1_clEvEUlNS5_4HalfEE_St5arrayIPcLm2EEEEviT0_T1_.kd
    .uniform_work_group_size: 1
    .uses_dynamic_stack: false
    .vgpr_count:     14
    .vgpr_spill_count: 0
    .wavefront_size: 64
  - .agpr_count:     0
    .args:
      - .offset:         0
        .size:           4
        .value_kind:     by_value
      - .offset:         4
        .size:           2
        .value_kind:     by_value
      - .offset:         8
        .size:           16
        .value_kind:     by_value
      - .offset:         24
        .size:           1
        .value_kind:     by_value
      - .offset:         25
        .size:           1
        .value_kind:     by_value
      - .offset:         26
        .size:           1
        .value_kind:     by_value
      - .offset:         27
        .size:           1
        .value_kind:     by_value
    .group_segment_fixed_size: 0
    .kernarg_segment_align: 8
    .kernarg_segment_size: 28
    .language:       OpenCL C
    .language_version:
      - 2
      - 0
    .max_flat_workgroup_size: 256
    .name:           _ZN2at6native27unrolled_elementwise_kernelIZZZNS0_12_GLOBAL__N_117hardshrink_kernelERNS_18TensorIteratorBaseERKN3c106ScalarEENKUlvE_clEvENKUlvE1_clEvEUlNS5_4HalfEE_St5arrayIPcLm2EELi4E23TrivialOffsetCalculatorILi1EjESH_NS0_6memory15LoadWithoutCastENSI_16StoreWithoutCastEEEviT_T0_T2_T3_T4_T5_
    .private_segment_fixed_size: 0
    .sgpr_count:     16
    .sgpr_spill_count: 0
    .symbol:         _ZN2at6native27unrolled_elementwise_kernelIZZZNS0_12_GLOBAL__N_117hardshrink_kernelERNS_18TensorIteratorBaseERKN3c106ScalarEENKUlvE_clEvENKUlvE1_clEvEUlNS5_4HalfEE_St5arrayIPcLm2EELi4E23TrivialOffsetCalculatorILi1EjESH_NS0_6memory15LoadWithoutCastENSI_16StoreWithoutCastEEEviT_T0_T2_T3_T4_T5_.kd
    .uniform_work_group_size: 1
    .uses_dynamic_stack: false
    .vgpr_count:     10
    .vgpr_spill_count: 0
    .wavefront_size: 64
  - .agpr_count:     0
    .args:
      - .offset:         0
        .size:           4
        .value_kind:     by_value
      - .offset:         8
        .size:           352
        .value_kind:     by_value
    .group_segment_fixed_size: 0
    .kernarg_segment_align: 8
    .kernarg_segment_size: 360
    .language:       OpenCL C
    .language_version:
      - 2
      - 0
    .max_flat_workgroup_size: 128
    .name:           _ZN2at6native32elementwise_kernel_manual_unrollILi128ELi8EZNS0_22gpu_kernel_impl_nocastIZZZNS0_12_GLOBAL__N_117hardshrink_kernelERNS_18TensorIteratorBaseERKN3c106ScalarEENKUlvE_clEvENKUlvE1_clEvEUlNS6_4HalfEE_EEvS5_RKT_EUlibE_EEviT1_
    .private_segment_fixed_size: 0
    .sgpr_count:     65
    .sgpr_spill_count: 0
    .symbol:         _ZN2at6native32elementwise_kernel_manual_unrollILi128ELi8EZNS0_22gpu_kernel_impl_nocastIZZZNS0_12_GLOBAL__N_117hardshrink_kernelERNS_18TensorIteratorBaseERKN3c106ScalarEENKUlvE_clEvENKUlvE1_clEvEUlNS6_4HalfEE_EEvS5_RKT_EUlibE_EEviT1_.kd
    .uniform_work_group_size: 1
    .uses_dynamic_stack: false
    .vgpr_count:     34
    .vgpr_spill_count: 0
    .wavefront_size: 64
  - .agpr_count:     0
    .args:
      - .offset:         0
        .size:           4
        .value_kind:     by_value
      - .offset:         8
        .size:           32
        .value_kind:     by_value
    .group_segment_fixed_size: 0
    .kernarg_segment_align: 8
    .kernarg_segment_size: 40
    .language:       OpenCL C
    .language_version:
      - 2
      - 0
    .max_flat_workgroup_size: 128
    .name:           _ZN2at6native32elementwise_kernel_manual_unrollILi128ELi4EZNS0_15gpu_kernel_implIZZZNS0_12_GLOBAL__N_117hardshrink_kernelERNS_18TensorIteratorBaseERKN3c106ScalarEENKUlvE_clEvENKUlvE1_clEvEUlNS6_4HalfEE_EEvS5_RKT_EUlibE_EEviT1_
    .private_segment_fixed_size: 0
    .sgpr_count:     49
    .sgpr_spill_count: 0
    .symbol:         _ZN2at6native32elementwise_kernel_manual_unrollILi128ELi4EZNS0_15gpu_kernel_implIZZZNS0_12_GLOBAL__N_117hardshrink_kernelERNS_18TensorIteratorBaseERKN3c106ScalarEENKUlvE_clEvENKUlvE1_clEvEUlNS6_4HalfEE_EEvS5_RKT_EUlibE_EEviT1_.kd
    .uniform_work_group_size: 1
    .uses_dynamic_stack: false
    .vgpr_count:     12
    .vgpr_spill_count: 0
    .wavefront_size: 64
  - .agpr_count:     0
    .args:
      - .offset:         0
        .size:           4
        .value_kind:     by_value
      - .offset:         8
        .size:           352
        .value_kind:     by_value
    .group_segment_fixed_size: 0
    .kernarg_segment_align: 8
    .kernarg_segment_size: 360
    .language:       OpenCL C
    .language_version:
      - 2
      - 0
    .max_flat_workgroup_size: 128
    .name:           _ZN2at6native32elementwise_kernel_manual_unrollILi128ELi4EZNS0_15gpu_kernel_implIZZZNS0_12_GLOBAL__N_117hardshrink_kernelERNS_18TensorIteratorBaseERKN3c106ScalarEENKUlvE_clEvENKUlvE1_clEvEUlNS6_4HalfEE_EEvS5_RKT_EUlibE0_EEviT1_
    .private_segment_fixed_size: 0
    .sgpr_count:     83
    .sgpr_spill_count: 0
    .symbol:         _ZN2at6native32elementwise_kernel_manual_unrollILi128ELi4EZNS0_15gpu_kernel_implIZZZNS0_12_GLOBAL__N_117hardshrink_kernelERNS_18TensorIteratorBaseERKN3c106ScalarEENKUlvE_clEvENKUlvE1_clEvEUlNS6_4HalfEE_EEvS5_RKT_EUlibE0_EEviT1_.kd
    .uniform_work_group_size: 1
    .uses_dynamic_stack: false
    .vgpr_count:     18
    .vgpr_spill_count: 0
    .wavefront_size: 64
  - .agpr_count:     0
    .args:
      - .offset:         0
        .size:           4
        .value_kind:     by_value
      - .offset:         4
        .size:           2
        .value_kind:     by_value
      - .offset:         8
        .size:           16
        .value_kind:     by_value
    .group_segment_fixed_size: 0
    .kernarg_segment_align: 8
    .kernarg_segment_size: 24
    .language:       OpenCL C
    .language_version:
      - 2
      - 0
    .max_flat_workgroup_size: 256
    .name:           _ZN2at6native29vectorized_elementwise_kernelILi16EZZZNS0_12_GLOBAL__N_117hardshrink_kernelERNS_18TensorIteratorBaseERKN3c106ScalarEENKUlvE_clEvENKUlvE2_clEvEUlNS5_8BFloat16EE_St5arrayIPcLm2EEEEviT0_T1_
    .private_segment_fixed_size: 0
    .sgpr_count:     46
    .sgpr_spill_count: 0
    .symbol:         _ZN2at6native29vectorized_elementwise_kernelILi16EZZZNS0_12_GLOBAL__N_117hardshrink_kernelERNS_18TensorIteratorBaseERKN3c106ScalarEENKUlvE_clEvENKUlvE2_clEvEUlNS5_8BFloat16EE_St5arrayIPcLm2EEEEviT0_T1_.kd
    .uniform_work_group_size: 1
    .uses_dynamic_stack: false
    .vgpr_count:     19
    .vgpr_spill_count: 0
    .wavefront_size: 64
  - .agpr_count:     0
    .args:
      - .offset:         0
        .size:           4
        .value_kind:     by_value
      - .offset:         4
        .size:           2
        .value_kind:     by_value
      - .offset:         8
        .size:           16
        .value_kind:     by_value
    .group_segment_fixed_size: 0
    .kernarg_segment_align: 8
    .kernarg_segment_size: 24
    .language:       OpenCL C
    .language_version:
      - 2
      - 0
    .max_flat_workgroup_size: 256
    .name:           _ZN2at6native29vectorized_elementwise_kernelILi8EZZZNS0_12_GLOBAL__N_117hardshrink_kernelERNS_18TensorIteratorBaseERKN3c106ScalarEENKUlvE_clEvENKUlvE2_clEvEUlNS5_8BFloat16EE_St5arrayIPcLm2EEEEviT0_T1_
    .private_segment_fixed_size: 0
    .sgpr_count:     46
    .sgpr_spill_count: 0
    .symbol:         _ZN2at6native29vectorized_elementwise_kernelILi8EZZZNS0_12_GLOBAL__N_117hardshrink_kernelERNS_18TensorIteratorBaseERKN3c106ScalarEENKUlvE_clEvENKUlvE2_clEvEUlNS5_8BFloat16EE_St5arrayIPcLm2EEEEviT0_T1_.kd
    .uniform_work_group_size: 1
    .uses_dynamic_stack: false
    .vgpr_count:     19
    .vgpr_spill_count: 0
    .wavefront_size: 64
  - .agpr_count:     0
    .args:
      - .offset:         0
        .size:           4
        .value_kind:     by_value
      - .offset:         4
        .size:           2
        .value_kind:     by_value
      - .offset:         8
        .size:           16
        .value_kind:     by_value
    .group_segment_fixed_size: 0
    .kernarg_segment_align: 8
    .kernarg_segment_size: 24
    .language:       OpenCL C
    .language_version:
      - 2
      - 0
    .max_flat_workgroup_size: 256
    .name:           _ZN2at6native29vectorized_elementwise_kernelILi4EZZZNS0_12_GLOBAL__N_117hardshrink_kernelERNS_18TensorIteratorBaseERKN3c106ScalarEENKUlvE_clEvENKUlvE2_clEvEUlNS5_8BFloat16EE_St5arrayIPcLm2EEEEviT0_T1_
    .private_segment_fixed_size: 0
    .sgpr_count:     46
    .sgpr_spill_count: 0
    .symbol:         _ZN2at6native29vectorized_elementwise_kernelILi4EZZZNS0_12_GLOBAL__N_117hardshrink_kernelERNS_18TensorIteratorBaseERKN3c106ScalarEENKUlvE_clEvENKUlvE2_clEvEUlNS5_8BFloat16EE_St5arrayIPcLm2EEEEviT0_T1_.kd
    .uniform_work_group_size: 1
    .uses_dynamic_stack: false
    .vgpr_count:     15
    .vgpr_spill_count: 0
    .wavefront_size: 64
  - .agpr_count:     0
    .args:
      - .offset:         0
        .size:           4
        .value_kind:     by_value
      - .offset:         4
        .size:           2
        .value_kind:     by_value
      - .offset:         8
        .size:           16
        .value_kind:     by_value
    .group_segment_fixed_size: 0
    .kernarg_segment_align: 8
    .kernarg_segment_size: 24
    .language:       OpenCL C
    .language_version:
      - 2
      - 0
    .max_flat_workgroup_size: 256
    .name:           _ZN2at6native29vectorized_elementwise_kernelILi2EZZZNS0_12_GLOBAL__N_117hardshrink_kernelERNS_18TensorIteratorBaseERKN3c106ScalarEENKUlvE_clEvENKUlvE2_clEvEUlNS5_8BFloat16EE_St5arrayIPcLm2EEEEviT0_T1_
    .private_segment_fixed_size: 0
    .sgpr_count:     46
    .sgpr_spill_count: 0
    .symbol:         _ZN2at6native29vectorized_elementwise_kernelILi2EZZZNS0_12_GLOBAL__N_117hardshrink_kernelERNS_18TensorIteratorBaseERKN3c106ScalarEENKUlvE_clEvENKUlvE2_clEvEUlNS5_8BFloat16EE_St5arrayIPcLm2EEEEviT0_T1_.kd
    .uniform_work_group_size: 1
    .uses_dynamic_stack: false
    .vgpr_count:     15
    .vgpr_spill_count: 0
    .wavefront_size: 64
  - .agpr_count:     0
    .args:
      - .offset:         0
        .size:           4
        .value_kind:     by_value
      - .offset:         4
        .size:           2
        .value_kind:     by_value
      - .offset:         8
        .size:           16
        .value_kind:     by_value
      - .offset:         24
        .size:           1
        .value_kind:     by_value
      - .offset:         25
        .size:           1
        .value_kind:     by_value
      - .offset:         26
        .size:           1
        .value_kind:     by_value
      - .offset:         27
        .size:           1
        .value_kind:     by_value
    .group_segment_fixed_size: 0
    .kernarg_segment_align: 8
    .kernarg_segment_size: 28
    .language:       OpenCL C
    .language_version:
      - 2
      - 0
    .max_flat_workgroup_size: 256
    .name:           _ZN2at6native27unrolled_elementwise_kernelIZZZNS0_12_GLOBAL__N_117hardshrink_kernelERNS_18TensorIteratorBaseERKN3c106ScalarEENKUlvE_clEvENKUlvE2_clEvEUlNS5_8BFloat16EE_St5arrayIPcLm2EELi4E23TrivialOffsetCalculatorILi1EjESH_NS0_6memory15LoadWithoutCastENSI_16StoreWithoutCastEEEviT_T0_T2_T3_T4_T5_
    .private_segment_fixed_size: 0
    .sgpr_count:     16
    .sgpr_spill_count: 0
    .symbol:         _ZN2at6native27unrolled_elementwise_kernelIZZZNS0_12_GLOBAL__N_117hardshrink_kernelERNS_18TensorIteratorBaseERKN3c106ScalarEENKUlvE_clEvENKUlvE2_clEvEUlNS5_8BFloat16EE_St5arrayIPcLm2EELi4E23TrivialOffsetCalculatorILi1EjESH_NS0_6memory15LoadWithoutCastENSI_16StoreWithoutCastEEEviT_T0_T2_T3_T4_T5_.kd
    .uniform_work_group_size: 1
    .uses_dynamic_stack: false
    .vgpr_count:     10
    .vgpr_spill_count: 0
    .wavefront_size: 64
  - .agpr_count:     0
    .args:
      - .offset:         0
        .size:           4
        .value_kind:     by_value
      - .offset:         8
        .size:           352
        .value_kind:     by_value
    .group_segment_fixed_size: 0
    .kernarg_segment_align: 8
    .kernarg_segment_size: 360
    .language:       OpenCL C
    .language_version:
      - 2
      - 0
    .max_flat_workgroup_size: 128
    .name:           _ZN2at6native32elementwise_kernel_manual_unrollILi128ELi8EZNS0_22gpu_kernel_impl_nocastIZZZNS0_12_GLOBAL__N_117hardshrink_kernelERNS_18TensorIteratorBaseERKN3c106ScalarEENKUlvE_clEvENKUlvE2_clEvEUlNS6_8BFloat16EE_EEvS5_RKT_EUlibE_EEviT1_
    .private_segment_fixed_size: 0
    .sgpr_count:     65
    .sgpr_spill_count: 0
    .symbol:         _ZN2at6native32elementwise_kernel_manual_unrollILi128ELi8EZNS0_22gpu_kernel_impl_nocastIZZZNS0_12_GLOBAL__N_117hardshrink_kernelERNS_18TensorIteratorBaseERKN3c106ScalarEENKUlvE_clEvENKUlvE2_clEvEUlNS6_8BFloat16EE_EEvS5_RKT_EUlibE_EEviT1_.kd
    .uniform_work_group_size: 1
    .uses_dynamic_stack: false
    .vgpr_count:     34
    .vgpr_spill_count: 0
    .wavefront_size: 64
  - .agpr_count:     0
    .args:
      - .offset:         0
        .size:           4
        .value_kind:     by_value
      - .offset:         8
        .size:           32
        .value_kind:     by_value
    .group_segment_fixed_size: 0
    .kernarg_segment_align: 8
    .kernarg_segment_size: 40
    .language:       OpenCL C
    .language_version:
      - 2
      - 0
    .max_flat_workgroup_size: 128
    .name:           _ZN2at6native32elementwise_kernel_manual_unrollILi128ELi4EZNS0_15gpu_kernel_implIZZZNS0_12_GLOBAL__N_117hardshrink_kernelERNS_18TensorIteratorBaseERKN3c106ScalarEENKUlvE_clEvENKUlvE2_clEvEUlNS6_8BFloat16EE_EEvS5_RKT_EUlibE_EEviT1_
    .private_segment_fixed_size: 0
    .sgpr_count:     50
    .sgpr_spill_count: 0
    .symbol:         _ZN2at6native32elementwise_kernel_manual_unrollILi128ELi4EZNS0_15gpu_kernel_implIZZZNS0_12_GLOBAL__N_117hardshrink_kernelERNS_18TensorIteratorBaseERKN3c106ScalarEENKUlvE_clEvENKUlvE2_clEvEUlNS6_8BFloat16EE_EEvS5_RKT_EUlibE_EEviT1_.kd
    .uniform_work_group_size: 1
    .uses_dynamic_stack: false
    .vgpr_count:     12
    .vgpr_spill_count: 0
    .wavefront_size: 64
  - .agpr_count:     0
    .args:
      - .offset:         0
        .size:           4
        .value_kind:     by_value
      - .offset:         8
        .size:           352
        .value_kind:     by_value
    .group_segment_fixed_size: 0
    .kernarg_segment_align: 8
    .kernarg_segment_size: 360
    .language:       OpenCL C
    .language_version:
      - 2
      - 0
    .max_flat_workgroup_size: 128
    .name:           _ZN2at6native32elementwise_kernel_manual_unrollILi128ELi4EZNS0_15gpu_kernel_implIZZZNS0_12_GLOBAL__N_117hardshrink_kernelERNS_18TensorIteratorBaseERKN3c106ScalarEENKUlvE_clEvENKUlvE2_clEvEUlNS6_8BFloat16EE_EEvS5_RKT_EUlibE0_EEviT1_
    .private_segment_fixed_size: 0
    .sgpr_count:     83
    .sgpr_spill_count: 0
    .symbol:         _ZN2at6native32elementwise_kernel_manual_unrollILi128ELi4EZNS0_15gpu_kernel_implIZZZNS0_12_GLOBAL__N_117hardshrink_kernelERNS_18TensorIteratorBaseERKN3c106ScalarEENKUlvE_clEvENKUlvE2_clEvEUlNS6_8BFloat16EE_EEvS5_RKT_EUlibE0_EEviT1_.kd
    .uniform_work_group_size: 1
    .uses_dynamic_stack: false
    .vgpr_count:     18
    .vgpr_spill_count: 0
    .wavefront_size: 64
amdhsa.target:   amdgcn-amd-amdhsa--gfx90a
amdhsa.version:
  - 1
  - 2
...

	.end_amdgpu_metadata
